;; amdgpu-corpus repo=ROCm/rccl kind=compiled arch=gfx906 opt=O3
	.amdgcn_target "amdgcn-amd-amdhsa--gfx906"
	.amdhsa_code_object_version 6
	.text
	.p2align	2                               ; -- Begin function __ockl_fprintf_append_string_n
	.type	__ockl_fprintf_append_string_n,@function
__ockl_fprintf_append_string_n:         ; @__ockl_fprintf_append_string_n
; %bb.0:
	s_waitcnt vmcnt(0) expcnt(0) lgkmcnt(0)
	v_or_b32_e32 v2, 2, v0
	v_cmp_eq_u32_e32 vcc, 0, v6
	s_getpc_b64 s[4:5]
	s_add_u32 s4, s4, .str.3@rel32@lo+4
	s_addc_u32 s5, s5, .str.3@rel32@hi+12
	s_mov_b32 s20, 0
	v_cndmask_b32_e32 v36, v2, v0, vcc
	s_mov_b64 s[6:7], 0
	s_cmp_lg_u64 s[4:5], 0
	v_mbcnt_lo_u32_b32 v37, -1, 0
	s_cbranch_scc0 .LBB0_112
; %bb.1:
	s_load_dwordx2 s[10:11], s[8:9], 0x50
	s_getpc_b64 s[4:5]
	s_add_u32 s4, s4, .str.3@rel32@lo+4
	s_addc_u32 s5, s5, .str.3@rel32@hi+12
	v_and_b32_e32 v0, -3, v36
	v_mov_b32_e32 v31, s5
	v_mov_b32_e32 v11, v1
	v_and_b32_e32 v38, 2, v36
	v_mov_b32_e32 v3, 0
	v_mbcnt_hi_u32_b32 v39, -1, v37
	v_mov_b32_e32 v30, s4
	s_movk_i32 s21, 0x1e0
	v_mov_b32_e32 v8, 2
	v_mov_b32_e32 v9, 1
	;; [unrolled: 1-line block ×3, first 2 shown]
	s_branch .LBB0_3
.LBB0_2:                                ;   in Loop: Header=BB0_3 Depth=1
	s_or_b64 exec, exec, s[14:15]
	v_sub_co_u32_e32 v4, vcc, v4, v32
	v_subb_co_u32_e32 v5, vcc, v5, v33, vcc
	v_cmp_eq_u64_e32 vcc, 0, v[4:5]
	s_or_b64 s[6:7], vcc, s[6:7]
	v_add_co_u32_e32 v30, vcc, v30, v32
	v_addc_co_u32_e32 v31, vcc, v31, v33, vcc
	s_andn2_b64 exec, exec, s[6:7]
	s_cbranch_execz .LBB0_85
.LBB0_3:                                ; =>This Loop Header: Depth=1
                                        ;     Child Loop BB0_6 Depth 2
                                        ;     Child Loop BB0_14 Depth 2
	;; [unrolled: 1-line block ×11, first 2 shown]
	v_cmp_gt_u64_e32 vcc, 56, v[4:5]
	v_add_co_u32_e64 v16, s[4:5], 8, v30
	v_cndmask_b32_e32 v33, 0, v5, vcc
	v_cndmask_b32_e32 v32, 56, v4, vcc
	v_cmp_gt_u64_e32 vcc, 8, v[4:5]
	v_addc_co_u32_e64 v17, s[4:5], 0, v31, s[4:5]
	s_and_saveexec_b64 s[4:5], vcc
	s_xor_b64 s[4:5], exec, s[4:5]
	s_cbranch_execz .LBB0_9
; %bb.4:                                ;   in Loop: Header=BB0_3 Depth=1
	s_waitcnt vmcnt(0)
	v_mov_b32_e32 v12, 0
	v_cmp_ne_u64_e32 vcc, 0, v[4:5]
	v_mov_b32_e32 v13, 0
	s_and_saveexec_b64 s[12:13], vcc
	s_cbranch_execz .LBB0_8
; %bb.5:                                ;   in Loop: Header=BB0_3 Depth=1
	v_lshlrev_b64 v[6:7], 3, v[32:33]
	v_mov_b32_e32 v12, 0
	v_mov_b32_e32 v14, v30
	s_mov_b64 s[14:15], 0
	v_mov_b32_e32 v13, 0
	v_mov_b32_e32 v15, v31
	s_mov_b64 s[16:17], 0
.LBB0_6:                                ;   Parent Loop BB0_3 Depth=1
                                        ; =>  This Inner Loop Header: Depth=2
	global_load_ubyte v0, v[14:15], off
	v_mov_b32_e32 v17, s20
	v_add_co_u32_e32 v14, vcc, 1, v14
	v_addc_co_u32_e32 v15, vcc, 0, v15, vcc
	s_waitcnt vmcnt(0)
	v_and_b32_e32 v16, 0xffff, v0
	v_lshlrev_b64 v[16:17], s16, v[16:17]
	s_add_u32 s16, s16, 8
	s_addc_u32 s17, s17, 0
	v_cmp_eq_u32_e32 vcc, s16, v6
	v_or_b32_e32 v13, v17, v13
	s_or_b64 s[14:15], vcc, s[14:15]
	v_or_b32_e32 v12, v16, v12
	s_andn2_b64 exec, exec, s[14:15]
	s_cbranch_execnz .LBB0_6
; %bb.7:                                ;   in Loop: Header=BB0_3 Depth=1
	s_or_b64 exec, exec, s[14:15]
.LBB0_8:                                ;   in Loop: Header=BB0_3 Depth=1
	s_or_b64 exec, exec, s[12:13]
	v_mov_b32_e32 v16, v30
	v_mov_b32_e32 v17, v31
.LBB0_9:                                ;   in Loop: Header=BB0_3 Depth=1
	s_or_saveexec_b64 s[4:5], s[4:5]
	v_mov_b32_e32 v0, 0
	s_xor_b64 exec, exec, s[4:5]
	s_cbranch_execz .LBB0_11
; %bb.10:                               ;   in Loop: Header=BB0_3 Depth=1
	global_load_dwordx2 v[12:13], v[30:31], off
	v_add_u32_e32 v0, -8, v32
.LBB0_11:                               ;   in Loop: Header=BB0_3 Depth=1
	s_or_b64 exec, exec, s[4:5]
	v_add_co_u32_e64 v6, s[4:5], 8, v16
	v_cmp_gt_u32_e32 vcc, 8, v0
	v_addc_co_u32_e64 v7, s[4:5], 0, v17, s[4:5]
                                        ; implicit-def: $vgpr14_vgpr15
	s_and_saveexec_b64 s[4:5], vcc
	s_xor_b64 s[4:5], exec, s[4:5]
	s_cbranch_execz .LBB0_17
; %bb.12:                               ;   in Loop: Header=BB0_3 Depth=1
	v_mov_b32_e32 v14, 0
	v_mov_b32_e32 v15, 0
	v_cmp_ne_u32_e32 vcc, 0, v0
	s_and_saveexec_b64 s[12:13], vcc
	s_cbranch_execz .LBB0_16
; %bb.13:                               ;   in Loop: Header=BB0_3 Depth=1
	v_mov_b32_e32 v14, 0
	s_mov_b64 s[14:15], 0
	v_mov_b32_e32 v15, 0
	s_mov_b64 s[16:17], 0
	s_mov_b64 s[18:19], 0
.LBB0_14:                               ;   Parent Loop BB0_3 Depth=1
                                        ; =>  This Inner Loop Header: Depth=2
	v_mov_b32_e32 v2, s19
	v_add_co_u32_e32 v6, vcc, s18, v16
	v_addc_co_u32_e32 v7, vcc, v17, v2, vcc
	global_load_ubyte v2, v[6:7], off
	s_add_u32 s18, s18, 1
	v_mov_b32_e32 v7, s20
	s_addc_u32 s19, s19, 0
	v_cmp_eq_u32_e32 vcc, s18, v0
	s_waitcnt vmcnt(0)
	v_and_b32_e32 v6, 0xffff, v2
	v_lshlrev_b64 v[6:7], s16, v[6:7]
	s_add_u32 s16, s16, 8
	s_addc_u32 s17, s17, 0
	v_or_b32_e32 v15, v7, v15
	s_or_b64 s[14:15], vcc, s[14:15]
	v_or_b32_e32 v14, v6, v14
	s_andn2_b64 exec, exec, s[14:15]
	s_cbranch_execnz .LBB0_14
; %bb.15:                               ;   in Loop: Header=BB0_3 Depth=1
	s_or_b64 exec, exec, s[14:15]
.LBB0_16:                               ;   in Loop: Header=BB0_3 Depth=1
	s_or_b64 exec, exec, s[12:13]
	v_mov_b32_e32 v6, v16
	v_mov_b32_e32 v7, v17
                                        ; implicit-def: $vgpr0
.LBB0_17:                               ;   in Loop: Header=BB0_3 Depth=1
	s_or_saveexec_b64 s[4:5], s[4:5]
	v_mov_b32_e32 v2, 0
	s_xor_b64 exec, exec, s[4:5]
	s_cbranch_execz .LBB0_19
; %bb.18:                               ;   in Loop: Header=BB0_3 Depth=1
	global_load_dwordx2 v[14:15], v[16:17], off
	v_add_u32_e32 v2, -8, v0
.LBB0_19:                               ;   in Loop: Header=BB0_3 Depth=1
	s_or_b64 exec, exec, s[4:5]
	v_add_co_u32_e64 v20, s[4:5], 8, v6
	v_cmp_gt_u32_e32 vcc, 8, v2
	v_addc_co_u32_e64 v21, s[4:5], 0, v7, s[4:5]
	s_and_saveexec_b64 s[4:5], vcc
	s_xor_b64 s[4:5], exec, s[4:5]
	s_cbranch_execz .LBB0_25
; %bb.20:                               ;   in Loop: Header=BB0_3 Depth=1
	v_mov_b32_e32 v16, 0
	v_mov_b32_e32 v17, 0
	v_cmp_ne_u32_e32 vcc, 0, v2
	s_and_saveexec_b64 s[12:13], vcc
	s_cbranch_execz .LBB0_24
; %bb.21:                               ;   in Loop: Header=BB0_3 Depth=1
	v_mov_b32_e32 v16, 0
	s_mov_b64 s[14:15], 0
	v_mov_b32_e32 v17, 0
	s_mov_b64 s[16:17], 0
	s_mov_b64 s[18:19], 0
.LBB0_22:                               ;   Parent Loop BB0_3 Depth=1
                                        ; =>  This Inner Loop Header: Depth=2
	v_mov_b32_e32 v0, s19
	v_add_co_u32_e32 v18, vcc, s18, v6
	v_addc_co_u32_e32 v19, vcc, v7, v0, vcc
	global_load_ubyte v0, v[18:19], off
	s_add_u32 s18, s18, 1
	v_mov_b32_e32 v19, s20
	s_addc_u32 s19, s19, 0
	v_cmp_eq_u32_e32 vcc, s18, v2
	s_waitcnt vmcnt(0)
	v_and_b32_e32 v18, 0xffff, v0
	v_lshlrev_b64 v[18:19], s16, v[18:19]
	s_add_u32 s16, s16, 8
	s_addc_u32 s17, s17, 0
	v_or_b32_e32 v17, v19, v17
	s_or_b64 s[14:15], vcc, s[14:15]
	v_or_b32_e32 v16, v18, v16
	s_andn2_b64 exec, exec, s[14:15]
	s_cbranch_execnz .LBB0_22
; %bb.23:                               ;   in Loop: Header=BB0_3 Depth=1
	s_or_b64 exec, exec, s[14:15]
.LBB0_24:                               ;   in Loop: Header=BB0_3 Depth=1
	s_or_b64 exec, exec, s[12:13]
	v_mov_b32_e32 v21, v7
	v_mov_b32_e32 v20, v6
                                        ; implicit-def: $vgpr2
.LBB0_25:                               ;   in Loop: Header=BB0_3 Depth=1
	s_or_saveexec_b64 s[4:5], s[4:5]
	v_mov_b32_e32 v0, 0
	s_xor_b64 exec, exec, s[4:5]
	s_cbranch_execz .LBB0_27
; %bb.26:                               ;   in Loop: Header=BB0_3 Depth=1
	global_load_dwordx2 v[16:17], v[6:7], off
	v_add_u32_e32 v0, -8, v2
.LBB0_27:                               ;   in Loop: Header=BB0_3 Depth=1
	s_or_b64 exec, exec, s[4:5]
	v_add_co_u32_e64 v6, s[4:5], 8, v20
	v_cmp_gt_u32_e32 vcc, 8, v0
	v_addc_co_u32_e64 v7, s[4:5], 0, v21, s[4:5]
                                        ; implicit-def: $vgpr18_vgpr19
	s_and_saveexec_b64 s[4:5], vcc
	s_xor_b64 s[4:5], exec, s[4:5]
	s_cbranch_execz .LBB0_33
; %bb.28:                               ;   in Loop: Header=BB0_3 Depth=1
	v_mov_b32_e32 v18, 0
	v_mov_b32_e32 v19, 0
	v_cmp_ne_u32_e32 vcc, 0, v0
	s_and_saveexec_b64 s[12:13], vcc
	s_cbranch_execz .LBB0_32
; %bb.29:                               ;   in Loop: Header=BB0_3 Depth=1
	v_mov_b32_e32 v18, 0
	s_mov_b64 s[14:15], 0
	v_mov_b32_e32 v19, 0
	s_mov_b64 s[16:17], 0
	s_mov_b64 s[18:19], 0
.LBB0_30:                               ;   Parent Loop BB0_3 Depth=1
                                        ; =>  This Inner Loop Header: Depth=2
	v_mov_b32_e32 v2, s19
	v_add_co_u32_e32 v6, vcc, s18, v20
	v_addc_co_u32_e32 v7, vcc, v21, v2, vcc
	global_load_ubyte v2, v[6:7], off
	s_add_u32 s18, s18, 1
	v_mov_b32_e32 v7, s20
	s_addc_u32 s19, s19, 0
	v_cmp_eq_u32_e32 vcc, s18, v0
	s_waitcnt vmcnt(0)
	v_and_b32_e32 v6, 0xffff, v2
	v_lshlrev_b64 v[6:7], s16, v[6:7]
	s_add_u32 s16, s16, 8
	s_addc_u32 s17, s17, 0
	v_or_b32_e32 v19, v7, v19
	s_or_b64 s[14:15], vcc, s[14:15]
	v_or_b32_e32 v18, v6, v18
	s_andn2_b64 exec, exec, s[14:15]
	s_cbranch_execnz .LBB0_30
; %bb.31:                               ;   in Loop: Header=BB0_3 Depth=1
	s_or_b64 exec, exec, s[14:15]
.LBB0_32:                               ;   in Loop: Header=BB0_3 Depth=1
	s_or_b64 exec, exec, s[12:13]
	v_mov_b32_e32 v6, v20
	v_mov_b32_e32 v7, v21
                                        ; implicit-def: $vgpr0
.LBB0_33:                               ;   in Loop: Header=BB0_3 Depth=1
	s_or_saveexec_b64 s[4:5], s[4:5]
	v_mov_b32_e32 v2, 0
	s_xor_b64 exec, exec, s[4:5]
	s_cbranch_execz .LBB0_35
; %bb.34:                               ;   in Loop: Header=BB0_3 Depth=1
	global_load_dwordx2 v[18:19], v[20:21], off
	v_add_u32_e32 v2, -8, v0
.LBB0_35:                               ;   in Loop: Header=BB0_3 Depth=1
	s_or_b64 exec, exec, s[4:5]
	v_add_co_u32_e64 v24, s[4:5], 8, v6
	v_cmp_gt_u32_e32 vcc, 8, v2
	v_addc_co_u32_e64 v25, s[4:5], 0, v7, s[4:5]
	s_and_saveexec_b64 s[4:5], vcc
	s_xor_b64 s[4:5], exec, s[4:5]
	s_cbranch_execz .LBB0_41
; %bb.36:                               ;   in Loop: Header=BB0_3 Depth=1
	v_mov_b32_e32 v20, 0
	v_mov_b32_e32 v21, 0
	v_cmp_ne_u32_e32 vcc, 0, v2
	s_and_saveexec_b64 s[12:13], vcc
	s_cbranch_execz .LBB0_40
; %bb.37:                               ;   in Loop: Header=BB0_3 Depth=1
	v_mov_b32_e32 v20, 0
	s_mov_b64 s[14:15], 0
	v_mov_b32_e32 v21, 0
	s_mov_b64 s[16:17], 0
	s_mov_b64 s[18:19], 0
.LBB0_38:                               ;   Parent Loop BB0_3 Depth=1
                                        ; =>  This Inner Loop Header: Depth=2
	v_mov_b32_e32 v0, s19
	v_add_co_u32_e32 v22, vcc, s18, v6
	v_addc_co_u32_e32 v23, vcc, v7, v0, vcc
	global_load_ubyte v0, v[22:23], off
	s_add_u32 s18, s18, 1
	v_mov_b32_e32 v23, s20
	s_addc_u32 s19, s19, 0
	v_cmp_eq_u32_e32 vcc, s18, v2
	s_waitcnt vmcnt(0)
	v_and_b32_e32 v22, 0xffff, v0
	v_lshlrev_b64 v[22:23], s16, v[22:23]
	s_add_u32 s16, s16, 8
	s_addc_u32 s17, s17, 0
	v_or_b32_e32 v21, v23, v21
	s_or_b64 s[14:15], vcc, s[14:15]
	v_or_b32_e32 v20, v22, v20
	s_andn2_b64 exec, exec, s[14:15]
	s_cbranch_execnz .LBB0_38
; %bb.39:                               ;   in Loop: Header=BB0_3 Depth=1
	s_or_b64 exec, exec, s[14:15]
.LBB0_40:                               ;   in Loop: Header=BB0_3 Depth=1
	s_or_b64 exec, exec, s[12:13]
	v_mov_b32_e32 v25, v7
	v_mov_b32_e32 v24, v6
                                        ; implicit-def: $vgpr2
.LBB0_41:                               ;   in Loop: Header=BB0_3 Depth=1
	s_or_saveexec_b64 s[4:5], s[4:5]
	v_mov_b32_e32 v0, 0
	s_xor_b64 exec, exec, s[4:5]
	s_cbranch_execz .LBB0_43
; %bb.42:                               ;   in Loop: Header=BB0_3 Depth=1
	global_load_dwordx2 v[20:21], v[6:7], off
	v_add_u32_e32 v0, -8, v2
.LBB0_43:                               ;   in Loop: Header=BB0_3 Depth=1
	s_or_b64 exec, exec, s[4:5]
	v_add_co_u32_e64 v6, s[4:5], 8, v24
	v_cmp_gt_u32_e32 vcc, 8, v0
	v_addc_co_u32_e64 v7, s[4:5], 0, v25, s[4:5]
                                        ; implicit-def: $vgpr22_vgpr23
	s_and_saveexec_b64 s[4:5], vcc
	s_xor_b64 s[4:5], exec, s[4:5]
	s_cbranch_execz .LBB0_49
; %bb.44:                               ;   in Loop: Header=BB0_3 Depth=1
	v_mov_b32_e32 v22, 0
	v_mov_b32_e32 v23, 0
	v_cmp_ne_u32_e32 vcc, 0, v0
	s_and_saveexec_b64 s[12:13], vcc
	s_cbranch_execz .LBB0_48
; %bb.45:                               ;   in Loop: Header=BB0_3 Depth=1
	v_mov_b32_e32 v22, 0
	s_mov_b64 s[14:15], 0
	v_mov_b32_e32 v23, 0
	s_mov_b64 s[16:17], 0
	s_mov_b64 s[18:19], 0
.LBB0_46:                               ;   Parent Loop BB0_3 Depth=1
                                        ; =>  This Inner Loop Header: Depth=2
	v_mov_b32_e32 v2, s19
	v_add_co_u32_e32 v6, vcc, s18, v24
	v_addc_co_u32_e32 v7, vcc, v25, v2, vcc
	global_load_ubyte v2, v[6:7], off
	s_add_u32 s18, s18, 1
	v_mov_b32_e32 v7, s20
	s_addc_u32 s19, s19, 0
	v_cmp_eq_u32_e32 vcc, s18, v0
	s_waitcnt vmcnt(0)
	v_and_b32_e32 v6, 0xffff, v2
	v_lshlrev_b64 v[6:7], s16, v[6:7]
	s_add_u32 s16, s16, 8
	s_addc_u32 s17, s17, 0
	v_or_b32_e32 v23, v7, v23
	s_or_b64 s[14:15], vcc, s[14:15]
	v_or_b32_e32 v22, v6, v22
	s_andn2_b64 exec, exec, s[14:15]
	s_cbranch_execnz .LBB0_46
; %bb.47:                               ;   in Loop: Header=BB0_3 Depth=1
	s_or_b64 exec, exec, s[14:15]
.LBB0_48:                               ;   in Loop: Header=BB0_3 Depth=1
	s_or_b64 exec, exec, s[12:13]
	v_mov_b32_e32 v6, v24
	v_mov_b32_e32 v7, v25
                                        ; implicit-def: $vgpr0
.LBB0_49:                               ;   in Loop: Header=BB0_3 Depth=1
	s_or_saveexec_b64 s[4:5], s[4:5]
	v_mov_b32_e32 v2, 0
	s_xor_b64 exec, exec, s[4:5]
	s_cbranch_execz .LBB0_51
; %bb.50:                               ;   in Loop: Header=BB0_3 Depth=1
	global_load_dwordx2 v[22:23], v[24:25], off
	v_add_u32_e32 v2, -8, v0
.LBB0_51:                               ;   in Loop: Header=BB0_3 Depth=1
	s_or_b64 exec, exec, s[4:5]
	v_cmp_gt_u32_e32 vcc, 8, v2
	s_and_saveexec_b64 s[4:5], vcc
	s_xor_b64 s[4:5], exec, s[4:5]
	s_cbranch_execz .LBB0_57
; %bb.52:                               ;   in Loop: Header=BB0_3 Depth=1
	v_mov_b32_e32 v24, 0
	v_mov_b32_e32 v25, 0
	v_cmp_ne_u32_e32 vcc, 0, v2
	s_and_saveexec_b64 s[12:13], vcc
	s_cbranch_execz .LBB0_56
; %bb.53:                               ;   in Loop: Header=BB0_3 Depth=1
	v_mov_b32_e32 v24, 0
	s_mov_b64 s[14:15], 0
	v_mov_b32_e32 v25, 0
	s_mov_b64 s[16:17], 0
.LBB0_54:                               ;   Parent Loop BB0_3 Depth=1
                                        ; =>  This Inner Loop Header: Depth=2
	global_load_ubyte v0, v[6:7], off
	v_mov_b32_e32 v27, s20
	v_add_co_u32_e32 v6, vcc, 1, v6
	v_add_u32_e32 v2, -1, v2
	v_addc_co_u32_e32 v7, vcc, 0, v7, vcc
	v_cmp_eq_u32_e32 vcc, 0, v2
	s_waitcnt vmcnt(0)
	v_and_b32_e32 v26, 0xffff, v0
	v_lshlrev_b64 v[26:27], s16, v[26:27]
	s_add_u32 s16, s16, 8
	s_addc_u32 s17, s17, 0
	v_or_b32_e32 v25, v27, v25
	s_or_b64 s[14:15], vcc, s[14:15]
	v_or_b32_e32 v24, v26, v24
	s_andn2_b64 exec, exec, s[14:15]
	s_cbranch_execnz .LBB0_54
; %bb.55:                               ;   in Loop: Header=BB0_3 Depth=1
	s_or_b64 exec, exec, s[14:15]
.LBB0_56:                               ;   in Loop: Header=BB0_3 Depth=1
	s_or_b64 exec, exec, s[12:13]
                                        ; implicit-def: $vgpr6_vgpr7
.LBB0_57:                               ;   in Loop: Header=BB0_3 Depth=1
	s_andn2_saveexec_b64 s[4:5], s[4:5]
	s_cbranch_execz .LBB0_59
; %bb.58:                               ;   in Loop: Header=BB0_3 Depth=1
	global_load_dwordx2 v[24:25], v[6:7], off
.LBB0_59:                               ;   in Loop: Header=BB0_3 Depth=1
	s_or_b64 exec, exec, s[4:5]
	v_readfirstlane_b32 s4, v39
	v_mov_b32_e32 v6, 0
	v_mov_b32_e32 v7, 0
	v_cmp_eq_u32_e64 s[4:5], s4, v39
	s_and_saveexec_b64 s[12:13], s[4:5]
	s_cbranch_execz .LBB0_65
; %bb.60:                               ;   in Loop: Header=BB0_3 Depth=1
	s_waitcnt lgkmcnt(0)
	global_load_dwordx2 v[28:29], v3, s[10:11] offset:24 glc
	s_waitcnt vmcnt(0)
	buffer_wbinvl1_vol
	global_load_dwordx2 v[6:7], v3, s[10:11] offset:40
	global_load_dwordx2 v[26:27], v3, s[10:11]
	s_waitcnt vmcnt(1)
	v_and_b32_e32 v0, v6, v28
	v_and_b32_e32 v2, v7, v29
	v_mul_lo_u32 v2, v2, 24
	v_mul_hi_u32 v6, v0, 24
	v_mul_lo_u32 v0, v0, 24
	v_add_u32_e32 v2, v6, v2
	s_waitcnt vmcnt(0)
	v_add_co_u32_e32 v6, vcc, v26, v0
	v_addc_co_u32_e32 v7, vcc, v27, v2, vcc
	global_load_dwordx2 v[26:27], v[6:7], off glc
	s_waitcnt vmcnt(0)
	global_atomic_cmpswap_x2 v[6:7], v3, v[26:29], s[10:11] offset:24 glc
	s_waitcnt vmcnt(0)
	buffer_wbinvl1_vol
	v_cmp_ne_u64_e32 vcc, v[6:7], v[28:29]
	s_and_saveexec_b64 s[14:15], vcc
	s_cbranch_execz .LBB0_64
; %bb.61:                               ;   in Loop: Header=BB0_3 Depth=1
	s_mov_b64 s[16:17], 0
.LBB0_62:                               ;   Parent Loop BB0_3 Depth=1
                                        ; =>  This Inner Loop Header: Depth=2
	s_sleep 1
	global_load_dwordx2 v[26:27], v3, s[10:11] offset:40
	global_load_dwordx2 v[34:35], v3, s[10:11]
	v_mov_b32_e32 v29, v7
	v_mov_b32_e32 v28, v6
	s_waitcnt vmcnt(1)
	v_and_b32_e32 v0, v26, v28
	s_waitcnt vmcnt(0)
	v_mad_u64_u32 v[6:7], s[18:19], v0, 24, v[34:35]
	v_and_b32_e32 v2, v27, v29
	v_mov_b32_e32 v0, v7
	v_mad_u64_u32 v[26:27], s[18:19], v2, 24, v[0:1]
	v_mov_b32_e32 v7, v26
	global_load_dwordx2 v[26:27], v[6:7], off glc
	s_waitcnt vmcnt(0)
	global_atomic_cmpswap_x2 v[6:7], v3, v[26:29], s[10:11] offset:24 glc
	s_waitcnt vmcnt(0)
	buffer_wbinvl1_vol
	v_cmp_eq_u64_e32 vcc, v[6:7], v[28:29]
	s_or_b64 s[16:17], vcc, s[16:17]
	s_andn2_b64 exec, exec, s[16:17]
	s_cbranch_execnz .LBB0_62
; %bb.63:                               ;   in Loop: Header=BB0_3 Depth=1
	s_or_b64 exec, exec, s[16:17]
.LBB0_64:                               ;   in Loop: Header=BB0_3 Depth=1
	s_or_b64 exec, exec, s[14:15]
.LBB0_65:                               ;   in Loop: Header=BB0_3 Depth=1
	s_or_b64 exec, exec, s[12:13]
	s_waitcnt lgkmcnt(0)
	global_load_dwordx2 v[34:35], v3, s[10:11] offset:40
	global_load_dwordx4 v[26:29], v3, s[10:11]
	v_readfirstlane_b32 s13, v7
	v_readfirstlane_b32 s12, v6
	s_mov_b64 s[14:15], exec
	s_waitcnt vmcnt(1)
	v_readfirstlane_b32 s16, v34
	v_readfirstlane_b32 s17, v35
	s_and_b64 s[16:17], s[16:17], s[12:13]
	s_mul_i32 s18, s17, 24
	s_mul_hi_u32 s19, s16, 24
	s_mul_i32 s22, s16, 24
	s_add_i32 s18, s19, s18
	v_mov_b32_e32 v0, s18
	s_waitcnt vmcnt(0)
	v_add_co_u32_e32 v34, vcc, s22, v26
	v_addc_co_u32_e32 v35, vcc, v27, v0, vcc
	s_and_saveexec_b64 s[18:19], s[4:5]
	s_cbranch_execz .LBB0_67
; %bb.66:                               ;   in Loop: Header=BB0_3 Depth=1
	v_mov_b32_e32 v6, s14
	v_mov_b32_e32 v7, s15
	global_store_dwordx4 v[34:35], v[6:9], off offset:8
.LBB0_67:                               ;   in Loop: Header=BB0_3 Depth=1
	s_or_b64 exec, exec, s[18:19]
	s_lshl_b64 s[14:15], s[16:17], 12
	v_mov_b32_e32 v2, s15
	v_add_co_u32_e32 v0, vcc, s14, v28
	v_addc_co_u32_e32 v28, vcc, v29, v2, vcc
	v_cmp_gt_u64_e32 vcc, 57, v[4:5]
	v_and_b32_e32 v7, 0xffffff1f, v10
	v_cndmask_b32_e32 v2, 0, v38, vcc
	v_lshl_add_u32 v6, v32, 2, 28
	v_or_b32_e32 v2, v7, v2
	v_and_or_b32 v10, v6, s21, v2
	v_lshlrev_b32_e32 v29, 6, v39
	v_readfirstlane_b32 s14, v0
	v_readfirstlane_b32 s15, v28
	s_nop 4
	global_store_dwordx4 v29, v[10:13], s[14:15]
	global_store_dwordx4 v29, v[14:17], s[14:15] offset:16
	global_store_dwordx4 v29, v[18:21], s[14:15] offset:32
	;; [unrolled: 1-line block ×3, first 2 shown]
	s_and_saveexec_b64 s[14:15], s[4:5]
	s_cbranch_execz .LBB0_75
; %bb.68:                               ;   in Loop: Header=BB0_3 Depth=1
	global_load_dwordx2 v[14:15], v3, s[10:11] offset:32 glc
	global_load_dwordx2 v[6:7], v3, s[10:11] offset:40
	v_mov_b32_e32 v12, s12
	v_mov_b32_e32 v13, s13
	s_waitcnt vmcnt(0)
	v_readfirstlane_b32 s16, v6
	v_readfirstlane_b32 s17, v7
	s_and_b64 s[16:17], s[16:17], s[12:13]
	s_mul_i32 s17, s17, 24
	s_mul_hi_u32 s18, s16, 24
	s_mul_i32 s16, s16, 24
	s_add_i32 s17, s18, s17
	v_mov_b32_e32 v2, s17
	v_add_co_u32_e32 v6, vcc, s16, v26
	v_addc_co_u32_e32 v7, vcc, v27, v2, vcc
	global_store_dwordx2 v[6:7], v[14:15], off
	s_waitcnt vmcnt(0)
	global_atomic_cmpswap_x2 v[12:13], v3, v[12:15], s[10:11] offset:32 glc
	s_waitcnt vmcnt(0)
	v_cmp_ne_u64_e32 vcc, v[12:13], v[14:15]
	s_and_saveexec_b64 s[16:17], vcc
	s_cbranch_execz .LBB0_71
; %bb.69:                               ;   in Loop: Header=BB0_3 Depth=1
	s_mov_b64 s[18:19], 0
.LBB0_70:                               ;   Parent Loop BB0_3 Depth=1
                                        ; =>  This Inner Loop Header: Depth=2
	s_sleep 1
	global_store_dwordx2 v[6:7], v[12:13], off
	v_mov_b32_e32 v10, s12
	v_mov_b32_e32 v11, s13
	s_waitcnt vmcnt(0)
	global_atomic_cmpswap_x2 v[10:11], v3, v[10:13], s[10:11] offset:32 glc
	s_waitcnt vmcnt(0)
	v_cmp_eq_u64_e32 vcc, v[10:11], v[12:13]
	v_mov_b32_e32 v13, v11
	s_or_b64 s[18:19], vcc, s[18:19]
	v_mov_b32_e32 v12, v10
	s_andn2_b64 exec, exec, s[18:19]
	s_cbranch_execnz .LBB0_70
.LBB0_71:                               ;   in Loop: Header=BB0_3 Depth=1
	s_or_b64 exec, exec, s[16:17]
	global_load_dwordx2 v[6:7], v3, s[10:11] offset:16
	s_mov_b64 s[18:19], exec
	v_mbcnt_lo_u32_b32 v2, s18, 0
	v_mbcnt_hi_u32_b32 v2, s19, v2
	v_cmp_eq_u32_e32 vcc, 0, v2
	s_and_saveexec_b64 s[16:17], vcc
	s_cbranch_execz .LBB0_73
; %bb.72:                               ;   in Loop: Header=BB0_3 Depth=1
	s_bcnt1_i32_b64 s18, s[18:19]
	v_mov_b32_e32 v2, s18
	s_waitcnt vmcnt(0)
	global_atomic_add_x2 v[6:7], v[2:3], off offset:8
.LBB0_73:                               ;   in Loop: Header=BB0_3 Depth=1
	s_or_b64 exec, exec, s[16:17]
	s_waitcnt vmcnt(0)
	global_load_dwordx2 v[10:11], v[6:7], off offset:16
	s_waitcnt vmcnt(0)
	v_cmp_eq_u64_e32 vcc, 0, v[10:11]
	s_cbranch_vccnz .LBB0_75
; %bb.74:                               ;   in Loop: Header=BB0_3 Depth=1
	global_load_dword v2, v[6:7], off offset:24
	s_waitcnt vmcnt(0)
	v_readfirstlane_b32 s16, v2
	s_and_b32 m0, s16, 0xffffff
	global_store_dwordx2 v[10:11], v[2:3], off
	s_sendmsg sendmsg(MSG_INTERRUPT)
.LBB0_75:                               ;   in Loop: Header=BB0_3 Depth=1
	s_or_b64 exec, exec, s[14:15]
	v_add_co_u32_e32 v6, vcc, v0, v29
	v_addc_co_u32_e32 v7, vcc, 0, v28, vcc
	s_branch .LBB0_79
.LBB0_76:                               ;   in Loop: Header=BB0_79 Depth=2
	s_or_b64 exec, exec, s[14:15]
	v_readfirstlane_b32 s14, v0
	s_cmp_eq_u32 s14, 0
	s_cbranch_scc1 .LBB0_78
; %bb.77:                               ;   in Loop: Header=BB0_79 Depth=2
	s_sleep 1
	s_cbranch_execnz .LBB0_79
	s_branch .LBB0_81
.LBB0_78:                               ;   in Loop: Header=BB0_3 Depth=1
	s_branch .LBB0_81
.LBB0_79:                               ;   Parent Loop BB0_3 Depth=1
                                        ; =>  This Inner Loop Header: Depth=2
	v_mov_b32_e32 v0, 1
	s_and_saveexec_b64 s[14:15], s[4:5]
	s_cbranch_execz .LBB0_76
; %bb.80:                               ;   in Loop: Header=BB0_79 Depth=2
	global_load_dword v0, v[34:35], off offset:20 glc
	s_waitcnt vmcnt(0)
	buffer_wbinvl1_vol
	v_and_b32_e32 v0, 1, v0
	s_branch .LBB0_76
.LBB0_81:                               ;   in Loop: Header=BB0_3 Depth=1
	global_load_dwordx4 v[10:13], v[6:7], off
	s_and_saveexec_b64 s[14:15], s[4:5]
	s_cbranch_execz .LBB0_2
; %bb.82:                               ;   in Loop: Header=BB0_3 Depth=1
	global_load_dwordx2 v[6:7], v3, s[10:11] offset:40
	global_load_dwordx2 v[16:17], v3, s[10:11] offset:24 glc
	global_load_dwordx2 v[12:13], v3, s[10:11]
	s_waitcnt vmcnt(2)
	v_readfirstlane_b32 s16, v6
	v_readfirstlane_b32 s17, v7
	s_add_u32 s18, s16, 1
	s_addc_u32 s19, s17, 0
	s_add_u32 s4, s18, s12
	s_addc_u32 s5, s19, s13
	s_cmp_eq_u64 s[4:5], 0
	s_cselect_b32 s5, s19, s5
	s_cselect_b32 s4, s18, s4
	s_and_b64 s[12:13], s[4:5], s[16:17]
	s_mul_i32 s13, s13, 24
	s_mul_hi_u32 s16, s12, 24
	s_mul_i32 s12, s12, 24
	s_add_i32 s13, s16, s13
	v_mov_b32_e32 v0, s13
	s_waitcnt vmcnt(0)
	v_add_co_u32_e32 v6, vcc, s12, v12
	v_addc_co_u32_e32 v7, vcc, v13, v0, vcc
	v_mov_b32_e32 v14, s4
	global_store_dwordx2 v[6:7], v[16:17], off
	v_mov_b32_e32 v15, s5
	s_waitcnt vmcnt(0)
	global_atomic_cmpswap_x2 v[14:15], v3, v[14:17], s[10:11] offset:24 glc
	s_waitcnt vmcnt(0)
	v_cmp_ne_u64_e32 vcc, v[14:15], v[16:17]
	s_and_b64 exec, exec, vcc
	s_cbranch_execz .LBB0_2
; %bb.83:                               ;   in Loop: Header=BB0_3 Depth=1
	s_mov_b64 s[12:13], 0
.LBB0_84:                               ;   Parent Loop BB0_3 Depth=1
                                        ; =>  This Inner Loop Header: Depth=2
	s_sleep 1
	global_store_dwordx2 v[6:7], v[14:15], off
	v_mov_b32_e32 v12, s4
	v_mov_b32_e32 v13, s5
	s_waitcnt vmcnt(0)
	global_atomic_cmpswap_x2 v[12:13], v3, v[12:15], s[10:11] offset:24 glc
	s_waitcnt vmcnt(0)
	v_cmp_eq_u64_e32 vcc, v[12:13], v[14:15]
	v_mov_b32_e32 v15, v13
	s_or_b64 s[12:13], vcc, s[12:13]
	v_mov_b32_e32 v14, v12
	s_andn2_b64 exec, exec, s[12:13]
	s_cbranch_execnz .LBB0_84
	s_branch .LBB0_2
.LBB0_85:
	s_or_b64 exec, exec, s[6:7]
	s_branch .LBB0_113
.LBB0_86:
	s_load_dwordx2 s[6:7], s[8:9], 0x50
	v_mbcnt_hi_u32_b32 v3, -1, v37
	v_readfirstlane_b32 s4, v3
	v_mov_b32_e32 v8, 0
	v_mov_b32_e32 v9, 0
	v_cmp_eq_u32_e64 s[4:5], s4, v3
	s_and_saveexec_b64 s[8:9], s[4:5]
	s_cbranch_execz .LBB0_92
; %bb.87:
	v_mov_b32_e32 v0, 0
	s_waitcnt lgkmcnt(0)
	global_load_dwordx2 v[6:7], v0, s[6:7] offset:24 glc
	s_waitcnt vmcnt(0)
	buffer_wbinvl1_vol
	global_load_dwordx2 v[4:5], v0, s[6:7] offset:40
	global_load_dwordx2 v[8:9], v0, s[6:7]
	s_waitcnt vmcnt(1)
	v_and_b32_e32 v2, v4, v6
	v_and_b32_e32 v4, v5, v7
	v_mul_lo_u32 v4, v4, 24
	v_mul_hi_u32 v5, v2, 24
	v_mul_lo_u32 v2, v2, 24
	v_add_u32_e32 v5, v5, v4
	s_waitcnt vmcnt(0)
	v_add_co_u32_e32 v4, vcc, v8, v2
	v_addc_co_u32_e32 v5, vcc, v9, v5, vcc
	global_load_dwordx2 v[4:5], v[4:5], off glc
	s_waitcnt vmcnt(0)
	global_atomic_cmpswap_x2 v[8:9], v0, v[4:7], s[6:7] offset:24 glc
	s_waitcnt vmcnt(0)
	buffer_wbinvl1_vol
	v_cmp_ne_u64_e32 vcc, v[8:9], v[6:7]
	s_and_saveexec_b64 s[10:11], vcc
	s_cbranch_execz .LBB0_91
; %bb.88:
	s_mov_b64 s[12:13], 0
.LBB0_89:                               ; =>This Inner Loop Header: Depth=1
	s_sleep 1
	global_load_dwordx2 v[4:5], v0, s[6:7] offset:40
	global_load_dwordx2 v[10:11], v0, s[6:7]
	v_mov_b32_e32 v6, v8
	v_mov_b32_e32 v7, v9
	s_waitcnt vmcnt(1)
	v_and_b32_e32 v2, v4, v6
	s_waitcnt vmcnt(0)
	v_mad_u64_u32 v[8:9], s[14:15], v2, 24, v[10:11]
	v_and_b32_e32 v4, v5, v7
	v_mov_b32_e32 v2, v9
	v_mad_u64_u32 v[4:5], s[14:15], v4, 24, v[2:3]
	v_mov_b32_e32 v9, v4
	global_load_dwordx2 v[4:5], v[8:9], off glc
	s_waitcnt vmcnt(0)
	global_atomic_cmpswap_x2 v[8:9], v0, v[4:7], s[6:7] offset:24 glc
	s_waitcnt vmcnt(0)
	buffer_wbinvl1_vol
	v_cmp_eq_u64_e32 vcc, v[8:9], v[6:7]
	s_or_b64 s[12:13], vcc, s[12:13]
	s_andn2_b64 exec, exec, s[12:13]
	s_cbranch_execnz .LBB0_89
; %bb.90:
	s_or_b64 exec, exec, s[12:13]
.LBB0_91:
	s_or_b64 exec, exec, s[10:11]
.LBB0_92:
	s_or_b64 exec, exec, s[8:9]
	v_mov_b32_e32 v2, 0
	s_waitcnt lgkmcnt(0)
	global_load_dwordx2 v[10:11], v2, s[6:7] offset:40
	global_load_dwordx4 v[4:7], v2, s[6:7]
	v_readfirstlane_b32 s9, v9
	v_readfirstlane_b32 s8, v8
	s_mov_b64 s[10:11], exec
	s_waitcnt vmcnt(1)
	v_readfirstlane_b32 s12, v10
	v_readfirstlane_b32 s13, v11
	s_and_b64 s[12:13], s[12:13], s[8:9]
	s_mul_i32 s14, s13, 24
	s_mul_hi_u32 s15, s12, 24
	s_mul_i32 s16, s12, 24
	s_add_i32 s14, s15, s14
	v_mov_b32_e32 v0, s14
	s_waitcnt vmcnt(0)
	v_add_co_u32_e32 v8, vcc, s16, v4
	v_addc_co_u32_e32 v9, vcc, v5, v0, vcc
	s_and_saveexec_b64 s[14:15], s[4:5]
	s_cbranch_execz .LBB0_94
; %bb.93:
	v_mov_b32_e32 v10, s10
	v_mov_b32_e32 v11, s11
	;; [unrolled: 1-line block ×4, first 2 shown]
	global_store_dwordx4 v[8:9], v[10:13], off offset:8
.LBB0_94:
	s_or_b64 exec, exec, s[14:15]
	s_lshl_b64 s[10:11], s[12:13], 12
	v_mov_b32_e32 v0, s11
	v_add_co_u32_e32 v6, vcc, s10, v6
	v_addc_co_u32_e32 v7, vcc, v7, v0, vcc
	s_movk_i32 s10, 0xff1f
	v_and_or_b32 v0, v36, s10, 32
	v_lshlrev_b32_e32 v10, 6, v3
	s_mov_b32 s12, 0
	v_mov_b32_e32 v3, v2
	v_readfirstlane_b32 s10, v6
	v_readfirstlane_b32 s11, v7
	s_mov_b32 s13, s12
	s_mov_b32 s14, s12
	;; [unrolled: 1-line block ×3, first 2 shown]
	s_nop 1
	global_store_dwordx4 v10, v[0:3], s[10:11]
	s_nop 0
	v_mov_b32_e32 v0, s12
	v_mov_b32_e32 v1, s13
	;; [unrolled: 1-line block ×4, first 2 shown]
	global_store_dwordx4 v10, v[0:3], s[10:11] offset:16
	global_store_dwordx4 v10, v[0:3], s[10:11] offset:32
	;; [unrolled: 1-line block ×3, first 2 shown]
	s_and_saveexec_b64 s[10:11], s[4:5]
	s_cbranch_execz .LBB0_102
; %bb.95:
	v_mov_b32_e32 v6, 0
	global_load_dwordx2 v[12:13], v6, s[6:7] offset:32 glc
	global_load_dwordx2 v[0:1], v6, s[6:7] offset:40
	v_mov_b32_e32 v10, s8
	v_mov_b32_e32 v11, s9
	s_waitcnt vmcnt(0)
	v_and_b32_e32 v0, s8, v0
	v_and_b32_e32 v1, s9, v1
	v_mul_lo_u32 v1, v1, 24
	v_mul_hi_u32 v2, v0, 24
	v_mul_lo_u32 v0, v0, 24
	v_add_u32_e32 v1, v2, v1
	v_add_co_u32_e32 v4, vcc, v4, v0
	v_addc_co_u32_e32 v5, vcc, v5, v1, vcc
	global_store_dwordx2 v[4:5], v[12:13], off
	s_waitcnt vmcnt(0)
	global_atomic_cmpswap_x2 v[2:3], v6, v[10:13], s[6:7] offset:32 glc
	s_waitcnt vmcnt(0)
	v_cmp_ne_u64_e32 vcc, v[2:3], v[12:13]
	s_and_saveexec_b64 s[12:13], vcc
	s_cbranch_execz .LBB0_98
; %bb.96:
	s_mov_b64 s[14:15], 0
.LBB0_97:                               ; =>This Inner Loop Header: Depth=1
	s_sleep 1
	global_store_dwordx2 v[4:5], v[2:3], off
	v_mov_b32_e32 v0, s8
	v_mov_b32_e32 v1, s9
	s_waitcnt vmcnt(0)
	global_atomic_cmpswap_x2 v[0:1], v6, v[0:3], s[6:7] offset:32 glc
	s_waitcnt vmcnt(0)
	v_cmp_eq_u64_e32 vcc, v[0:1], v[2:3]
	v_mov_b32_e32 v3, v1
	s_or_b64 s[14:15], vcc, s[14:15]
	v_mov_b32_e32 v2, v0
	s_andn2_b64 exec, exec, s[14:15]
	s_cbranch_execnz .LBB0_97
.LBB0_98:
	s_or_b64 exec, exec, s[12:13]
	v_mov_b32_e32 v3, 0
	global_load_dwordx2 v[0:1], v3, s[6:7] offset:16
	s_mov_b64 s[12:13], exec
	v_mbcnt_lo_u32_b32 v2, s12, 0
	v_mbcnt_hi_u32_b32 v2, s13, v2
	v_cmp_eq_u32_e32 vcc, 0, v2
	s_and_saveexec_b64 s[14:15], vcc
	s_cbranch_execz .LBB0_100
; %bb.99:
	s_bcnt1_i32_b64 s12, s[12:13]
	v_mov_b32_e32 v2, s12
	s_waitcnt vmcnt(0)
	global_atomic_add_x2 v[0:1], v[2:3], off offset:8
.LBB0_100:
	s_or_b64 exec, exec, s[14:15]
	s_waitcnt vmcnt(0)
	global_load_dwordx2 v[2:3], v[0:1], off offset:16
	s_waitcnt vmcnt(0)
	v_cmp_eq_u64_e32 vcc, 0, v[2:3]
	s_cbranch_vccnz .LBB0_102
; %bb.101:
	global_load_dword v0, v[0:1], off offset:24
	v_mov_b32_e32 v1, 0
	s_waitcnt vmcnt(0)
	v_readfirstlane_b32 s12, v0
	s_and_b32 m0, s12, 0xffffff
	global_store_dwordx2 v[2:3], v[0:1], off
	s_sendmsg sendmsg(MSG_INTERRUPT)
.LBB0_102:
	s_or_b64 exec, exec, s[10:11]
	s_branch .LBB0_106
.LBB0_103:                              ;   in Loop: Header=BB0_106 Depth=1
	s_or_b64 exec, exec, s[10:11]
	v_readfirstlane_b32 s10, v0
	s_cmp_eq_u32 s10, 0
	s_cbranch_scc1 .LBB0_105
; %bb.104:                              ;   in Loop: Header=BB0_106 Depth=1
	s_sleep 1
	s_cbranch_execnz .LBB0_106
	s_branch .LBB0_108
.LBB0_105:
	s_branch .LBB0_108
.LBB0_106:                              ; =>This Inner Loop Header: Depth=1
	v_mov_b32_e32 v0, 1
	s_and_saveexec_b64 s[10:11], s[4:5]
	s_cbranch_execz .LBB0_103
; %bb.107:                              ;   in Loop: Header=BB0_106 Depth=1
	global_load_dword v0, v[8:9], off offset:20 glc
	s_waitcnt vmcnt(0)
	buffer_wbinvl1_vol
	v_and_b32_e32 v0, 1, v0
	s_branch .LBB0_103
.LBB0_108:
	s_and_saveexec_b64 s[10:11], s[4:5]
	s_cbranch_execz .LBB0_111
; %bb.109:
	v_mov_b32_e32 v6, 0
	global_load_dwordx2 v[0:1], v6, s[6:7] offset:40
	global_load_dwordx2 v[9:10], v6, s[6:7] offset:24 glc
	global_load_dwordx2 v[2:3], v6, s[6:7]
	s_waitcnt vmcnt(2)
	v_readfirstlane_b32 s12, v0
	v_readfirstlane_b32 s13, v1
	s_add_u32 s14, s12, 1
	s_addc_u32 s15, s13, 0
	s_add_u32 s4, s14, s8
	s_addc_u32 s5, s15, s9
	s_cmp_eq_u64 s[4:5], 0
	s_cselect_b32 s5, s15, s5
	s_cselect_b32 s4, s14, s4
	s_and_b64 s[8:9], s[4:5], s[12:13]
	s_mul_i32 s9, s9, 24
	s_mul_hi_u32 s12, s8, 24
	s_mul_i32 s8, s8, 24
	s_add_i32 s9, s12, s9
	v_mov_b32_e32 v0, s9
	s_waitcnt vmcnt(0)
	v_add_co_u32_e32 v4, vcc, s8, v2
	v_addc_co_u32_e32 v5, vcc, v3, v0, vcc
	v_mov_b32_e32 v7, s4
	global_store_dwordx2 v[4:5], v[9:10], off
	v_mov_b32_e32 v8, s5
	s_waitcnt vmcnt(0)
	global_atomic_cmpswap_x2 v[2:3], v6, v[7:10], s[6:7] offset:24 glc
	s_mov_b64 s[8:9], 0
	s_waitcnt vmcnt(0)
	v_cmp_ne_u64_e32 vcc, v[2:3], v[9:10]
	s_and_b64 exec, exec, vcc
	s_cbranch_execz .LBB0_111
.LBB0_110:                              ; =>This Inner Loop Header: Depth=1
	s_sleep 1
	global_store_dwordx2 v[4:5], v[2:3], off
	v_mov_b32_e32 v0, s4
	v_mov_b32_e32 v1, s5
	s_waitcnt vmcnt(0)
	global_atomic_cmpswap_x2 v[0:1], v6, v[0:3], s[6:7] offset:24 glc
	s_waitcnt vmcnt(0)
	v_cmp_eq_u64_e32 vcc, v[0:1], v[2:3]
	v_mov_b32_e32 v3, v1
	s_or_b64 s[8:9], vcc, s[8:9]
	v_mov_b32_e32 v2, v0
	s_andn2_b64 exec, exec, s[8:9]
	s_cbranch_execnz .LBB0_110
.LBB0_111:
	s_or_b64 exec, exec, s[10:11]
	s_waitcnt vmcnt(0) lgkmcnt(0)
	s_setpc_b64 s[30:31]
.LBB0_112:
	s_cbranch_execnz .LBB0_86
.LBB0_113:
	s_waitcnt vmcnt(0) lgkmcnt(0)
	s_setpc_b64 s[30:31]
.Lfunc_end0:
	.size	__ockl_fprintf_append_string_n, .Lfunc_end0-__ockl_fprintf_append_string_n
                                        ; -- End function
	.set .L__ockl_fprintf_append_string_n.num_vgpr, 40
	.set .L__ockl_fprintf_append_string_n.num_agpr, 0
	.set .L__ockl_fprintf_append_string_n.numbered_sgpr, 32
	.set .L__ockl_fprintf_append_string_n.num_named_barrier, 0
	.set .L__ockl_fprintf_append_string_n.private_seg_size, 0
	.set .L__ockl_fprintf_append_string_n.uses_vcc, 1
	.set .L__ockl_fprintf_append_string_n.uses_flat_scratch, 0
	.set .L__ockl_fprintf_append_string_n.has_dyn_sized_stack, 0
	.set .L__ockl_fprintf_append_string_n.has_recursion, 0
	.set .L__ockl_fprintf_append_string_n.has_indirect_call, 0
	.section	.AMDGPU.csdata,"",@progbits
; Function info:
; codeLenInByte = 3900
; TotalNumSgprs: 36
; NumVgprs: 40
; ScratchSize: 0
; MemoryBound: 0
	.text
	.p2align	2                               ; -- Begin function __assert_fail
	.type	__assert_fail,@function
__assert_fail:                          ; @__assert_fail
; %bb.0:
	s_waitcnt vmcnt(0) expcnt(0) lgkmcnt(0)
	s_mov_b32 s25, s33
	s_mov_b32 s33, s32
	s_or_saveexec_b64 s[4:5], -1
	buffer_store_dword v40, off, s[0:3], s33 offset:48 ; 4-byte Folded Spill
	s_mov_b64 exec, s[4:5]
	v_writelane_b32 v40, s30, 0
	s_addk_i32 s32, 0x1000
	v_writelane_b32 v40, s31, 1
	v_mov_b32_e32 v8, 0
	s_getpc_b64 s[4:5]
	s_add_u32 s4, s4, __const.__assert_fail.fmt@rel32@lo+35
	s_addc_u32 s5, s5, __const.__assert_fail.fmt@rel32@hi+43
	v_mov_b32_e32 v5, v1
	v_mov_b32_e32 v4, v0
	global_load_dwordx4 v[0:3], v8, s[4:5]
	s_getpc_b64 s[16:17]
	s_add_u32 s16, s16, __const.__assert_fail.fmt@rel32@lo+4
	s_addc_u32 s17, s17, __const.__assert_fail.fmt@rel32@hi+12
	s_getpc_b64 s[18:19]
	s_add_u32 s18, s18, __const.__assert_fail.fmt@rel32@lo+20
	s_addc_u32 s19, s19, __const.__assert_fail.fmt@rel32@hi+28
	v_mbcnt_lo_u32_b32 v9, -1, 0
	s_load_dwordx4 s[4:7], s[16:17], 0x0
	s_load_dwordx4 s[12:15], s[18:19], 0x0
	s_load_dwordx2 s[10:11], s[8:9], 0x50
	v_mbcnt_hi_u32_b32 v34, -1, v9
	v_mov_b32_e32 v6, 0
	v_readfirstlane_b32 s16, v34
	v_mov_b32_e32 v7, 0
	s_waitcnt lgkmcnt(0)
	v_mov_b32_e32 v9, s7
	v_mov_b32_e32 v11, s5
	;; [unrolled: 1-line block ×3, first 2 shown]
	v_cmp_eq_u32_e64 s[4:5], s16, v34
	v_mov_b32_e32 v10, s6
	v_mov_b32_e32 v13, s15
	;; [unrolled: 1-line block ×5, first 2 shown]
	buffer_store_dword v9, off, s[0:3], s33 offset:12
	buffer_store_dword v10, off, s[0:3], s33 offset:8
	buffer_store_dword v11, off, s[0:3], s33 offset:4
	buffer_store_dword v12, off, s[0:3], s33
	buffer_store_dword v13, off, s[0:3], s33 offset:28
	buffer_store_dword v14, off, s[0:3], s33 offset:24
	;; [unrolled: 1-line block ×4, first 2 shown]
	s_waitcnt vmcnt(8)
	buffer_store_dword v3, off, s[0:3], s33 offset:43
	buffer_store_dword v2, off, s[0:3], s33 offset:39
	;; [unrolled: 1-line block ×4, first 2 shown]
	s_and_saveexec_b64 s[6:7], s[4:5]
	s_cbranch_execz .LBB1_6
; %bb.1:
	global_load_dwordx2 v[2:3], v8, s[10:11] offset:24 glc
	s_waitcnt vmcnt(0)
	buffer_wbinvl1_vol
	global_load_dwordx2 v[0:1], v8, s[10:11] offset:40
	global_load_dwordx2 v[6:7], v8, s[10:11]
	s_waitcnt vmcnt(1)
	v_and_b32_e32 v0, v0, v2
	v_and_b32_e32 v1, v1, v3
	v_mul_lo_u32 v1, v1, 24
	v_mul_hi_u32 v9, v0, 24
	v_mul_lo_u32 v0, v0, 24
	v_add_u32_e32 v1, v9, v1
	s_waitcnt vmcnt(0)
	v_add_co_u32_e32 v0, vcc, v6, v0
	v_addc_co_u32_e32 v1, vcc, v7, v1, vcc
	global_load_dwordx2 v[0:1], v[0:1], off glc
	s_waitcnt vmcnt(0)
	global_atomic_cmpswap_x2 v[6:7], v8, v[0:3], s[10:11] offset:24 glc
	s_waitcnt vmcnt(0)
	buffer_wbinvl1_vol
	v_cmp_ne_u64_e32 vcc, v[6:7], v[2:3]
	s_and_saveexec_b64 s[12:13], vcc
	s_cbranch_execz .LBB1_5
; %bb.2:
	s_mov_b64 s[14:15], 0
	v_mov_b32_e32 v0, 0
.LBB1_3:                                ; =>This Inner Loop Header: Depth=1
	s_sleep 1
	global_load_dwordx2 v[1:2], v0, s[10:11] offset:40
	global_load_dwordx2 v[9:10], v0, s[10:11]
	v_mov_b32_e32 v12, v7
	v_mov_b32_e32 v11, v6
	s_waitcnt vmcnt(1)
	v_and_b32_e32 v1, v1, v11
	s_waitcnt vmcnt(0)
	v_mad_u64_u32 v[6:7], s[16:17], v1, 24, v[9:10]
	v_and_b32_e32 v2, v2, v12
	v_mov_b32_e32 v1, v7
	v_mad_u64_u32 v[1:2], s[16:17], v2, 24, v[1:2]
	v_mov_b32_e32 v7, v1
	global_load_dwordx2 v[9:10], v[6:7], off glc
	s_waitcnt vmcnt(0)
	global_atomic_cmpswap_x2 v[6:7], v0, v[9:12], s[10:11] offset:24 glc
	s_waitcnt vmcnt(0)
	buffer_wbinvl1_vol
	v_cmp_eq_u64_e32 vcc, v[6:7], v[11:12]
	s_or_b64 s[14:15], vcc, s[14:15]
	s_andn2_b64 exec, exec, s[14:15]
	s_cbranch_execnz .LBB1_3
; %bb.4:
	s_or_b64 exec, exec, s[14:15]
.LBB1_5:
	s_or_b64 exec, exec, s[12:13]
.LBB1_6:
	s_or_b64 exec, exec, s[6:7]
	global_load_dwordx2 v[9:10], v8, s[10:11] offset:40
	global_load_dwordx4 v[0:3], v8, s[10:11]
	v_readfirstlane_b32 s7, v7
	v_readfirstlane_b32 s6, v6
	s_mov_b64 s[12:13], exec
	s_waitcnt vmcnt(1)
	v_readfirstlane_b32 s14, v9
	v_readfirstlane_b32 s15, v10
	s_and_b64 s[14:15], s[14:15], s[6:7]
	s_mul_i32 s16, s15, 24
	s_mul_hi_u32 s17, s14, 24
	s_mul_i32 s18, s14, 24
	s_add_i32 s16, s17, s16
	v_mov_b32_e32 v6, s16
	s_waitcnt vmcnt(0)
	v_add_co_u32_e32 v10, vcc, s18, v0
	v_addc_co_u32_e32 v11, vcc, v1, v6, vcc
	s_and_saveexec_b64 s[16:17], s[4:5]
	s_cbranch_execz .LBB1_8
; %bb.7:
	v_mov_b32_e32 v6, s12
	v_mov_b32_e32 v7, s13
	;; [unrolled: 1-line block ×4, first 2 shown]
	global_store_dwordx4 v[10:11], v[6:9], off offset:8
.LBB1_8:
	s_or_b64 exec, exec, s[16:17]
	s_lshl_b64 s[12:13], s[14:15], 12
	v_mov_b32_e32 v6, s13
	v_add_co_u32_e32 v2, vcc, s12, v2
	s_mov_b32 s12, 0
	v_addc_co_u32_e32 v3, vcc, v3, v6, vcc
	v_lshlrev_b32_e32 v35, 6, v34
	s_mov_b32 s15, s12
	v_mov_b32_e32 v7, 0
	v_add_co_u32_e32 v12, vcc, v2, v35
	s_mov_b32 s13, s12
	s_mov_b32 s14, s12
	v_mov_b32_e32 v17, s15
	v_addc_co_u32_e32 v13, vcc, 0, v3, vcc
	v_mov_b32_e32 v6, 33
	v_mov_b32_e32 v8, 1
	;; [unrolled: 1-line block ×3, first 2 shown]
	v_readfirstlane_b32 s16, v2
	v_readfirstlane_b32 s17, v3
	v_mov_b32_e32 v16, s14
	v_mov_b32_e32 v15, s13
	;; [unrolled: 1-line block ×3, first 2 shown]
	s_nop 1
	global_store_dwordx4 v35, v[6:9], s[16:17]
	global_store_dwordx4 v35, v[14:17], s[16:17] offset:16
	global_store_dwordx4 v35, v[14:17], s[16:17] offset:32
	;; [unrolled: 1-line block ×3, first 2 shown]
	s_and_saveexec_b64 s[12:13], s[4:5]
	s_cbranch_execz .LBB1_16
; %bb.9:
	global_load_dwordx2 v[16:17], v7, s[10:11] offset:32 glc
	global_load_dwordx2 v[2:3], v7, s[10:11] offset:40
	v_mov_b32_e32 v14, s6
	v_mov_b32_e32 v15, s7
	s_waitcnt vmcnt(0)
	v_and_b32_e32 v2, s6, v2
	v_and_b32_e32 v3, s7, v3
	v_mul_lo_u32 v3, v3, 24
	v_mul_hi_u32 v6, v2, 24
	v_mul_lo_u32 v2, v2, 24
	v_add_u32_e32 v3, v6, v3
	v_add_co_u32_e32 v8, vcc, v0, v2
	v_addc_co_u32_e32 v9, vcc, v1, v3, vcc
	global_store_dwordx2 v[8:9], v[16:17], off
	s_waitcnt vmcnt(0)
	global_atomic_cmpswap_x2 v[2:3], v7, v[14:17], s[10:11] offset:32 glc
	s_waitcnt vmcnt(0)
	v_cmp_ne_u64_e32 vcc, v[2:3], v[16:17]
	s_and_saveexec_b64 s[14:15], vcc
	s_cbranch_execz .LBB1_12
; %bb.10:
	s_mov_b64 s[16:17], 0
	v_mov_b32_e32 v6, 0
.LBB1_11:                               ; =>This Inner Loop Header: Depth=1
	s_sleep 1
	global_store_dwordx2 v[8:9], v[2:3], off
	v_mov_b32_e32 v0, s6
	v_mov_b32_e32 v1, s7
	s_waitcnt vmcnt(0)
	global_atomic_cmpswap_x2 v[0:1], v6, v[0:3], s[10:11] offset:32 glc
	s_waitcnt vmcnt(0)
	v_cmp_eq_u64_e32 vcc, v[0:1], v[2:3]
	v_mov_b32_e32 v3, v1
	s_or_b64 s[16:17], vcc, s[16:17]
	v_mov_b32_e32 v2, v0
	s_andn2_b64 exec, exec, s[16:17]
	s_cbranch_execnz .LBB1_11
.LBB1_12:
	s_or_b64 exec, exec, s[14:15]
	v_mov_b32_e32 v3, 0
	global_load_dwordx2 v[0:1], v3, s[10:11] offset:16
	s_mov_b64 s[14:15], exec
	v_mbcnt_lo_u32_b32 v2, s14, 0
	v_mbcnt_hi_u32_b32 v2, s15, v2
	v_cmp_eq_u32_e32 vcc, 0, v2
	s_and_saveexec_b64 s[16:17], vcc
	s_cbranch_execz .LBB1_14
; %bb.13:
	s_bcnt1_i32_b64 s14, s[14:15]
	v_mov_b32_e32 v2, s14
	s_waitcnt vmcnt(0)
	global_atomic_add_x2 v[0:1], v[2:3], off offset:8
.LBB1_14:
	s_or_b64 exec, exec, s[16:17]
	s_waitcnt vmcnt(0)
	global_load_dwordx2 v[2:3], v[0:1], off offset:16
	s_waitcnt vmcnt(0)
	v_cmp_eq_u64_e32 vcc, 0, v[2:3]
	s_cbranch_vccnz .LBB1_16
; %bb.15:
	global_load_dword v0, v[0:1], off offset:24
	v_mov_b32_e32 v1, 0
	s_waitcnt vmcnt(0)
	v_readfirstlane_b32 s14, v0
	s_and_b32 m0, s14, 0xffffff
	global_store_dwordx2 v[2:3], v[0:1], off
	s_sendmsg sendmsg(MSG_INTERRUPT)
.LBB1_16:
	s_or_b64 exec, exec, s[12:13]
	s_branch .LBB1_20
.LBB1_17:                               ;   in Loop: Header=BB1_20 Depth=1
	s_or_b64 exec, exec, s[12:13]
	v_readfirstlane_b32 s12, v0
	s_cmp_eq_u32 s12, 0
	s_cbranch_scc1 .LBB1_19
; %bb.18:                               ;   in Loop: Header=BB1_20 Depth=1
	s_sleep 1
	s_cbranch_execnz .LBB1_20
	s_branch .LBB1_22
.LBB1_19:
	s_branch .LBB1_22
.LBB1_20:                               ; =>This Inner Loop Header: Depth=1
	v_mov_b32_e32 v0, 1
	s_and_saveexec_b64 s[12:13], s[4:5]
	s_cbranch_execz .LBB1_17
; %bb.21:                               ;   in Loop: Header=BB1_20 Depth=1
	global_load_dword v0, v[10:11], off offset:20 glc
	s_waitcnt vmcnt(0)
	buffer_wbinvl1_vol
	v_and_b32_e32 v0, 1, v0
	s_branch .LBB1_17
.LBB1_22:
	global_load_dwordx2 v[6:7], v[12:13], off
	s_and_saveexec_b64 s[12:13], s[4:5]
	s_cbranch_execz .LBB1_25
; %bb.23:
	v_mov_b32_e32 v10, 0
	global_load_dwordx2 v[0:1], v10, s[10:11] offset:40
	global_load_dwordx2 v[13:14], v10, s[10:11] offset:24 glc
	global_load_dwordx2 v[2:3], v10, s[10:11]
	s_waitcnt vmcnt(2)
	v_readfirstlane_b32 s14, v0
	v_readfirstlane_b32 s15, v1
	s_add_u32 s16, s14, 1
	s_addc_u32 s17, s15, 0
	s_add_u32 s4, s16, s6
	s_addc_u32 s5, s17, s7
	s_cmp_eq_u64 s[4:5], 0
	s_cselect_b32 s5, s17, s5
	s_cselect_b32 s4, s16, s4
	s_and_b64 s[6:7], s[4:5], s[14:15]
	s_mul_i32 s7, s7, 24
	s_mul_hi_u32 s14, s6, 24
	s_mul_i32 s6, s6, 24
	s_add_i32 s7, s14, s7
	v_mov_b32_e32 v0, s7
	s_waitcnt vmcnt(0)
	v_add_co_u32_e32 v8, vcc, s6, v2
	v_addc_co_u32_e32 v9, vcc, v3, v0, vcc
	v_mov_b32_e32 v11, s4
	global_store_dwordx2 v[8:9], v[13:14], off
	v_mov_b32_e32 v12, s5
	s_waitcnt vmcnt(0)
	global_atomic_cmpswap_x2 v[2:3], v10, v[11:14], s[10:11] offset:24 glc
	s_mov_b64 s[6:7], 0
	s_waitcnt vmcnt(0)
	v_cmp_ne_u64_e32 vcc, v[2:3], v[13:14]
	s_and_b64 exec, exec, vcc
	s_cbranch_execz .LBB1_25
.LBB1_24:                               ; =>This Inner Loop Header: Depth=1
	s_sleep 1
	global_store_dwordx2 v[8:9], v[2:3], off
	v_mov_b32_e32 v0, s4
	v_mov_b32_e32 v1, s5
	s_waitcnt vmcnt(0)
	global_atomic_cmpswap_x2 v[0:1], v10, v[0:3], s[10:11] offset:24 glc
	s_waitcnt vmcnt(0)
	v_cmp_eq_u64_e32 vcc, v[0:1], v[2:3]
	v_mov_b32_e32 v3, v1
	s_or_b64 s[6:7], vcc, s[6:7]
	v_mov_b32_e32 v2, v0
	s_andn2_b64 exec, exec, s[6:7]
	s_cbranch_execnz .LBB1_24
.LBB1_25:
	s_or_b64 exec, exec, s[12:13]
	s_lshr_b32 s6, s33, 6
	s_mov_b64 s[4:5], 0
.LBB1_26:                               ; =>This Inner Loop Header: Depth=1
	v_mov_b32_e32 v0, s6
	buffer_load_ubyte v1, v0, s[0:3], 0 offen
	s_add_i32 s6, s6, 1
	v_mov_b32_e32 v0, s6
	s_waitcnt vmcnt(0)
	v_cmp_eq_u16_e32 vcc, 0, v1
	s_or_b64 s[4:5], vcc, s[4:5]
	s_andn2_b64 exec, exec, s[4:5]
	s_cbranch_execnz .LBB1_26
; %bb.27:
	s_or_b64 exec, exec, s[4:5]
	s_lshr_b32 s4, s33, 6
	s_cmp_lg_u32 s4, -1
	s_cbranch_scc0 .LBB1_112
; %bb.28:
	v_lshrrev_b32_e64 v1, 6, s33
	v_subrev_u32_e32 v28, v1, v0
	v_ashrrev_i32_e32 v29, 31, v28
	v_and_b32_e32 v36, 2, v6
	v_mov_b32_e32 v31, 0
	v_and_b32_e32 v0, -3, v6
	v_mov_b32_e32 v1, v7
	s_mov_b64 s[12:13], 0
	v_lshrrev_b32_e64 v37, 6, s33
	s_mov_b32 s20, 0
	s_movk_i32 s21, 0x1e0
	v_mov_b32_e32 v10, 2
	v_mov_b32_e32 v11, 1
	s_branch .LBB1_30
.LBB1_29:                               ;   in Loop: Header=BB1_30 Depth=1
	s_or_b64 exec, exec, s[6:7]
	v_sub_co_u32_e32 v28, vcc, v28, v38
	v_subb_co_u32_e32 v29, vcc, v29, v39, vcc
	v_cmp_eq_u64_e32 vcc, 0, v[28:29]
	v_add_u32_e32 v37, v37, v38
	s_or_b64 s[12:13], vcc, s[12:13]
	s_andn2_b64 exec, exec, s[12:13]
	s_cbranch_execz .LBB1_113
.LBB1_30:                               ; =>This Loop Header: Depth=1
                                        ;     Child Loop BB1_33 Depth 2
                                        ;     Child Loop BB1_41 Depth 2
	;; [unrolled: 1-line block ×11, first 2 shown]
	v_cmp_gt_u64_e32 vcc, 56, v[28:29]
	v_cmp_gt_u64_e64 s[4:5], 8, v[28:29]
	v_cndmask_b32_e32 v38, 56, v28, vcc
	v_add_u32_e32 v9, 8, v37
	s_and_saveexec_b64 s[6:7], s[4:5]
	s_xor_b64 s[6:7], exec, s[6:7]
	s_cbranch_execz .LBB1_36
; %bb.31:                               ;   in Loop: Header=BB1_30 Depth=1
	v_mov_b32_e32 v2, 0
	v_cmp_ne_u64_e64 s[4:5], 0, v[28:29]
	v_mov_b32_e32 v3, 0
	s_and_saveexec_b64 s[14:15], s[4:5]
	s_cbranch_execz .LBB1_35
; %bb.32:                               ;   in Loop: Header=BB1_30 Depth=1
	v_mov_b32_e32 v2, 0
	s_mov_b32 s22, 0
	s_mov_b64 s[16:17], 0
	v_mov_b32_e32 v3, 0
	s_mov_b64 s[18:19], 0
.LBB1_33:                               ;   Parent Loop BB1_30 Depth=1
                                        ; =>  This Inner Loop Header: Depth=2
	v_add_u32_e32 v8, s22, v37
	buffer_load_ubyte v8, v8, s[0:3], 0 offen
	v_mov_b32_e32 v9, s20
	s_add_i32 s22, s22, 1
	v_cmp_eq_u32_e64 s[4:5], s22, v38
	s_waitcnt vmcnt(0)
	v_and_b32_e32 v8, 0xffff, v8
	v_lshlrev_b64 v[8:9], s18, v[8:9]
	s_add_u32 s18, s18, 8
	s_addc_u32 s19, s19, 0
	v_or_b32_e32 v3, v9, v3
	s_or_b64 s[16:17], s[4:5], s[16:17]
	v_or_b32_e32 v2, v8, v2
	s_andn2_b64 exec, exec, s[16:17]
	s_cbranch_execnz .LBB1_33
; %bb.34:                               ;   in Loop: Header=BB1_30 Depth=1
	s_or_b64 exec, exec, s[16:17]
.LBB1_35:                               ;   in Loop: Header=BB1_30 Depth=1
	s_or_b64 exec, exec, s[14:15]
	v_mov_b32_e32 v9, v37
.LBB1_36:                               ;   in Loop: Header=BB1_30 Depth=1
	s_or_saveexec_b64 s[4:5], s[6:7]
	v_mov_b32_e32 v14, 0
	s_xor_b64 exec, exec, s[4:5]
	s_cbranch_execz .LBB1_38
; %bb.37:                               ;   in Loop: Header=BB1_30 Depth=1
	buffer_load_dword v2, v37, s[0:3], 0 offen
	buffer_load_dword v3, v37, s[0:3], 0 offen offset:4
	v_add_u32_e32 v14, -8, v38
.LBB1_38:                               ;   in Loop: Header=BB1_30 Depth=1
	s_or_b64 exec, exec, s[4:5]
	v_cmp_gt_u32_e64 s[4:5], 8, v14
	v_add_u32_e32 v8, 8, v9
                                        ; implicit-def: $vgpr12_vgpr13
	s_and_saveexec_b64 s[6:7], s[4:5]
	s_xor_b64 s[6:7], exec, s[6:7]
	s_cbranch_execz .LBB1_44
; %bb.39:                               ;   in Loop: Header=BB1_30 Depth=1
	v_mov_b32_e32 v12, 0
	v_mov_b32_e32 v13, 0
	v_cmp_ne_u32_e64 s[4:5], 0, v14
	s_and_saveexec_b64 s[14:15], s[4:5]
	s_cbranch_execz .LBB1_43
; %bb.40:                               ;   in Loop: Header=BB1_30 Depth=1
	v_mov_b32_e32 v12, 0
	s_mov_b32 s22, 0
	s_mov_b64 s[16:17], 0
	v_mov_b32_e32 v13, 0
	s_mov_b64 s[18:19], 0
.LBB1_41:                               ;   Parent Loop BB1_30 Depth=1
                                        ; =>  This Inner Loop Header: Depth=2
	v_add_u32_e32 v8, s22, v9
	buffer_load_ubyte v8, v8, s[0:3], 0 offen
	v_mov_b32_e32 v16, s20
	s_add_i32 s22, s22, 1
	v_cmp_eq_u32_e64 s[4:5], s22, v14
	s_waitcnt vmcnt(0)
	v_and_b32_e32 v15, 0xffff, v8
	v_lshlrev_b64 v[15:16], s18, v[15:16]
	s_add_u32 s18, s18, 8
	s_addc_u32 s19, s19, 0
	v_or_b32_e32 v13, v16, v13
	s_or_b64 s[16:17], s[4:5], s[16:17]
	v_or_b32_e32 v12, v15, v12
	s_andn2_b64 exec, exec, s[16:17]
	s_cbranch_execnz .LBB1_41
; %bb.42:                               ;   in Loop: Header=BB1_30 Depth=1
	s_or_b64 exec, exec, s[16:17]
.LBB1_43:                               ;   in Loop: Header=BB1_30 Depth=1
	s_or_b64 exec, exec, s[14:15]
	v_mov_b32_e32 v8, v9
                                        ; implicit-def: $vgpr14
.LBB1_44:                               ;   in Loop: Header=BB1_30 Depth=1
	s_or_saveexec_b64 s[4:5], s[6:7]
	v_mov_b32_e32 v16, 0
	s_xor_b64 exec, exec, s[4:5]
	s_cbranch_execz .LBB1_46
; %bb.45:                               ;   in Loop: Header=BB1_30 Depth=1
	buffer_load_dword v12, v9, s[0:3], 0 offen
	buffer_load_dword v13, v9, s[0:3], 0 offen offset:4
	v_add_u32_e32 v16, -8, v14
.LBB1_46:                               ;   in Loop: Header=BB1_30 Depth=1
	s_or_b64 exec, exec, s[4:5]
	v_cmp_gt_u32_e64 s[4:5], 8, v16
	v_add_u32_e32 v9, 8, v8
	s_and_saveexec_b64 s[6:7], s[4:5]
	s_xor_b64 s[6:7], exec, s[6:7]
	s_cbranch_execz .LBB1_52
; %bb.47:                               ;   in Loop: Header=BB1_30 Depth=1
	v_mov_b32_e32 v14, 0
	v_mov_b32_e32 v15, 0
	v_cmp_ne_u32_e64 s[4:5], 0, v16
	s_and_saveexec_b64 s[14:15], s[4:5]
	s_cbranch_execz .LBB1_51
; %bb.48:                               ;   in Loop: Header=BB1_30 Depth=1
	v_mov_b32_e32 v14, 0
	s_mov_b32 s22, 0
	s_mov_b64 s[16:17], 0
	v_mov_b32_e32 v15, 0
	s_mov_b64 s[18:19], 0
.LBB1_49:                               ;   Parent Loop BB1_30 Depth=1
                                        ; =>  This Inner Loop Header: Depth=2
	v_add_u32_e32 v9, s22, v8
	buffer_load_ubyte v9, v9, s[0:3], 0 offen
	v_mov_b32_e32 v18, s20
	s_add_i32 s22, s22, 1
	v_cmp_eq_u32_e64 s[4:5], s22, v16
	s_waitcnt vmcnt(0)
	v_and_b32_e32 v17, 0xffff, v9
	v_lshlrev_b64 v[17:18], s18, v[17:18]
	s_add_u32 s18, s18, 8
	s_addc_u32 s19, s19, 0
	v_or_b32_e32 v15, v18, v15
	s_or_b64 s[16:17], s[4:5], s[16:17]
	v_or_b32_e32 v14, v17, v14
	s_andn2_b64 exec, exec, s[16:17]
	s_cbranch_execnz .LBB1_49
; %bb.50:                               ;   in Loop: Header=BB1_30 Depth=1
	s_or_b64 exec, exec, s[16:17]
.LBB1_51:                               ;   in Loop: Header=BB1_30 Depth=1
	s_or_b64 exec, exec, s[14:15]
	v_mov_b32_e32 v9, v8
                                        ; implicit-def: $vgpr16
.LBB1_52:                               ;   in Loop: Header=BB1_30 Depth=1
	s_or_saveexec_b64 s[4:5], s[6:7]
	v_mov_b32_e32 v18, 0
	s_xor_b64 exec, exec, s[4:5]
	s_cbranch_execz .LBB1_54
; %bb.53:                               ;   in Loop: Header=BB1_30 Depth=1
	buffer_load_dword v14, v8, s[0:3], 0 offen
	buffer_load_dword v15, v8, s[0:3], 0 offen offset:4
	v_add_u32_e32 v18, -8, v16
.LBB1_54:                               ;   in Loop: Header=BB1_30 Depth=1
	s_or_b64 exec, exec, s[4:5]
	v_cmp_gt_u32_e64 s[4:5], 8, v18
	v_add_u32_e32 v8, 8, v9
                                        ; implicit-def: $vgpr16_vgpr17
	s_and_saveexec_b64 s[6:7], s[4:5]
	s_xor_b64 s[6:7], exec, s[6:7]
	s_cbranch_execz .LBB1_60
; %bb.55:                               ;   in Loop: Header=BB1_30 Depth=1
	v_mov_b32_e32 v16, 0
	v_mov_b32_e32 v17, 0
	v_cmp_ne_u32_e64 s[4:5], 0, v18
	s_and_saveexec_b64 s[14:15], s[4:5]
	s_cbranch_execz .LBB1_59
; %bb.56:                               ;   in Loop: Header=BB1_30 Depth=1
	v_mov_b32_e32 v16, 0
	s_mov_b32 s22, 0
	s_mov_b64 s[16:17], 0
	v_mov_b32_e32 v17, 0
	s_mov_b64 s[18:19], 0
.LBB1_57:                               ;   Parent Loop BB1_30 Depth=1
                                        ; =>  This Inner Loop Header: Depth=2
	v_add_u32_e32 v8, s22, v9
	buffer_load_ubyte v8, v8, s[0:3], 0 offen
	v_mov_b32_e32 v20, s20
	s_add_i32 s22, s22, 1
	v_cmp_eq_u32_e64 s[4:5], s22, v18
	s_waitcnt vmcnt(0)
	v_and_b32_e32 v19, 0xffff, v8
	v_lshlrev_b64 v[19:20], s18, v[19:20]
	s_add_u32 s18, s18, 8
	s_addc_u32 s19, s19, 0
	v_or_b32_e32 v17, v20, v17
	s_or_b64 s[16:17], s[4:5], s[16:17]
	v_or_b32_e32 v16, v19, v16
	s_andn2_b64 exec, exec, s[16:17]
	s_cbranch_execnz .LBB1_57
; %bb.58:                               ;   in Loop: Header=BB1_30 Depth=1
	s_or_b64 exec, exec, s[16:17]
.LBB1_59:                               ;   in Loop: Header=BB1_30 Depth=1
	s_or_b64 exec, exec, s[14:15]
	v_mov_b32_e32 v8, v9
                                        ; implicit-def: $vgpr18
.LBB1_60:                               ;   in Loop: Header=BB1_30 Depth=1
	s_or_saveexec_b64 s[4:5], s[6:7]
	v_mov_b32_e32 v20, 0
	s_xor_b64 exec, exec, s[4:5]
	s_cbranch_execz .LBB1_62
; %bb.61:                               ;   in Loop: Header=BB1_30 Depth=1
	buffer_load_dword v16, v9, s[0:3], 0 offen
	buffer_load_dword v17, v9, s[0:3], 0 offen offset:4
	v_add_u32_e32 v20, -8, v18
.LBB1_62:                               ;   in Loop: Header=BB1_30 Depth=1
	s_or_b64 exec, exec, s[4:5]
	v_cmp_gt_u32_e64 s[4:5], 8, v20
	v_add_u32_e32 v9, 8, v8
	s_and_saveexec_b64 s[6:7], s[4:5]
	s_xor_b64 s[6:7], exec, s[6:7]
	s_cbranch_execz .LBB1_68
; %bb.63:                               ;   in Loop: Header=BB1_30 Depth=1
	v_mov_b32_e32 v18, 0
	v_mov_b32_e32 v19, 0
	v_cmp_ne_u32_e64 s[4:5], 0, v20
	s_and_saveexec_b64 s[14:15], s[4:5]
	s_cbranch_execz .LBB1_67
; %bb.64:                               ;   in Loop: Header=BB1_30 Depth=1
	v_mov_b32_e32 v18, 0
	s_mov_b32 s22, 0
	s_mov_b64 s[16:17], 0
	v_mov_b32_e32 v19, 0
	s_mov_b64 s[18:19], 0
.LBB1_65:                               ;   Parent Loop BB1_30 Depth=1
                                        ; =>  This Inner Loop Header: Depth=2
	v_add_u32_e32 v9, s22, v8
	buffer_load_ubyte v9, v9, s[0:3], 0 offen
	v_mov_b32_e32 v22, s20
	s_add_i32 s22, s22, 1
	v_cmp_eq_u32_e64 s[4:5], s22, v20
	s_waitcnt vmcnt(0)
	v_and_b32_e32 v21, 0xffff, v9
	v_lshlrev_b64 v[21:22], s18, v[21:22]
	s_add_u32 s18, s18, 8
	s_addc_u32 s19, s19, 0
	v_or_b32_e32 v19, v22, v19
	s_or_b64 s[16:17], s[4:5], s[16:17]
	v_or_b32_e32 v18, v21, v18
	s_andn2_b64 exec, exec, s[16:17]
	s_cbranch_execnz .LBB1_65
; %bb.66:                               ;   in Loop: Header=BB1_30 Depth=1
	s_or_b64 exec, exec, s[16:17]
.LBB1_67:                               ;   in Loop: Header=BB1_30 Depth=1
	s_or_b64 exec, exec, s[14:15]
	v_mov_b32_e32 v9, v8
                                        ; implicit-def: $vgpr20
.LBB1_68:                               ;   in Loop: Header=BB1_30 Depth=1
	s_or_saveexec_b64 s[4:5], s[6:7]
	v_mov_b32_e32 v22, 0
	s_xor_b64 exec, exec, s[4:5]
	s_cbranch_execz .LBB1_70
; %bb.69:                               ;   in Loop: Header=BB1_30 Depth=1
	buffer_load_dword v18, v8, s[0:3], 0 offen
	buffer_load_dword v19, v8, s[0:3], 0 offen offset:4
	v_add_u32_e32 v22, -8, v20
.LBB1_70:                               ;   in Loop: Header=BB1_30 Depth=1
	s_or_b64 exec, exec, s[4:5]
	v_cmp_gt_u32_e64 s[4:5], 8, v22
	v_add_u32_e32 v8, 8, v9
                                        ; implicit-def: $vgpr20_vgpr21
	s_and_saveexec_b64 s[6:7], s[4:5]
	s_xor_b64 s[6:7], exec, s[6:7]
	s_cbranch_execz .LBB1_76
; %bb.71:                               ;   in Loop: Header=BB1_30 Depth=1
	v_mov_b32_e32 v20, 0
	v_mov_b32_e32 v21, 0
	v_cmp_ne_u32_e64 s[4:5], 0, v22
	s_and_saveexec_b64 s[14:15], s[4:5]
	s_cbranch_execz .LBB1_75
; %bb.72:                               ;   in Loop: Header=BB1_30 Depth=1
	v_mov_b32_e32 v20, 0
	s_mov_b32 s22, 0
	s_mov_b64 s[16:17], 0
	v_mov_b32_e32 v21, 0
	s_mov_b64 s[18:19], 0
.LBB1_73:                               ;   Parent Loop BB1_30 Depth=1
                                        ; =>  This Inner Loop Header: Depth=2
	v_add_u32_e32 v8, s22, v9
	buffer_load_ubyte v8, v8, s[0:3], 0 offen
	v_mov_b32_e32 v24, s20
	s_add_i32 s22, s22, 1
	v_cmp_eq_u32_e64 s[4:5], s22, v22
	s_waitcnt vmcnt(0)
	v_and_b32_e32 v23, 0xffff, v8
	v_lshlrev_b64 v[23:24], s18, v[23:24]
	s_add_u32 s18, s18, 8
	s_addc_u32 s19, s19, 0
	v_or_b32_e32 v21, v24, v21
	s_or_b64 s[16:17], s[4:5], s[16:17]
	v_or_b32_e32 v20, v23, v20
	s_andn2_b64 exec, exec, s[16:17]
	s_cbranch_execnz .LBB1_73
; %bb.74:                               ;   in Loop: Header=BB1_30 Depth=1
	s_or_b64 exec, exec, s[16:17]
.LBB1_75:                               ;   in Loop: Header=BB1_30 Depth=1
	s_or_b64 exec, exec, s[14:15]
	v_mov_b32_e32 v8, v9
                                        ; implicit-def: $vgpr22
.LBB1_76:                               ;   in Loop: Header=BB1_30 Depth=1
	s_or_saveexec_b64 s[4:5], s[6:7]
	v_mov_b32_e32 v24, 0
	s_xor_b64 exec, exec, s[4:5]
	s_cbranch_execz .LBB1_78
; %bb.77:                               ;   in Loop: Header=BB1_30 Depth=1
	buffer_load_dword v20, v9, s[0:3], 0 offen
	buffer_load_dword v21, v9, s[0:3], 0 offen offset:4
	v_add_u32_e32 v24, -8, v22
.LBB1_78:                               ;   in Loop: Header=BB1_30 Depth=1
	s_or_b64 exec, exec, s[4:5]
	v_cmp_gt_u32_e64 s[4:5], 8, v24
	s_and_saveexec_b64 s[6:7], s[4:5]
	s_xor_b64 s[6:7], exec, s[6:7]
	s_cbranch_execz .LBB1_84
; %bb.79:                               ;   in Loop: Header=BB1_30 Depth=1
	v_mov_b32_e32 v22, 0
	v_mov_b32_e32 v23, 0
	v_cmp_ne_u32_e64 s[4:5], 0, v24
	s_and_saveexec_b64 s[14:15], s[4:5]
	s_cbranch_execz .LBB1_83
; %bb.80:                               ;   in Loop: Header=BB1_30 Depth=1
	v_mov_b32_e32 v22, 0
	s_mov_b64 s[16:17], 0
	v_mov_b32_e32 v23, 0
	s_mov_b64 s[18:19], 0
.LBB1_81:                               ;   Parent Loop BB1_30 Depth=1
                                        ; =>  This Inner Loop Header: Depth=2
	buffer_load_ubyte v9, v8, s[0:3], 0 offen
	v_mov_b32_e32 v26, s20
	v_add_u32_e32 v24, -1, v24
	v_cmp_eq_u32_e64 s[4:5], 0, v24
	v_add_u32_e32 v8, 1, v8
	s_waitcnt vmcnt(0)
	v_and_b32_e32 v25, 0xffff, v9
	v_lshlrev_b64 v[25:26], s18, v[25:26]
	s_add_u32 s18, s18, 8
	s_addc_u32 s19, s19, 0
	v_or_b32_e32 v23, v26, v23
	s_or_b64 s[16:17], s[4:5], s[16:17]
	v_or_b32_e32 v22, v25, v22
	s_andn2_b64 exec, exec, s[16:17]
	s_cbranch_execnz .LBB1_81
; %bb.82:                               ;   in Loop: Header=BB1_30 Depth=1
	s_or_b64 exec, exec, s[16:17]
.LBB1_83:                               ;   in Loop: Header=BB1_30 Depth=1
	s_or_b64 exec, exec, s[14:15]
                                        ; implicit-def: $vgpr8
.LBB1_84:                               ;   in Loop: Header=BB1_30 Depth=1
	s_andn2_saveexec_b64 s[4:5], s[6:7]
	s_cbranch_execz .LBB1_86
; %bb.85:                               ;   in Loop: Header=BB1_30 Depth=1
	buffer_load_dword v22, v8, s[0:3], 0 offen
	buffer_load_dword v23, v8, s[0:3], 0 offen offset:4
.LBB1_86:                               ;   in Loop: Header=BB1_30 Depth=1
	s_or_b64 exec, exec, s[4:5]
	v_readfirstlane_b32 s4, v34
	v_mov_b32_e32 v8, 0
	v_mov_b32_e32 v9, 0
	v_cmp_eq_u32_e64 s[4:5], s4, v34
	s_and_saveexec_b64 s[14:15], s[4:5]
	s_cbranch_execz .LBB1_92
; %bb.87:                               ;   in Loop: Header=BB1_30 Depth=1
	global_load_dwordx2 v[26:27], v31, s[10:11] offset:24 glc
	s_waitcnt vmcnt(0)
	buffer_wbinvl1_vol
	global_load_dwordx2 v[8:9], v31, s[10:11] offset:40
	global_load_dwordx2 v[24:25], v31, s[10:11]
	s_waitcnt vmcnt(1)
	v_and_b32_e32 v8, v8, v26
	v_and_b32_e32 v9, v9, v27
	v_mul_lo_u32 v9, v9, 24
	v_mul_hi_u32 v30, v8, 24
	v_mul_lo_u32 v8, v8, 24
	v_add_u32_e32 v9, v30, v9
	s_waitcnt vmcnt(0)
	v_add_co_u32_e64 v8, s[6:7], v24, v8
	v_addc_co_u32_e64 v9, s[6:7], v25, v9, s[6:7]
	global_load_dwordx2 v[24:25], v[8:9], off glc
	s_waitcnt vmcnt(0)
	global_atomic_cmpswap_x2 v[8:9], v31, v[24:27], s[10:11] offset:24 glc
	s_waitcnt vmcnt(0)
	buffer_wbinvl1_vol
	v_cmp_ne_u64_e64 s[6:7], v[8:9], v[26:27]
	s_and_saveexec_b64 s[16:17], s[6:7]
	s_cbranch_execz .LBB1_91
; %bb.88:                               ;   in Loop: Header=BB1_30 Depth=1
	s_mov_b64 s[18:19], 0
.LBB1_89:                               ;   Parent Loop BB1_30 Depth=1
                                        ; =>  This Inner Loop Header: Depth=2
	s_sleep 1
	global_load_dwordx2 v[24:25], v31, s[10:11] offset:40
	global_load_dwordx2 v[32:33], v31, s[10:11]
	v_mov_b32_e32 v27, v9
	v_mov_b32_e32 v26, v8
	s_waitcnt vmcnt(1)
	v_and_b32_e32 v8, v24, v26
	s_waitcnt vmcnt(0)
	v_mad_u64_u32 v[8:9], s[6:7], v8, 24, v[32:33]
	v_and_b32_e32 v24, v25, v27
	v_mad_u64_u32 v[24:25], s[6:7], v24, 24, v[9:10]
	v_mov_b32_e32 v9, v24
	global_load_dwordx2 v[24:25], v[8:9], off glc
	s_waitcnt vmcnt(0)
	global_atomic_cmpswap_x2 v[8:9], v31, v[24:27], s[10:11] offset:24 glc
	s_waitcnt vmcnt(0)
	buffer_wbinvl1_vol
	v_cmp_eq_u64_e64 s[6:7], v[8:9], v[26:27]
	s_or_b64 s[18:19], s[6:7], s[18:19]
	s_andn2_b64 exec, exec, s[18:19]
	s_cbranch_execnz .LBB1_89
; %bb.90:                               ;   in Loop: Header=BB1_30 Depth=1
	s_or_b64 exec, exec, s[18:19]
.LBB1_91:                               ;   in Loop: Header=BB1_30 Depth=1
	s_or_b64 exec, exec, s[16:17]
.LBB1_92:                               ;   in Loop: Header=BB1_30 Depth=1
	s_or_b64 exec, exec, s[14:15]
	global_load_dwordx2 v[32:33], v31, s[10:11] offset:40
	global_load_dwordx4 v[24:27], v31, s[10:11]
	v_readfirstlane_b32 s15, v9
	v_readfirstlane_b32 s14, v8
	s_mov_b64 s[16:17], exec
	s_waitcnt vmcnt(1)
	v_readfirstlane_b32 s6, v32
	v_readfirstlane_b32 s7, v33
	s_and_b64 s[18:19], s[6:7], s[14:15]
	s_mul_i32 s6, s19, 24
	s_mul_hi_u32 s7, s18, 24
	s_mul_i32 s22, s18, 24
	s_add_i32 s6, s7, s6
	v_mov_b32_e32 v8, s6
	s_waitcnt vmcnt(0)
	v_add_co_u32_e64 v32, s[6:7], s22, v24
	v_addc_co_u32_e64 v33, s[6:7], v25, v8, s[6:7]
	s_and_saveexec_b64 s[6:7], s[4:5]
	s_cbranch_execz .LBB1_94
; %bb.93:                               ;   in Loop: Header=BB1_30 Depth=1
	v_mov_b32_e32 v8, s16
	v_mov_b32_e32 v9, s17
	global_store_dwordx4 v[32:33], v[8:11], off offset:8
.LBB1_94:                               ;   in Loop: Header=BB1_30 Depth=1
	s_or_b64 exec, exec, s[6:7]
	s_lshl_b64 s[6:7], s[18:19], 12
	v_cndmask_b32_e32 v39, 0, v29, vcc
	v_mov_b32_e32 v8, s7
	v_add_co_u32_e32 v26, vcc, s6, v26
	v_addc_co_u32_e32 v27, vcc, v27, v8, vcc
	v_cmp_gt_u64_e32 vcc, 57, v[28:29]
	v_and_b32_e32 v0, 0xffffff1f, v0
	v_cndmask_b32_e32 v8, 0, v36, vcc
	v_lshl_add_u32 v9, v38, 2, 28
	v_or_b32_e32 v0, v0, v8
	v_and_or_b32 v0, v9, s21, v0
	v_readfirstlane_b32 s6, v26
	v_readfirstlane_b32 s7, v27
	s_nop 4
	global_store_dwordx4 v35, v[0:3], s[6:7]
	global_store_dwordx4 v35, v[12:15], s[6:7] offset:16
	global_store_dwordx4 v35, v[16:19], s[6:7] offset:32
	global_store_dwordx4 v35, v[20:23], s[6:7] offset:48
	s_and_saveexec_b64 s[6:7], s[4:5]
	s_cbranch_execz .LBB1_102
; %bb.95:                               ;   in Loop: Header=BB1_30 Depth=1
	global_load_dwordx2 v[14:15], v31, s[10:11] offset:32 glc
	global_load_dwordx2 v[0:1], v31, s[10:11] offset:40
	v_mov_b32_e32 v12, s14
	v_mov_b32_e32 v13, s15
	s_waitcnt vmcnt(0)
	v_readfirstlane_b32 s16, v0
	v_readfirstlane_b32 s17, v1
	s_and_b64 s[16:17], s[16:17], s[14:15]
	s_mul_i32 s17, s17, 24
	s_mul_hi_u32 s18, s16, 24
	s_mul_i32 s16, s16, 24
	s_add_i32 s17, s18, s17
	v_mov_b32_e32 v0, s17
	v_add_co_u32_e32 v8, vcc, s16, v24
	v_addc_co_u32_e32 v9, vcc, v25, v0, vcc
	global_store_dwordx2 v[8:9], v[14:15], off
	s_waitcnt vmcnt(0)
	global_atomic_cmpswap_x2 v[2:3], v31, v[12:15], s[10:11] offset:32 glc
	s_waitcnt vmcnt(0)
	v_cmp_ne_u64_e32 vcc, v[2:3], v[14:15]
	s_and_saveexec_b64 s[16:17], vcc
	s_cbranch_execz .LBB1_98
; %bb.96:                               ;   in Loop: Header=BB1_30 Depth=1
	s_mov_b64 s[18:19], 0
.LBB1_97:                               ;   Parent Loop BB1_30 Depth=1
                                        ; =>  This Inner Loop Header: Depth=2
	s_sleep 1
	global_store_dwordx2 v[8:9], v[2:3], off
	v_mov_b32_e32 v0, s14
	v_mov_b32_e32 v1, s15
	s_waitcnt vmcnt(0)
	global_atomic_cmpswap_x2 v[0:1], v31, v[0:3], s[10:11] offset:32 glc
	s_waitcnt vmcnt(0)
	v_cmp_eq_u64_e32 vcc, v[0:1], v[2:3]
	v_mov_b32_e32 v3, v1
	s_or_b64 s[18:19], vcc, s[18:19]
	v_mov_b32_e32 v2, v0
	s_andn2_b64 exec, exec, s[18:19]
	s_cbranch_execnz .LBB1_97
.LBB1_98:                               ;   in Loop: Header=BB1_30 Depth=1
	s_or_b64 exec, exec, s[16:17]
	global_load_dwordx2 v[0:1], v31, s[10:11] offset:16
	s_mov_b64 s[18:19], exec
	v_mbcnt_lo_u32_b32 v2, s18, 0
	v_mbcnt_hi_u32_b32 v2, s19, v2
	v_cmp_eq_u32_e32 vcc, 0, v2
	s_and_saveexec_b64 s[16:17], vcc
	s_cbranch_execz .LBB1_100
; %bb.99:                               ;   in Loop: Header=BB1_30 Depth=1
	s_bcnt1_i32_b64 s18, s[18:19]
	v_mov_b32_e32 v30, s18
	s_waitcnt vmcnt(0)
	global_atomic_add_x2 v[0:1], v[30:31], off offset:8
.LBB1_100:                              ;   in Loop: Header=BB1_30 Depth=1
	s_or_b64 exec, exec, s[16:17]
	s_waitcnt vmcnt(0)
	global_load_dwordx2 v[2:3], v[0:1], off offset:16
	s_waitcnt vmcnt(0)
	v_cmp_eq_u64_e32 vcc, 0, v[2:3]
	s_cbranch_vccnz .LBB1_102
; %bb.101:                              ;   in Loop: Header=BB1_30 Depth=1
	global_load_dword v30, v[0:1], off offset:24
	s_waitcnt vmcnt(0)
	v_readfirstlane_b32 s16, v30
	s_and_b32 m0, s16, 0xffffff
	global_store_dwordx2 v[2:3], v[30:31], off
	s_sendmsg sendmsg(MSG_INTERRUPT)
.LBB1_102:                              ;   in Loop: Header=BB1_30 Depth=1
	s_or_b64 exec, exec, s[6:7]
	v_add_co_u32_e32 v0, vcc, v26, v35
	v_addc_co_u32_e32 v1, vcc, 0, v27, vcc
	s_branch .LBB1_106
.LBB1_103:                              ;   in Loop: Header=BB1_106 Depth=2
	s_or_b64 exec, exec, s[6:7]
	v_readfirstlane_b32 s6, v2
	s_cmp_eq_u32 s6, 0
	s_cbranch_scc1 .LBB1_105
; %bb.104:                              ;   in Loop: Header=BB1_106 Depth=2
	s_sleep 1
	s_cbranch_execnz .LBB1_106
	s_branch .LBB1_108
.LBB1_105:                              ;   in Loop: Header=BB1_30 Depth=1
	s_branch .LBB1_108
.LBB1_106:                              ;   Parent Loop BB1_30 Depth=1
                                        ; =>  This Inner Loop Header: Depth=2
	v_mov_b32_e32 v2, 1
	s_and_saveexec_b64 s[6:7], s[4:5]
	s_cbranch_execz .LBB1_103
; %bb.107:                              ;   in Loop: Header=BB1_106 Depth=2
	global_load_dword v2, v[32:33], off offset:20 glc
	s_waitcnt vmcnt(0)
	buffer_wbinvl1_vol
	v_and_b32_e32 v2, 1, v2
	s_branch .LBB1_103
.LBB1_108:                              ;   in Loop: Header=BB1_30 Depth=1
	global_load_dwordx2 v[0:1], v[0:1], off
	s_and_saveexec_b64 s[6:7], s[4:5]
	s_cbranch_execz .LBB1_29
; %bb.109:                              ;   in Loop: Header=BB1_30 Depth=1
	global_load_dwordx2 v[2:3], v31, s[10:11] offset:40
	global_load_dwordx2 v[16:17], v31, s[10:11] offset:24 glc
	global_load_dwordx2 v[8:9], v31, s[10:11]
	s_waitcnt vmcnt(2)
	v_readfirstlane_b32 s16, v2
	v_readfirstlane_b32 s17, v3
	s_add_u32 s18, s16, 1
	s_addc_u32 s19, s17, 0
	s_add_u32 s4, s18, s14
	s_addc_u32 s5, s19, s15
	s_cmp_eq_u64 s[4:5], 0
	s_cselect_b32 s5, s19, s5
	s_cselect_b32 s4, s18, s4
	s_and_b64 s[14:15], s[4:5], s[16:17]
	s_mul_i32 s15, s15, 24
	s_mul_hi_u32 s16, s14, 24
	s_mul_i32 s14, s14, 24
	s_add_i32 s15, s16, s15
	v_mov_b32_e32 v3, s15
	s_waitcnt vmcnt(0)
	v_add_co_u32_e32 v2, vcc, s14, v8
	v_addc_co_u32_e32 v3, vcc, v9, v3, vcc
	v_mov_b32_e32 v14, s4
	global_store_dwordx2 v[2:3], v[16:17], off
	v_mov_b32_e32 v15, s5
	s_waitcnt vmcnt(0)
	global_atomic_cmpswap_x2 v[14:15], v31, v[14:17], s[10:11] offset:24 glc
	s_waitcnt vmcnt(0)
	v_cmp_ne_u64_e32 vcc, v[14:15], v[16:17]
	s_and_b64 exec, exec, vcc
	s_cbranch_execz .LBB1_29
; %bb.110:                              ;   in Loop: Header=BB1_30 Depth=1
	s_mov_b64 s[14:15], 0
.LBB1_111:                              ;   Parent Loop BB1_30 Depth=1
                                        ; =>  This Inner Loop Header: Depth=2
	s_sleep 1
	global_store_dwordx2 v[2:3], v[14:15], off
	v_mov_b32_e32 v12, s4
	v_mov_b32_e32 v13, s5
	s_waitcnt vmcnt(0)
	global_atomic_cmpswap_x2 v[8:9], v31, v[12:15], s[10:11] offset:24 glc
	s_waitcnt vmcnt(0)
	v_cmp_eq_u64_e32 vcc, v[8:9], v[14:15]
	v_mov_b32_e32 v15, v9
	s_or_b64 s[14:15], vcc, s[14:15]
	v_mov_b32_e32 v14, v8
	s_andn2_b64 exec, exec, s[14:15]
	s_cbranch_execnz .LBB1_111
	s_branch .LBB1_29
.LBB1_112:
                                        ; implicit-def: $vgpr0_vgpr1
	s_cbranch_execnz .LBB1_114
	s_branch .LBB1_140
.LBB1_113:
	s_or_b64 exec, exec, s[12:13]
	s_branch .LBB1_140
.LBB1_114:
	v_readfirstlane_b32 s4, v34
	v_mov_b32_e32 v9, 0
	v_mov_b32_e32 v10, 0
	v_cmp_eq_u32_e64 s[4:5], s4, v34
	s_and_saveexec_b64 s[6:7], s[4:5]
	s_cbranch_execz .LBB1_120
; %bb.115:
	s_waitcnt vmcnt(0)
	v_mov_b32_e32 v0, 0
	global_load_dwordx2 v[11:12], v0, s[10:11] offset:24 glc
	s_waitcnt vmcnt(0)
	buffer_wbinvl1_vol
	global_load_dwordx2 v[1:2], v0, s[10:11] offset:40
	global_load_dwordx2 v[8:9], v0, s[10:11]
	s_waitcnt vmcnt(1)
	v_and_b32_e32 v1, v1, v11
	v_and_b32_e32 v2, v2, v12
	v_mul_lo_u32 v2, v2, 24
	v_mul_hi_u32 v3, v1, 24
	v_mul_lo_u32 v1, v1, 24
	v_add_u32_e32 v2, v3, v2
	s_waitcnt vmcnt(0)
	v_add_co_u32_e32 v1, vcc, v8, v1
	v_addc_co_u32_e32 v2, vcc, v9, v2, vcc
	global_load_dwordx2 v[9:10], v[1:2], off glc
	s_waitcnt vmcnt(0)
	global_atomic_cmpswap_x2 v[9:10], v0, v[9:12], s[10:11] offset:24 glc
	s_waitcnt vmcnt(0)
	buffer_wbinvl1_vol
	v_cmp_ne_u64_e32 vcc, v[9:10], v[11:12]
	s_and_saveexec_b64 s[12:13], vcc
	s_cbranch_execz .LBB1_119
; %bb.116:
	s_mov_b64 s[14:15], 0
.LBB1_117:                              ; =>This Inner Loop Header: Depth=1
	s_sleep 1
	global_load_dwordx2 v[1:2], v0, s[10:11] offset:40
	global_load_dwordx2 v[13:14], v0, s[10:11]
	v_mov_b32_e32 v12, v10
	v_mov_b32_e32 v11, v9
	s_waitcnt vmcnt(1)
	v_and_b32_e32 v1, v1, v11
	s_waitcnt vmcnt(0)
	v_mad_u64_u32 v[8:9], s[16:17], v1, 24, v[13:14]
	v_and_b32_e32 v2, v2, v12
	v_mov_b32_e32 v1, v9
	v_mad_u64_u32 v[1:2], s[16:17], v2, 24, v[1:2]
	v_mov_b32_e32 v9, v1
	global_load_dwordx2 v[9:10], v[8:9], off glc
	s_waitcnt vmcnt(0)
	global_atomic_cmpswap_x2 v[9:10], v0, v[9:12], s[10:11] offset:24 glc
	s_waitcnt vmcnt(0)
	buffer_wbinvl1_vol
	v_cmp_eq_u64_e32 vcc, v[9:10], v[11:12]
	s_or_b64 s[14:15], vcc, s[14:15]
	s_andn2_b64 exec, exec, s[14:15]
	s_cbranch_execnz .LBB1_117
; %bb.118:
	s_or_b64 exec, exec, s[14:15]
.LBB1_119:
	s_or_b64 exec, exec, s[12:13]
.LBB1_120:
	s_or_b64 exec, exec, s[6:7]
	v_mov_b32_e32 v8, 0
	global_load_dwordx2 v[11:12], v8, s[10:11] offset:40
	global_load_dwordx4 v[0:3], v8, s[10:11]
	v_readfirstlane_b32 s7, v10
	v_readfirstlane_b32 s6, v9
	s_mov_b64 s[12:13], exec
	s_waitcnt vmcnt(1)
	v_readfirstlane_b32 s14, v11
	v_readfirstlane_b32 s15, v12
	s_and_b64 s[14:15], s[14:15], s[6:7]
	s_mul_i32 s16, s15, 24
	s_mul_hi_u32 s17, s14, 24
	s_mul_i32 s18, s14, 24
	s_add_i32 s16, s17, s16
	v_mov_b32_e32 v9, s16
	s_waitcnt vmcnt(0)
	v_add_co_u32_e32 v10, vcc, s18, v0
	v_addc_co_u32_e32 v11, vcc, v1, v9, vcc
	s_and_saveexec_b64 s[16:17], s[4:5]
	s_cbranch_execz .LBB1_122
; %bb.121:
	v_mov_b32_e32 v12, s12
	v_mov_b32_e32 v13, s13
	;; [unrolled: 1-line block ×4, first 2 shown]
	global_store_dwordx4 v[10:11], v[12:15], off offset:8
.LBB1_122:
	s_or_b64 exec, exec, s[16:17]
	s_lshl_b64 s[12:13], s[14:15], 12
	v_mov_b32_e32 v9, s13
	v_add_co_u32_e32 v2, vcc, s12, v2
	v_addc_co_u32_e32 v3, vcc, v3, v9, vcc
	s_movk_i32 s12, 0xff1f
	v_and_or_b32 v6, v6, s12, 32
	s_mov_b32 s12, 0
	v_mov_b32_e32 v9, v8
	v_readfirstlane_b32 s16, v2
	v_readfirstlane_b32 s17, v3
	v_add_co_u32_e32 v12, vcc, v2, v35
	s_mov_b32 s13, s12
	s_mov_b32 s14, s12
	;; [unrolled: 1-line block ×3, first 2 shown]
	s_nop 0
	global_store_dwordx4 v35, v[6:9], s[16:17]
	v_addc_co_u32_e32 v13, vcc, 0, v3, vcc
	v_mov_b32_e32 v6, s12
	v_mov_b32_e32 v7, s13
	;; [unrolled: 1-line block ×4, first 2 shown]
	global_store_dwordx4 v35, v[6:9], s[16:17] offset:16
	global_store_dwordx4 v35, v[6:9], s[16:17] offset:32
	;; [unrolled: 1-line block ×3, first 2 shown]
	s_and_saveexec_b64 s[12:13], s[4:5]
	s_cbranch_execz .LBB1_130
; %bb.123:
	v_mov_b32_e32 v8, 0
	global_load_dwordx2 v[16:17], v8, s[10:11] offset:32 glc
	global_load_dwordx2 v[2:3], v8, s[10:11] offset:40
	v_mov_b32_e32 v14, s6
	v_mov_b32_e32 v15, s7
	s_waitcnt vmcnt(0)
	v_readfirstlane_b32 s14, v2
	v_readfirstlane_b32 s15, v3
	s_and_b64 s[14:15], s[14:15], s[6:7]
	s_mul_i32 s15, s15, 24
	s_mul_hi_u32 s16, s14, 24
	s_mul_i32 s14, s14, 24
	s_add_i32 s15, s16, s15
	v_mov_b32_e32 v2, s15
	v_add_co_u32_e32 v6, vcc, s14, v0
	v_addc_co_u32_e32 v7, vcc, v1, v2, vcc
	global_store_dwordx2 v[6:7], v[16:17], off
	s_waitcnt vmcnt(0)
	global_atomic_cmpswap_x2 v[2:3], v8, v[14:17], s[10:11] offset:32 glc
	s_waitcnt vmcnt(0)
	v_cmp_ne_u64_e32 vcc, v[2:3], v[16:17]
	s_and_saveexec_b64 s[14:15], vcc
	s_cbranch_execz .LBB1_126
; %bb.124:
	s_mov_b64 s[16:17], 0
.LBB1_125:                              ; =>This Inner Loop Header: Depth=1
	s_sleep 1
	global_store_dwordx2 v[6:7], v[2:3], off
	v_mov_b32_e32 v0, s6
	v_mov_b32_e32 v1, s7
	s_waitcnt vmcnt(0)
	global_atomic_cmpswap_x2 v[0:1], v8, v[0:3], s[10:11] offset:32 glc
	s_waitcnt vmcnt(0)
	v_cmp_eq_u64_e32 vcc, v[0:1], v[2:3]
	v_mov_b32_e32 v3, v1
	s_or_b64 s[16:17], vcc, s[16:17]
	v_mov_b32_e32 v2, v0
	s_andn2_b64 exec, exec, s[16:17]
	s_cbranch_execnz .LBB1_125
.LBB1_126:
	s_or_b64 exec, exec, s[14:15]
	v_mov_b32_e32 v3, 0
	global_load_dwordx2 v[0:1], v3, s[10:11] offset:16
	s_mov_b64 s[14:15], exec
	v_mbcnt_lo_u32_b32 v2, s14, 0
	v_mbcnt_hi_u32_b32 v2, s15, v2
	v_cmp_eq_u32_e32 vcc, 0, v2
	s_and_saveexec_b64 s[16:17], vcc
	s_cbranch_execz .LBB1_128
; %bb.127:
	s_bcnt1_i32_b64 s14, s[14:15]
	v_mov_b32_e32 v2, s14
	s_waitcnt vmcnt(0)
	global_atomic_add_x2 v[0:1], v[2:3], off offset:8
.LBB1_128:
	s_or_b64 exec, exec, s[16:17]
	s_waitcnt vmcnt(0)
	global_load_dwordx2 v[2:3], v[0:1], off offset:16
	s_waitcnt vmcnt(0)
	v_cmp_eq_u64_e32 vcc, 0, v[2:3]
	s_cbranch_vccnz .LBB1_130
; %bb.129:
	global_load_dword v0, v[0:1], off offset:24
	v_mov_b32_e32 v1, 0
	s_waitcnt vmcnt(0)
	v_readfirstlane_b32 s14, v0
	s_and_b32 m0, s14, 0xffffff
	global_store_dwordx2 v[2:3], v[0:1], off
	s_sendmsg sendmsg(MSG_INTERRUPT)
.LBB1_130:
	s_or_b64 exec, exec, s[12:13]
	s_branch .LBB1_134
.LBB1_131:                              ;   in Loop: Header=BB1_134 Depth=1
	s_or_b64 exec, exec, s[12:13]
	v_readfirstlane_b32 s12, v0
	s_cmp_eq_u32 s12, 0
	s_cbranch_scc1 .LBB1_133
; %bb.132:                              ;   in Loop: Header=BB1_134 Depth=1
	s_sleep 1
	s_cbranch_execnz .LBB1_134
	s_branch .LBB1_136
.LBB1_133:
	s_branch .LBB1_136
.LBB1_134:                              ; =>This Inner Loop Header: Depth=1
	v_mov_b32_e32 v0, 1
	s_and_saveexec_b64 s[12:13], s[4:5]
	s_cbranch_execz .LBB1_131
; %bb.135:                              ;   in Loop: Header=BB1_134 Depth=1
	global_load_dword v0, v[10:11], off offset:20 glc
	s_waitcnt vmcnt(0)
	buffer_wbinvl1_vol
	v_and_b32_e32 v0, 1, v0
	s_branch .LBB1_131
.LBB1_136:
	global_load_dwordx2 v[0:1], v[12:13], off
	s_and_saveexec_b64 s[12:13], s[4:5]
	s_cbranch_execz .LBB1_139
; %bb.137:
	v_mov_b32_e32 v10, 0
	global_load_dwordx2 v[2:3], v10, s[10:11] offset:40
	global_load_dwordx2 v[13:14], v10, s[10:11] offset:24 glc
	global_load_dwordx2 v[6:7], v10, s[10:11]
	s_waitcnt vmcnt(2)
	v_readfirstlane_b32 s14, v2
	v_readfirstlane_b32 s15, v3
	s_add_u32 s16, s14, 1
	s_addc_u32 s17, s15, 0
	s_add_u32 s4, s16, s6
	s_addc_u32 s5, s17, s7
	s_cmp_eq_u64 s[4:5], 0
	s_cselect_b32 s5, s17, s5
	s_cselect_b32 s4, s16, s4
	s_and_b64 s[6:7], s[4:5], s[14:15]
	s_mul_i32 s7, s7, 24
	s_mul_hi_u32 s14, s6, 24
	s_mul_i32 s6, s6, 24
	s_add_i32 s7, s14, s7
	v_mov_b32_e32 v3, s7
	s_waitcnt vmcnt(0)
	v_add_co_u32_e32 v2, vcc, s6, v6
	v_addc_co_u32_e32 v3, vcc, v7, v3, vcc
	v_mov_b32_e32 v11, s4
	global_store_dwordx2 v[2:3], v[13:14], off
	v_mov_b32_e32 v12, s5
	s_waitcnt vmcnt(0)
	global_atomic_cmpswap_x2 v[8:9], v10, v[11:14], s[10:11] offset:24 glc
	s_mov_b64 s[6:7], 0
	s_waitcnt vmcnt(0)
	v_cmp_ne_u64_e32 vcc, v[8:9], v[13:14]
	s_and_b64 exec, exec, vcc
	s_cbranch_execz .LBB1_139
.LBB1_138:                              ; =>This Inner Loop Header: Depth=1
	s_sleep 1
	global_store_dwordx2 v[2:3], v[8:9], off
	v_mov_b32_e32 v6, s4
	v_mov_b32_e32 v7, s5
	s_waitcnt vmcnt(0)
	global_atomic_cmpswap_x2 v[6:7], v10, v[6:9], s[10:11] offset:24 glc
	s_waitcnt vmcnt(0)
	v_cmp_eq_u64_e32 vcc, v[6:7], v[8:9]
	v_mov_b32_e32 v9, v7
	s_or_b64 s[6:7], vcc, s[6:7]
	v_mov_b32_e32 v8, v6
	s_andn2_b64 exec, exec, s[6:7]
	s_cbranch_execnz .LBB1_138
.LBB1_139:
	s_or_b64 exec, exec, s[12:13]
.LBB1_140:
	s_getpc_b64 s[6:7]
	s_add_u32 s6, s6, .str.4@rel32@lo+4
	s_addc_u32 s7, s7, .str.4@rel32@hi+12
	s_cmp_lg_u64 s[6:7], 0
	s_cbranch_scc0 .LBB1_225
; %bb.141:
	s_getpc_b64 s[4:5]
	s_add_u32 s4, s4, .str.4@rel32@lo+80
	s_addc_u32 s5, s5, .str.4@rel32@hi+88
	s_sub_i32 s12, s4, s6
	s_ashr_i32 s13, s12, 31
	s_waitcnt vmcnt(0)
	v_and_b32_e32 v32, 2, v0
	v_mov_b32_e32 v3, 0
	v_and_b32_e32 v6, -3, v0
	v_mov_b32_e32 v7, v1
	v_mov_b32_e32 v12, 2
	;; [unrolled: 1-line block ×3, first 2 shown]
	s_branch .LBB1_143
.LBB1_142:                              ;   in Loop: Header=BB1_143 Depth=1
	s_or_b64 exec, exec, s[18:19]
	s_sub_u32 s12, s12, s14
	s_subb_u32 s13, s13, s15
	s_add_u32 s6, s6, s14
	s_addc_u32 s7, s7, s15
	s_cmp_lg_u64 s[12:13], 0
	s_cbranch_scc0 .LBB1_226
.LBB1_143:                              ; =>This Loop Header: Depth=1
                                        ;     Child Loop BB1_146 Depth 2
                                        ;     Child Loop BB1_154 Depth 2
                                        ;     Child Loop BB1_162 Depth 2
                                        ;     Child Loop BB1_170 Depth 2
                                        ;     Child Loop BB1_178 Depth 2
                                        ;     Child Loop BB1_186 Depth 2
                                        ;     Child Loop BB1_194 Depth 2
                                        ;     Child Loop BB1_202 Depth 2
                                        ;     Child Loop BB1_210 Depth 2
                                        ;     Child Loop BB1_219 Depth 2
                                        ;     Child Loop BB1_224 Depth 2
	v_cmp_lt_u64_e64 s[4:5], s[12:13], 56
	v_cmp_gt_u64_e64 s[16:17], s[12:13], 7
	s_and_b64 s[4:5], s[4:5], exec
	s_cselect_b32 s15, s13, 0
	s_cselect_b32 s14, s12, 56
	s_add_u32 s4, s6, 8
	s_addc_u32 s5, s7, 0
	s_and_b64 vcc, exec, s[16:17]
	s_cbranch_vccnz .LBB1_147
; %bb.144:                              ;   in Loop: Header=BB1_143 Depth=1
	s_cmp_eq_u64 s[12:13], 0
	s_cbranch_scc1 .LBB1_148
; %bb.145:                              ;   in Loop: Header=BB1_143 Depth=1
	v_mov_b32_e32 v8, 0
	s_lshl_b64 s[4:5], s[14:15], 3
	s_mov_b64 s[16:17], 0
	v_mov_b32_e32 v9, 0
	s_mov_b64 s[18:19], s[6:7]
.LBB1_146:                              ;   Parent Loop BB1_143 Depth=1
                                        ; =>  This Inner Loop Header: Depth=2
	global_load_ubyte v2, v3, s[18:19]
	s_waitcnt vmcnt(0)
	v_and_b32_e32 v2, 0xffff, v2
	v_lshlrev_b64 v[10:11], s16, v[2:3]
	s_add_u32 s16, s16, 8
	s_addc_u32 s17, s17, 0
	s_add_u32 s18, s18, 1
	s_addc_u32 s19, s19, 0
	v_or_b32_e32 v8, v10, v8
	s_cmp_lg_u32 s4, s16
	v_or_b32_e32 v9, v11, v9
	s_cbranch_scc1 .LBB1_146
	s_branch .LBB1_149
.LBB1_147:                              ;   in Loop: Header=BB1_143 Depth=1
	s_mov_b32 s20, 0
	s_branch .LBB1_150
.LBB1_148:                              ;   in Loop: Header=BB1_143 Depth=1
	v_mov_b32_e32 v8, 0
	v_mov_b32_e32 v9, 0
.LBB1_149:                              ;   in Loop: Header=BB1_143 Depth=1
	s_mov_b64 s[4:5], s[6:7]
	s_mov_b32 s20, 0
	s_cbranch_execnz .LBB1_151
.LBB1_150:                              ;   in Loop: Header=BB1_143 Depth=1
	global_load_dwordx2 v[8:9], v3, s[6:7]
	s_add_i32 s20, s14, -8
.LBB1_151:                              ;   in Loop: Header=BB1_143 Depth=1
	s_add_u32 s16, s4, 8
	s_addc_u32 s17, s5, 0
	s_cmp_gt_u32 s20, 7
	s_cbranch_scc1 .LBB1_155
; %bb.152:                              ;   in Loop: Header=BB1_143 Depth=1
	s_cmp_eq_u32 s20, 0
	s_cbranch_scc1 .LBB1_156
; %bb.153:                              ;   in Loop: Header=BB1_143 Depth=1
	v_mov_b32_e32 v14, 0
	s_mov_b64 s[16:17], 0
	v_mov_b32_e32 v15, 0
	s_mov_b64 s[18:19], 0
.LBB1_154:                              ;   Parent Loop BB1_143 Depth=1
                                        ; =>  This Inner Loop Header: Depth=2
	s_add_u32 s22, s4, s18
	s_addc_u32 s23, s5, s19
	global_load_ubyte v2, v3, s[22:23]
	s_add_u32 s18, s18, 1
	s_addc_u32 s19, s19, 0
	s_waitcnt vmcnt(0)
	v_and_b32_e32 v2, 0xffff, v2
	v_lshlrev_b64 v[10:11], s16, v[2:3]
	s_add_u32 s16, s16, 8
	s_addc_u32 s17, s17, 0
	v_or_b32_e32 v14, v10, v14
	s_cmp_lg_u32 s20, s18
	v_or_b32_e32 v15, v11, v15
	s_cbranch_scc1 .LBB1_154
	s_branch .LBB1_157
.LBB1_155:                              ;   in Loop: Header=BB1_143 Depth=1
                                        ; implicit-def: $vgpr14_vgpr15
	s_mov_b32 s21, 0
	s_branch .LBB1_158
.LBB1_156:                              ;   in Loop: Header=BB1_143 Depth=1
	v_mov_b32_e32 v14, 0
	v_mov_b32_e32 v15, 0
.LBB1_157:                              ;   in Loop: Header=BB1_143 Depth=1
	s_mov_b64 s[16:17], s[4:5]
	s_mov_b32 s21, 0
	s_cbranch_execnz .LBB1_159
.LBB1_158:                              ;   in Loop: Header=BB1_143 Depth=1
	global_load_dwordx2 v[14:15], v3, s[4:5]
	s_add_i32 s21, s20, -8
.LBB1_159:                              ;   in Loop: Header=BB1_143 Depth=1
	s_add_u32 s4, s16, 8
	s_addc_u32 s5, s17, 0
	s_cmp_gt_u32 s21, 7
	s_cbranch_scc1 .LBB1_163
; %bb.160:                              ;   in Loop: Header=BB1_143 Depth=1
	s_cmp_eq_u32 s21, 0
	s_cbranch_scc1 .LBB1_164
; %bb.161:                              ;   in Loop: Header=BB1_143 Depth=1
	v_mov_b32_e32 v16, 0
	s_mov_b64 s[4:5], 0
	v_mov_b32_e32 v17, 0
	s_mov_b64 s[18:19], 0
.LBB1_162:                              ;   Parent Loop BB1_143 Depth=1
                                        ; =>  This Inner Loop Header: Depth=2
	s_add_u32 s22, s16, s18
	s_addc_u32 s23, s17, s19
	global_load_ubyte v2, v3, s[22:23]
	s_add_u32 s18, s18, 1
	s_addc_u32 s19, s19, 0
	s_waitcnt vmcnt(0)
	v_and_b32_e32 v2, 0xffff, v2
	v_lshlrev_b64 v[10:11], s4, v[2:3]
	s_add_u32 s4, s4, 8
	s_addc_u32 s5, s5, 0
	v_or_b32_e32 v16, v10, v16
	s_cmp_lg_u32 s21, s18
	v_or_b32_e32 v17, v11, v17
	s_cbranch_scc1 .LBB1_162
	s_branch .LBB1_165
.LBB1_163:                              ;   in Loop: Header=BB1_143 Depth=1
	s_mov_b32 s20, 0
	s_branch .LBB1_166
.LBB1_164:                              ;   in Loop: Header=BB1_143 Depth=1
	v_mov_b32_e32 v16, 0
	v_mov_b32_e32 v17, 0
.LBB1_165:                              ;   in Loop: Header=BB1_143 Depth=1
	s_mov_b64 s[4:5], s[16:17]
	s_mov_b32 s20, 0
	s_cbranch_execnz .LBB1_167
.LBB1_166:                              ;   in Loop: Header=BB1_143 Depth=1
	global_load_dwordx2 v[16:17], v3, s[16:17]
	s_add_i32 s20, s21, -8
.LBB1_167:                              ;   in Loop: Header=BB1_143 Depth=1
	s_add_u32 s16, s4, 8
	s_addc_u32 s17, s5, 0
	s_cmp_gt_u32 s20, 7
	s_cbranch_scc1 .LBB1_171
; %bb.168:                              ;   in Loop: Header=BB1_143 Depth=1
	s_cmp_eq_u32 s20, 0
	s_cbranch_scc1 .LBB1_172
; %bb.169:                              ;   in Loop: Header=BB1_143 Depth=1
	v_mov_b32_e32 v18, 0
	s_mov_b64 s[16:17], 0
	v_mov_b32_e32 v19, 0
	s_mov_b64 s[18:19], 0
.LBB1_170:                              ;   Parent Loop BB1_143 Depth=1
                                        ; =>  This Inner Loop Header: Depth=2
	s_add_u32 s22, s4, s18
	s_addc_u32 s23, s5, s19
	global_load_ubyte v2, v3, s[22:23]
	s_add_u32 s18, s18, 1
	s_addc_u32 s19, s19, 0
	s_waitcnt vmcnt(0)
	v_and_b32_e32 v2, 0xffff, v2
	v_lshlrev_b64 v[10:11], s16, v[2:3]
	s_add_u32 s16, s16, 8
	s_addc_u32 s17, s17, 0
	v_or_b32_e32 v18, v10, v18
	s_cmp_lg_u32 s20, s18
	v_or_b32_e32 v19, v11, v19
	s_cbranch_scc1 .LBB1_170
	s_branch .LBB1_173
.LBB1_171:                              ;   in Loop: Header=BB1_143 Depth=1
                                        ; implicit-def: $vgpr18_vgpr19
	s_mov_b32 s21, 0
	s_branch .LBB1_174
.LBB1_172:                              ;   in Loop: Header=BB1_143 Depth=1
	v_mov_b32_e32 v18, 0
	v_mov_b32_e32 v19, 0
.LBB1_173:                              ;   in Loop: Header=BB1_143 Depth=1
	s_mov_b64 s[16:17], s[4:5]
	s_mov_b32 s21, 0
	s_cbranch_execnz .LBB1_175
.LBB1_174:                              ;   in Loop: Header=BB1_143 Depth=1
	global_load_dwordx2 v[18:19], v3, s[4:5]
	s_add_i32 s21, s20, -8
.LBB1_175:                              ;   in Loop: Header=BB1_143 Depth=1
	s_add_u32 s4, s16, 8
	s_addc_u32 s5, s17, 0
	s_cmp_gt_u32 s21, 7
	s_cbranch_scc1 .LBB1_179
; %bb.176:                              ;   in Loop: Header=BB1_143 Depth=1
	s_cmp_eq_u32 s21, 0
	s_cbranch_scc1 .LBB1_180
; %bb.177:                              ;   in Loop: Header=BB1_143 Depth=1
	v_mov_b32_e32 v20, 0
	s_mov_b64 s[4:5], 0
	v_mov_b32_e32 v21, 0
	s_mov_b64 s[18:19], 0
.LBB1_178:                              ;   Parent Loop BB1_143 Depth=1
                                        ; =>  This Inner Loop Header: Depth=2
	s_add_u32 s22, s16, s18
	s_addc_u32 s23, s17, s19
	global_load_ubyte v2, v3, s[22:23]
	s_add_u32 s18, s18, 1
	s_addc_u32 s19, s19, 0
	s_waitcnt vmcnt(0)
	v_and_b32_e32 v2, 0xffff, v2
	v_lshlrev_b64 v[10:11], s4, v[2:3]
	s_add_u32 s4, s4, 8
	s_addc_u32 s5, s5, 0
	v_or_b32_e32 v20, v10, v20
	s_cmp_lg_u32 s21, s18
	v_or_b32_e32 v21, v11, v21
	s_cbranch_scc1 .LBB1_178
	s_branch .LBB1_181
.LBB1_179:                              ;   in Loop: Header=BB1_143 Depth=1
	s_mov_b32 s20, 0
	s_branch .LBB1_182
.LBB1_180:                              ;   in Loop: Header=BB1_143 Depth=1
	v_mov_b32_e32 v20, 0
	v_mov_b32_e32 v21, 0
.LBB1_181:                              ;   in Loop: Header=BB1_143 Depth=1
	s_mov_b64 s[4:5], s[16:17]
	s_mov_b32 s20, 0
	s_cbranch_execnz .LBB1_183
.LBB1_182:                              ;   in Loop: Header=BB1_143 Depth=1
	global_load_dwordx2 v[20:21], v3, s[16:17]
	s_add_i32 s20, s21, -8
.LBB1_183:                              ;   in Loop: Header=BB1_143 Depth=1
	s_add_u32 s16, s4, 8
	s_addc_u32 s17, s5, 0
	s_cmp_gt_u32 s20, 7
	s_cbranch_scc1 .LBB1_187
; %bb.184:                              ;   in Loop: Header=BB1_143 Depth=1
	s_cmp_eq_u32 s20, 0
	s_cbranch_scc1 .LBB1_188
; %bb.185:                              ;   in Loop: Header=BB1_143 Depth=1
	v_mov_b32_e32 v22, 0
	s_mov_b64 s[16:17], 0
	v_mov_b32_e32 v23, 0
	s_mov_b64 s[18:19], 0
.LBB1_186:                              ;   Parent Loop BB1_143 Depth=1
                                        ; =>  This Inner Loop Header: Depth=2
	s_add_u32 s22, s4, s18
	s_addc_u32 s23, s5, s19
	global_load_ubyte v2, v3, s[22:23]
	s_add_u32 s18, s18, 1
	s_addc_u32 s19, s19, 0
	s_waitcnt vmcnt(0)
	v_and_b32_e32 v2, 0xffff, v2
	v_lshlrev_b64 v[10:11], s16, v[2:3]
	s_add_u32 s16, s16, 8
	s_addc_u32 s17, s17, 0
	v_or_b32_e32 v22, v10, v22
	s_cmp_lg_u32 s20, s18
	v_or_b32_e32 v23, v11, v23
	s_cbranch_scc1 .LBB1_186
	s_branch .LBB1_189
.LBB1_187:                              ;   in Loop: Header=BB1_143 Depth=1
                                        ; implicit-def: $vgpr22_vgpr23
	s_mov_b32 s21, 0
	s_branch .LBB1_190
.LBB1_188:                              ;   in Loop: Header=BB1_143 Depth=1
	v_mov_b32_e32 v22, 0
	v_mov_b32_e32 v23, 0
.LBB1_189:                              ;   in Loop: Header=BB1_143 Depth=1
	s_mov_b64 s[16:17], s[4:5]
	s_mov_b32 s21, 0
	s_cbranch_execnz .LBB1_191
.LBB1_190:                              ;   in Loop: Header=BB1_143 Depth=1
	global_load_dwordx2 v[22:23], v3, s[4:5]
	s_add_i32 s21, s20, -8
.LBB1_191:                              ;   in Loop: Header=BB1_143 Depth=1
	s_cmp_gt_u32 s21, 7
	s_cbranch_scc1 .LBB1_195
; %bb.192:                              ;   in Loop: Header=BB1_143 Depth=1
	s_cmp_eq_u32 s21, 0
	s_cbranch_scc1 .LBB1_196
; %bb.193:                              ;   in Loop: Header=BB1_143 Depth=1
	v_mov_b32_e32 v24, 0
	s_mov_b64 s[4:5], 0
	v_mov_b32_e32 v25, 0
	s_mov_b64 s[18:19], s[16:17]
.LBB1_194:                              ;   Parent Loop BB1_143 Depth=1
                                        ; =>  This Inner Loop Header: Depth=2
	global_load_ubyte v2, v3, s[18:19]
	s_add_i32 s21, s21, -1
	s_waitcnt vmcnt(0)
	v_and_b32_e32 v2, 0xffff, v2
	v_lshlrev_b64 v[10:11], s4, v[2:3]
	s_add_u32 s4, s4, 8
	s_addc_u32 s5, s5, 0
	s_add_u32 s18, s18, 1
	s_addc_u32 s19, s19, 0
	v_or_b32_e32 v24, v10, v24
	s_cmp_lg_u32 s21, 0
	v_or_b32_e32 v25, v11, v25
	s_cbranch_scc1 .LBB1_194
	s_branch .LBB1_197
.LBB1_195:                              ;   in Loop: Header=BB1_143 Depth=1
	s_branch .LBB1_198
.LBB1_196:                              ;   in Loop: Header=BB1_143 Depth=1
	v_mov_b32_e32 v24, 0
	v_mov_b32_e32 v25, 0
.LBB1_197:                              ;   in Loop: Header=BB1_143 Depth=1
	s_cbranch_execnz .LBB1_199
.LBB1_198:                              ;   in Loop: Header=BB1_143 Depth=1
	global_load_dwordx2 v[24:25], v3, s[16:17]
.LBB1_199:                              ;   in Loop: Header=BB1_143 Depth=1
	v_readfirstlane_b32 s4, v34
	v_mov_b32_e32 v10, 0
	v_mov_b32_e32 v11, 0
	v_cmp_eq_u32_e64 s[4:5], s4, v34
	s_and_saveexec_b64 s[16:17], s[4:5]
	s_cbranch_execz .LBB1_205
; %bb.200:                              ;   in Loop: Header=BB1_143 Depth=1
	global_load_dwordx2 v[28:29], v3, s[10:11] offset:24 glc
	s_waitcnt vmcnt(0)
	buffer_wbinvl1_vol
	global_load_dwordx2 v[10:11], v3, s[10:11] offset:40
	global_load_dwordx2 v[26:27], v3, s[10:11]
	s_waitcnt vmcnt(1)
	v_and_b32_e32 v2, v10, v28
	v_and_b32_e32 v10, v11, v29
	v_mul_lo_u32 v10, v10, 24
	v_mul_hi_u32 v11, v2, 24
	v_mul_lo_u32 v2, v2, 24
	v_add_u32_e32 v11, v11, v10
	s_waitcnt vmcnt(0)
	v_add_co_u32_e32 v10, vcc, v26, v2
	v_addc_co_u32_e32 v11, vcc, v27, v11, vcc
	global_load_dwordx2 v[26:27], v[10:11], off glc
	s_waitcnt vmcnt(0)
	global_atomic_cmpswap_x2 v[10:11], v3, v[26:29], s[10:11] offset:24 glc
	s_waitcnt vmcnt(0)
	buffer_wbinvl1_vol
	v_cmp_ne_u64_e32 vcc, v[10:11], v[28:29]
	s_and_saveexec_b64 s[18:19], vcc
	s_cbranch_execz .LBB1_204
; %bb.201:                              ;   in Loop: Header=BB1_143 Depth=1
	s_mov_b64 s[20:21], 0
.LBB1_202:                              ;   Parent Loop BB1_143 Depth=1
                                        ; =>  This Inner Loop Header: Depth=2
	s_sleep 1
	global_load_dwordx2 v[26:27], v3, s[10:11] offset:40
	global_load_dwordx2 v[30:31], v3, s[10:11]
	v_mov_b32_e32 v29, v11
	v_mov_b32_e32 v28, v10
	s_waitcnt vmcnt(1)
	v_and_b32_e32 v2, v26, v28
	s_waitcnt vmcnt(0)
	v_mad_u64_u32 v[10:11], s[22:23], v2, 24, v[30:31]
	v_and_b32_e32 v26, v27, v29
	v_mov_b32_e32 v2, v11
	v_mad_u64_u32 v[26:27], s[22:23], v26, 24, v[2:3]
	v_mov_b32_e32 v11, v26
	global_load_dwordx2 v[26:27], v[10:11], off glc
	s_waitcnt vmcnt(0)
	global_atomic_cmpswap_x2 v[10:11], v3, v[26:29], s[10:11] offset:24 glc
	s_waitcnt vmcnt(0)
	buffer_wbinvl1_vol
	v_cmp_eq_u64_e32 vcc, v[10:11], v[28:29]
	s_or_b64 s[20:21], vcc, s[20:21]
	s_andn2_b64 exec, exec, s[20:21]
	s_cbranch_execnz .LBB1_202
; %bb.203:                              ;   in Loop: Header=BB1_143 Depth=1
	s_or_b64 exec, exec, s[20:21]
.LBB1_204:                              ;   in Loop: Header=BB1_143 Depth=1
	s_or_b64 exec, exec, s[18:19]
.LBB1_205:                              ;   in Loop: Header=BB1_143 Depth=1
	s_or_b64 exec, exec, s[16:17]
	global_load_dwordx2 v[30:31], v3, s[10:11] offset:40
	global_load_dwordx4 v[26:29], v3, s[10:11]
	v_readfirstlane_b32 s17, v11
	v_readfirstlane_b32 s16, v10
	s_mov_b64 s[18:19], exec
	s_waitcnt vmcnt(1)
	v_readfirstlane_b32 s20, v30
	v_readfirstlane_b32 s21, v31
	s_and_b64 s[20:21], s[20:21], s[16:17]
	s_mul_i32 s22, s21, 24
	s_mul_hi_u32 s23, s20, 24
	s_mul_i32 s24, s20, 24
	s_add_i32 s22, s23, s22
	v_mov_b32_e32 v2, s22
	s_waitcnt vmcnt(0)
	v_add_co_u32_e32 v30, vcc, s24, v26
	v_addc_co_u32_e32 v31, vcc, v27, v2, vcc
	s_and_saveexec_b64 s[22:23], s[4:5]
	s_cbranch_execz .LBB1_207
; %bb.206:                              ;   in Loop: Header=BB1_143 Depth=1
	v_mov_b32_e32 v10, s18
	v_mov_b32_e32 v11, s19
	global_store_dwordx4 v[30:31], v[10:13], off offset:8
.LBB1_207:                              ;   in Loop: Header=BB1_143 Depth=1
	s_or_b64 exec, exec, s[22:23]
	s_lshl_b64 s[18:19], s[20:21], 12
	v_mov_b32_e32 v2, s19
	v_add_co_u32_e32 v28, vcc, s18, v28
	v_addc_co_u32_e32 v29, vcc, v29, v2, vcc
	v_cmp_lt_u64_e64 vcc, s[12:13], 57
	s_lshl_b32 s18, s14, 2
	v_cndmask_b32_e32 v2, 0, v32, vcc
	s_add_i32 s18, s18, 28
	v_and_b32_e32 v6, 0xffffff1f, v6
	s_and_b32 s18, s18, 0x1e0
	v_or_b32_e32 v2, v6, v2
	v_or_b32_e32 v6, s18, v2
	v_readfirstlane_b32 s18, v28
	v_readfirstlane_b32 s19, v29
	s_nop 4
	global_store_dwordx4 v35, v[6:9], s[18:19]
	global_store_dwordx4 v35, v[14:17], s[18:19] offset:16
	global_store_dwordx4 v35, v[18:21], s[18:19] offset:32
	;; [unrolled: 1-line block ×3, first 2 shown]
	s_and_saveexec_b64 s[18:19], s[4:5]
	s_cbranch_execz .LBB1_215
; %bb.208:                              ;   in Loop: Header=BB1_143 Depth=1
	global_load_dwordx2 v[16:17], v3, s[10:11] offset:32 glc
	global_load_dwordx2 v[6:7], v3, s[10:11] offset:40
	v_mov_b32_e32 v14, s16
	v_mov_b32_e32 v15, s17
	s_waitcnt vmcnt(0)
	v_readfirstlane_b32 s20, v6
	v_readfirstlane_b32 s21, v7
	s_and_b64 s[20:21], s[20:21], s[16:17]
	s_mul_i32 s21, s21, 24
	s_mul_hi_u32 s22, s20, 24
	s_mul_i32 s20, s20, 24
	s_add_i32 s21, s22, s21
	v_mov_b32_e32 v2, s21
	v_add_co_u32_e32 v10, vcc, s20, v26
	v_addc_co_u32_e32 v11, vcc, v27, v2, vcc
	global_store_dwordx2 v[10:11], v[16:17], off
	s_waitcnt vmcnt(0)
	global_atomic_cmpswap_x2 v[8:9], v3, v[14:17], s[10:11] offset:32 glc
	s_waitcnt vmcnt(0)
	v_cmp_ne_u64_e32 vcc, v[8:9], v[16:17]
	s_and_saveexec_b64 s[20:21], vcc
	s_cbranch_execz .LBB1_211
; %bb.209:                              ;   in Loop: Header=BB1_143 Depth=1
	s_mov_b64 s[22:23], 0
.LBB1_210:                              ;   Parent Loop BB1_143 Depth=1
                                        ; =>  This Inner Loop Header: Depth=2
	s_sleep 1
	global_store_dwordx2 v[10:11], v[8:9], off
	v_mov_b32_e32 v6, s16
	v_mov_b32_e32 v7, s17
	s_waitcnt vmcnt(0)
	global_atomic_cmpswap_x2 v[6:7], v3, v[6:9], s[10:11] offset:32 glc
	s_waitcnt vmcnt(0)
	v_cmp_eq_u64_e32 vcc, v[6:7], v[8:9]
	v_mov_b32_e32 v9, v7
	s_or_b64 s[22:23], vcc, s[22:23]
	v_mov_b32_e32 v8, v6
	s_andn2_b64 exec, exec, s[22:23]
	s_cbranch_execnz .LBB1_210
.LBB1_211:                              ;   in Loop: Header=BB1_143 Depth=1
	s_or_b64 exec, exec, s[20:21]
	global_load_dwordx2 v[6:7], v3, s[10:11] offset:16
	s_mov_b64 s[22:23], exec
	v_mbcnt_lo_u32_b32 v2, s22, 0
	v_mbcnt_hi_u32_b32 v2, s23, v2
	v_cmp_eq_u32_e32 vcc, 0, v2
	s_and_saveexec_b64 s[20:21], vcc
	s_cbranch_execz .LBB1_213
; %bb.212:                              ;   in Loop: Header=BB1_143 Depth=1
	s_bcnt1_i32_b64 s22, s[22:23]
	v_mov_b32_e32 v2, s22
	s_waitcnt vmcnt(0)
	global_atomic_add_x2 v[6:7], v[2:3], off offset:8
.LBB1_213:                              ;   in Loop: Header=BB1_143 Depth=1
	s_or_b64 exec, exec, s[20:21]
	s_waitcnt vmcnt(0)
	global_load_dwordx2 v[8:9], v[6:7], off offset:16
	s_waitcnt vmcnt(0)
	v_cmp_eq_u64_e32 vcc, 0, v[8:9]
	s_cbranch_vccnz .LBB1_215
; %bb.214:                              ;   in Loop: Header=BB1_143 Depth=1
	global_load_dword v2, v[6:7], off offset:24
	s_waitcnt vmcnt(0)
	v_readfirstlane_b32 s20, v2
	s_and_b32 m0, s20, 0xffffff
	global_store_dwordx2 v[8:9], v[2:3], off
	s_sendmsg sendmsg(MSG_INTERRUPT)
.LBB1_215:                              ;   in Loop: Header=BB1_143 Depth=1
	s_or_b64 exec, exec, s[18:19]
	v_add_co_u32_e32 v6, vcc, v28, v35
	v_addc_co_u32_e32 v7, vcc, 0, v29, vcc
	s_branch .LBB1_219
.LBB1_216:                              ;   in Loop: Header=BB1_219 Depth=2
	s_or_b64 exec, exec, s[18:19]
	v_readfirstlane_b32 s18, v2
	s_cmp_eq_u32 s18, 0
	s_cbranch_scc1 .LBB1_218
; %bb.217:                              ;   in Loop: Header=BB1_219 Depth=2
	s_sleep 1
	s_cbranch_execnz .LBB1_219
	s_branch .LBB1_221
.LBB1_218:                              ;   in Loop: Header=BB1_143 Depth=1
	s_branch .LBB1_221
.LBB1_219:                              ;   Parent Loop BB1_143 Depth=1
                                        ; =>  This Inner Loop Header: Depth=2
	v_mov_b32_e32 v2, 1
	s_and_saveexec_b64 s[18:19], s[4:5]
	s_cbranch_execz .LBB1_216
; %bb.220:                              ;   in Loop: Header=BB1_219 Depth=2
	global_load_dword v2, v[30:31], off offset:20 glc
	s_waitcnt vmcnt(0)
	buffer_wbinvl1_vol
	v_and_b32_e32 v2, 1, v2
	s_branch .LBB1_216
.LBB1_221:                              ;   in Loop: Header=BB1_143 Depth=1
	global_load_dwordx2 v[6:7], v[6:7], off
	s_and_saveexec_b64 s[18:19], s[4:5]
	s_cbranch_execz .LBB1_142
; %bb.222:                              ;   in Loop: Header=BB1_143 Depth=1
	global_load_dwordx2 v[8:9], v3, s[10:11] offset:40
	global_load_dwordx2 v[18:19], v3, s[10:11] offset:24 glc
	global_load_dwordx2 v[10:11], v3, s[10:11]
	s_waitcnt vmcnt(2)
	v_readfirstlane_b32 s20, v8
	v_readfirstlane_b32 s21, v9
	s_add_u32 s22, s20, 1
	s_addc_u32 s23, s21, 0
	s_add_u32 s4, s22, s16
	s_addc_u32 s5, s23, s17
	s_cmp_eq_u64 s[4:5], 0
	s_cselect_b32 s5, s23, s5
	s_cselect_b32 s4, s22, s4
	s_and_b64 s[16:17], s[4:5], s[20:21]
	s_mul_i32 s17, s17, 24
	s_mul_hi_u32 s20, s16, 24
	s_mul_i32 s16, s16, 24
	s_add_i32 s17, s20, s17
	v_mov_b32_e32 v2, s17
	s_waitcnt vmcnt(0)
	v_add_co_u32_e32 v14, vcc, s16, v10
	v_addc_co_u32_e32 v15, vcc, v11, v2, vcc
	v_mov_b32_e32 v16, s4
	global_store_dwordx2 v[14:15], v[18:19], off
	v_mov_b32_e32 v17, s5
	s_waitcnt vmcnt(0)
	global_atomic_cmpswap_x2 v[10:11], v3, v[16:19], s[10:11] offset:24 glc
	s_waitcnt vmcnt(0)
	v_cmp_ne_u64_e32 vcc, v[10:11], v[18:19]
	s_and_b64 exec, exec, vcc
	s_cbranch_execz .LBB1_142
; %bb.223:                              ;   in Loop: Header=BB1_143 Depth=1
	s_mov_b64 s[16:17], 0
.LBB1_224:                              ;   Parent Loop BB1_143 Depth=1
                                        ; =>  This Inner Loop Header: Depth=2
	s_sleep 1
	global_store_dwordx2 v[14:15], v[10:11], off
	v_mov_b32_e32 v8, s4
	v_mov_b32_e32 v9, s5
	s_waitcnt vmcnt(0)
	global_atomic_cmpswap_x2 v[8:9], v3, v[8:11], s[10:11] offset:24 glc
	s_waitcnt vmcnt(0)
	v_cmp_eq_u64_e32 vcc, v[8:9], v[10:11]
	v_mov_b32_e32 v11, v9
	s_or_b64 s[16:17], vcc, s[16:17]
	v_mov_b32_e32 v10, v8
	s_andn2_b64 exec, exec, s[16:17]
	s_cbranch_execnz .LBB1_224
	s_branch .LBB1_142
.LBB1_225:
                                        ; implicit-def: $vgpr6_vgpr7
	s_cbranch_execnz .LBB1_227
	s_branch .LBB1_253
.LBB1_226:
	s_branch .LBB1_253
.LBB1_227:
	v_readfirstlane_b32 s4, v34
	v_mov_b32_e32 v10, 0
	v_mov_b32_e32 v11, 0
	v_cmp_eq_u32_e64 s[4:5], s4, v34
	s_and_saveexec_b64 s[6:7], s[4:5]
	s_cbranch_execz .LBB1_233
; %bb.228:
	v_mov_b32_e32 v2, 0
	global_load_dwordx2 v[8:9], v2, s[10:11] offset:24 glc
	s_waitcnt vmcnt(0)
	buffer_wbinvl1_vol
	global_load_dwordx2 v[6:7], v2, s[10:11] offset:40
	global_load_dwordx2 v[10:11], v2, s[10:11]
	s_waitcnt vmcnt(1)
	v_and_b32_e32 v3, v6, v8
	v_and_b32_e32 v6, v7, v9
	v_mul_lo_u32 v6, v6, 24
	v_mul_hi_u32 v7, v3, 24
	v_mul_lo_u32 v3, v3, 24
	v_add_u32_e32 v7, v7, v6
	s_waitcnt vmcnt(0)
	v_add_co_u32_e32 v6, vcc, v10, v3
	v_addc_co_u32_e32 v7, vcc, v11, v7, vcc
	global_load_dwordx2 v[6:7], v[6:7], off glc
	s_waitcnt vmcnt(0)
	global_atomic_cmpswap_x2 v[10:11], v2, v[6:9], s[10:11] offset:24 glc
	s_waitcnt vmcnt(0)
	buffer_wbinvl1_vol
	v_cmp_ne_u64_e32 vcc, v[10:11], v[8:9]
	s_and_saveexec_b64 s[12:13], vcc
	s_cbranch_execz .LBB1_232
; %bb.229:
	s_mov_b64 s[14:15], 0
.LBB1_230:                              ; =>This Inner Loop Header: Depth=1
	s_sleep 1
	global_load_dwordx2 v[6:7], v2, s[10:11] offset:40
	global_load_dwordx2 v[12:13], v2, s[10:11]
	v_mov_b32_e32 v8, v10
	v_mov_b32_e32 v9, v11
	s_waitcnt vmcnt(1)
	v_and_b32_e32 v3, v6, v8
	s_waitcnt vmcnt(0)
	v_mad_u64_u32 v[10:11], s[16:17], v3, 24, v[12:13]
	v_and_b32_e32 v6, v7, v9
	v_mov_b32_e32 v3, v11
	v_mad_u64_u32 v[6:7], s[16:17], v6, 24, v[3:4]
	v_mov_b32_e32 v11, v6
	global_load_dwordx2 v[6:7], v[10:11], off glc
	s_waitcnt vmcnt(0)
	global_atomic_cmpswap_x2 v[10:11], v2, v[6:9], s[10:11] offset:24 glc
	s_waitcnt vmcnt(0)
	buffer_wbinvl1_vol
	v_cmp_eq_u64_e32 vcc, v[10:11], v[8:9]
	s_or_b64 s[14:15], vcc, s[14:15]
	s_andn2_b64 exec, exec, s[14:15]
	s_cbranch_execnz .LBB1_230
; %bb.231:
	s_or_b64 exec, exec, s[14:15]
.LBB1_232:
	s_or_b64 exec, exec, s[12:13]
.LBB1_233:
	s_or_b64 exec, exec, s[6:7]
	v_mov_b32_e32 v2, 0
	global_load_dwordx2 v[12:13], v2, s[10:11] offset:40
	global_load_dwordx4 v[6:9], v2, s[10:11]
	v_readfirstlane_b32 s7, v11
	v_readfirstlane_b32 s6, v10
	s_mov_b64 s[12:13], exec
	s_waitcnt vmcnt(1)
	v_readfirstlane_b32 s14, v12
	v_readfirstlane_b32 s15, v13
	s_and_b64 s[14:15], s[14:15], s[6:7]
	s_mul_i32 s16, s15, 24
	s_mul_hi_u32 s17, s14, 24
	s_mul_i32 s18, s14, 24
	s_add_i32 s16, s17, s16
	v_mov_b32_e32 v3, s16
	s_waitcnt vmcnt(0)
	v_add_co_u32_e32 v10, vcc, s18, v6
	v_addc_co_u32_e32 v11, vcc, v7, v3, vcc
	s_and_saveexec_b64 s[16:17], s[4:5]
	s_cbranch_execz .LBB1_235
; %bb.234:
	v_mov_b32_e32 v12, s12
	v_mov_b32_e32 v13, s13
	v_mov_b32_e32 v14, 2
	v_mov_b32_e32 v15, 1
	global_store_dwordx4 v[10:11], v[12:15], off offset:8
.LBB1_235:
	s_or_b64 exec, exec, s[16:17]
	s_lshl_b64 s[12:13], s[14:15], 12
	v_mov_b32_e32 v3, s13
	v_add_co_u32_e32 v12, vcc, s12, v8
	v_addc_co_u32_e32 v13, vcc, v9, v3, vcc
	s_movk_i32 s12, 0xff1f
	v_and_or_b32 v0, v0, s12, 32
	s_mov_b32 s12, 0
	v_mov_b32_e32 v3, v2
	v_readfirstlane_b32 s16, v12
	v_readfirstlane_b32 s17, v13
	v_add_co_u32_e32 v8, vcc, v12, v35
	s_mov_b32 s13, s12
	s_mov_b32 s14, s12
	;; [unrolled: 1-line block ×3, first 2 shown]
	s_nop 0
	global_store_dwordx4 v35, v[0:3], s[16:17]
	v_addc_co_u32_e32 v9, vcc, 0, v13, vcc
	v_mov_b32_e32 v0, s12
	v_mov_b32_e32 v1, s13
	;; [unrolled: 1-line block ×4, first 2 shown]
	global_store_dwordx4 v35, v[0:3], s[16:17] offset:16
	global_store_dwordx4 v35, v[0:3], s[16:17] offset:32
	;; [unrolled: 1-line block ×3, first 2 shown]
	s_and_saveexec_b64 s[12:13], s[4:5]
	s_cbranch_execz .LBB1_243
; %bb.236:
	v_mov_b32_e32 v12, 0
	global_load_dwordx2 v[15:16], v12, s[10:11] offset:32 glc
	global_load_dwordx2 v[0:1], v12, s[10:11] offset:40
	v_mov_b32_e32 v13, s6
	v_mov_b32_e32 v14, s7
	s_waitcnt vmcnt(0)
	v_readfirstlane_b32 s14, v0
	v_readfirstlane_b32 s15, v1
	s_and_b64 s[14:15], s[14:15], s[6:7]
	s_mul_i32 s15, s15, 24
	s_mul_hi_u32 s16, s14, 24
	s_mul_i32 s14, s14, 24
	s_add_i32 s15, s16, s15
	v_mov_b32_e32 v0, s15
	v_add_co_u32_e32 v6, vcc, s14, v6
	v_addc_co_u32_e32 v7, vcc, v7, v0, vcc
	global_store_dwordx2 v[6:7], v[15:16], off
	s_waitcnt vmcnt(0)
	global_atomic_cmpswap_x2 v[2:3], v12, v[13:16], s[10:11] offset:32 glc
	s_waitcnt vmcnt(0)
	v_cmp_ne_u64_e32 vcc, v[2:3], v[15:16]
	s_and_saveexec_b64 s[14:15], vcc
	s_cbranch_execz .LBB1_239
; %bb.237:
	s_mov_b64 s[16:17], 0
.LBB1_238:                              ; =>This Inner Loop Header: Depth=1
	s_sleep 1
	global_store_dwordx2 v[6:7], v[2:3], off
	v_mov_b32_e32 v0, s6
	v_mov_b32_e32 v1, s7
	s_waitcnt vmcnt(0)
	global_atomic_cmpswap_x2 v[0:1], v12, v[0:3], s[10:11] offset:32 glc
	s_waitcnt vmcnt(0)
	v_cmp_eq_u64_e32 vcc, v[0:1], v[2:3]
	v_mov_b32_e32 v3, v1
	s_or_b64 s[16:17], vcc, s[16:17]
	v_mov_b32_e32 v2, v0
	s_andn2_b64 exec, exec, s[16:17]
	s_cbranch_execnz .LBB1_238
.LBB1_239:
	s_or_b64 exec, exec, s[14:15]
	v_mov_b32_e32 v3, 0
	global_load_dwordx2 v[0:1], v3, s[10:11] offset:16
	s_mov_b64 s[14:15], exec
	v_mbcnt_lo_u32_b32 v2, s14, 0
	v_mbcnt_hi_u32_b32 v2, s15, v2
	v_cmp_eq_u32_e32 vcc, 0, v2
	s_and_saveexec_b64 s[16:17], vcc
	s_cbranch_execz .LBB1_241
; %bb.240:
	s_bcnt1_i32_b64 s14, s[14:15]
	v_mov_b32_e32 v2, s14
	s_waitcnt vmcnt(0)
	global_atomic_add_x2 v[0:1], v[2:3], off offset:8
.LBB1_241:
	s_or_b64 exec, exec, s[16:17]
	s_waitcnt vmcnt(0)
	global_load_dwordx2 v[2:3], v[0:1], off offset:16
	s_waitcnt vmcnt(0)
	v_cmp_eq_u64_e32 vcc, 0, v[2:3]
	s_cbranch_vccnz .LBB1_243
; %bb.242:
	global_load_dword v0, v[0:1], off offset:24
	v_mov_b32_e32 v1, 0
	s_waitcnt vmcnt(0)
	v_readfirstlane_b32 s14, v0
	s_and_b32 m0, s14, 0xffffff
	global_store_dwordx2 v[2:3], v[0:1], off
	s_sendmsg sendmsg(MSG_INTERRUPT)
.LBB1_243:
	s_or_b64 exec, exec, s[12:13]
	s_branch .LBB1_247
.LBB1_244:                              ;   in Loop: Header=BB1_247 Depth=1
	s_or_b64 exec, exec, s[12:13]
	v_readfirstlane_b32 s12, v0
	s_cmp_eq_u32 s12, 0
	s_cbranch_scc1 .LBB1_246
; %bb.245:                              ;   in Loop: Header=BB1_247 Depth=1
	s_sleep 1
	s_cbranch_execnz .LBB1_247
	s_branch .LBB1_249
.LBB1_246:
	s_branch .LBB1_249
.LBB1_247:                              ; =>This Inner Loop Header: Depth=1
	v_mov_b32_e32 v0, 1
	s_and_saveexec_b64 s[12:13], s[4:5]
	s_cbranch_execz .LBB1_244
; %bb.248:                              ;   in Loop: Header=BB1_247 Depth=1
	global_load_dword v0, v[10:11], off offset:20 glc
	s_waitcnt vmcnt(0)
	buffer_wbinvl1_vol
	v_and_b32_e32 v0, 1, v0
	s_branch .LBB1_244
.LBB1_249:
	global_load_dwordx2 v[6:7], v[8:9], off
	s_and_saveexec_b64 s[12:13], s[4:5]
	s_cbranch_execz .LBB1_252
; %bb.250:
	v_mov_b32_e32 v10, 0
	global_load_dwordx2 v[0:1], v10, s[10:11] offset:40
	global_load_dwordx2 v[13:14], v10, s[10:11] offset:24 glc
	global_load_dwordx2 v[2:3], v10, s[10:11]
	s_waitcnt vmcnt(2)
	v_readfirstlane_b32 s14, v0
	v_readfirstlane_b32 s15, v1
	s_add_u32 s16, s14, 1
	s_addc_u32 s17, s15, 0
	s_add_u32 s4, s16, s6
	s_addc_u32 s5, s17, s7
	s_cmp_eq_u64 s[4:5], 0
	s_cselect_b32 s5, s17, s5
	s_cselect_b32 s4, s16, s4
	s_and_b64 s[6:7], s[4:5], s[14:15]
	s_mul_i32 s7, s7, 24
	s_mul_hi_u32 s14, s6, 24
	s_mul_i32 s6, s6, 24
	s_add_i32 s7, s14, s7
	v_mov_b32_e32 v0, s7
	s_waitcnt vmcnt(0)
	v_add_co_u32_e32 v8, vcc, s6, v2
	v_addc_co_u32_e32 v9, vcc, v3, v0, vcc
	v_mov_b32_e32 v11, s4
	global_store_dwordx2 v[8:9], v[13:14], off
	v_mov_b32_e32 v12, s5
	s_waitcnt vmcnt(0)
	global_atomic_cmpswap_x2 v[2:3], v10, v[11:14], s[10:11] offset:24 glc
	s_mov_b64 s[6:7], 0
	s_waitcnt vmcnt(0)
	v_cmp_ne_u64_e32 vcc, v[2:3], v[13:14]
	s_and_b64 exec, exec, vcc
	s_cbranch_execz .LBB1_252
.LBB1_251:                              ; =>This Inner Loop Header: Depth=1
	s_sleep 1
	global_store_dwordx2 v[8:9], v[2:3], off
	v_mov_b32_e32 v0, s4
	v_mov_b32_e32 v1, s5
	s_waitcnt vmcnt(0)
	global_atomic_cmpswap_x2 v[0:1], v10, v[0:3], s[10:11] offset:24 glc
	s_waitcnt vmcnt(0)
	v_cmp_eq_u64_e32 vcc, v[0:1], v[2:3]
	v_mov_b32_e32 v3, v1
	s_or_b64 s[6:7], vcc, s[6:7]
	v_mov_b32_e32 v2, v0
	s_andn2_b64 exec, exec, s[6:7]
	s_cbranch_execnz .LBB1_251
.LBB1_252:
	s_or_b64 exec, exec, s[12:13]
.LBB1_253:
	v_readfirstlane_b32 s4, v34
	v_mov_b32_e32 v10, 0
	v_mov_b32_e32 v11, 0
	v_cmp_eq_u32_e64 s[4:5], s4, v34
	s_and_saveexec_b64 s[6:7], s[4:5]
	s_cbranch_execz .LBB1_259
; %bb.254:
	s_waitcnt vmcnt(0)
	v_mov_b32_e32 v0, 0
	global_load_dwordx2 v[12:13], v0, s[10:11] offset:24 glc
	s_waitcnt vmcnt(0)
	buffer_wbinvl1_vol
	global_load_dwordx2 v[1:2], v0, s[10:11] offset:40
	global_load_dwordx2 v[8:9], v0, s[10:11]
	s_waitcnt vmcnt(1)
	v_and_b32_e32 v1, v1, v12
	v_and_b32_e32 v2, v2, v13
	v_mul_lo_u32 v2, v2, 24
	v_mul_hi_u32 v3, v1, 24
	v_mul_lo_u32 v1, v1, 24
	v_add_u32_e32 v2, v3, v2
	s_waitcnt vmcnt(0)
	v_add_co_u32_e32 v1, vcc, v8, v1
	v_addc_co_u32_e32 v2, vcc, v9, v2, vcc
	global_load_dwordx2 v[10:11], v[1:2], off glc
	s_waitcnt vmcnt(0)
	global_atomic_cmpswap_x2 v[10:11], v0, v[10:13], s[10:11] offset:24 glc
	s_waitcnt vmcnt(0)
	buffer_wbinvl1_vol
	v_cmp_ne_u64_e32 vcc, v[10:11], v[12:13]
	s_and_saveexec_b64 s[12:13], vcc
	s_cbranch_execz .LBB1_258
; %bb.255:
	s_mov_b64 s[14:15], 0
.LBB1_256:                              ; =>This Inner Loop Header: Depth=1
	s_sleep 1
	global_load_dwordx2 v[1:2], v0, s[10:11] offset:40
	global_load_dwordx2 v[8:9], v0, s[10:11]
	v_mov_b32_e32 v13, v11
	v_mov_b32_e32 v12, v10
	s_waitcnt vmcnt(1)
	v_and_b32_e32 v1, v1, v12
	s_waitcnt vmcnt(0)
	v_mad_u64_u32 v[8:9], s[16:17], v1, 24, v[8:9]
	v_and_b32_e32 v2, v2, v13
	v_mov_b32_e32 v1, v9
	v_mad_u64_u32 v[1:2], s[16:17], v2, 24, v[1:2]
	v_mov_b32_e32 v9, v1
	global_load_dwordx2 v[10:11], v[8:9], off glc
	s_waitcnt vmcnt(0)
	global_atomic_cmpswap_x2 v[10:11], v0, v[10:13], s[10:11] offset:24 glc
	s_waitcnt vmcnt(0)
	buffer_wbinvl1_vol
	v_cmp_eq_u64_e32 vcc, v[10:11], v[12:13]
	s_or_b64 s[14:15], vcc, s[14:15]
	s_andn2_b64 exec, exec, s[14:15]
	s_cbranch_execnz .LBB1_256
; %bb.257:
	s_or_b64 exec, exec, s[14:15]
.LBB1_258:
	s_or_b64 exec, exec, s[12:13]
.LBB1_259:
	s_or_b64 exec, exec, s[6:7]
	v_mov_b32_e32 v9, 0
	global_load_dwordx2 v[12:13], v9, s[10:11] offset:40
	global_load_dwordx4 v[0:3], v9, s[10:11]
	v_readfirstlane_b32 s7, v11
	v_readfirstlane_b32 s6, v10
	s_mov_b64 s[12:13], exec
	s_waitcnt vmcnt(1)
	v_readfirstlane_b32 s14, v12
	v_readfirstlane_b32 s15, v13
	s_and_b64 s[14:15], s[14:15], s[6:7]
	s_mul_i32 s16, s15, 24
	s_mul_hi_u32 s17, s14, 24
	s_mul_i32 s18, s14, 24
	s_add_i32 s16, s17, s16
	v_mov_b32_e32 v8, s16
	s_waitcnt vmcnt(0)
	v_add_co_u32_e32 v10, vcc, s18, v0
	v_addc_co_u32_e32 v11, vcc, v1, v8, vcc
	s_and_saveexec_b64 s[16:17], s[4:5]
	s_cbranch_execz .LBB1_261
; %bb.260:
	v_mov_b32_e32 v12, s12
	v_mov_b32_e32 v13, s13
	v_mov_b32_e32 v14, 2
	v_mov_b32_e32 v15, 1
	global_store_dwordx4 v[10:11], v[12:15], off offset:8
.LBB1_261:
	s_or_b64 exec, exec, s[16:17]
	s_lshl_b64 s[12:13], s[14:15], 12
	v_mov_b32_e32 v8, s13
	v_add_co_u32_e32 v2, vcc, s12, v2
	v_addc_co_u32_e32 v3, vcc, v3, v8, vcc
	s_movk_i32 s12, 0xff1f
	v_and_or_b32 v6, v6, s12, 32
	s_mov_b32 s12, 0
	v_mov_b32_e32 v8, 0x331
	v_readfirstlane_b32 s16, v2
	v_readfirstlane_b32 s17, v3
	v_add_co_u32_e32 v12, vcc, v2, v35
	s_mov_b32 s13, s12
	s_mov_b32 s14, s12
	;; [unrolled: 1-line block ×3, first 2 shown]
	s_nop 0
	global_store_dwordx4 v35, v[6:9], s[16:17]
	v_addc_co_u32_e32 v13, vcc, 0, v3, vcc
	v_mov_b32_e32 v6, s12
	v_mov_b32_e32 v7, s13
	;; [unrolled: 1-line block ×4, first 2 shown]
	global_store_dwordx4 v35, v[6:9], s[16:17] offset:16
	global_store_dwordx4 v35, v[6:9], s[16:17] offset:32
	;; [unrolled: 1-line block ×3, first 2 shown]
	s_and_saveexec_b64 s[12:13], s[4:5]
	s_cbranch_execz .LBB1_269
; %bb.262:
	v_mov_b32_e32 v8, 0
	global_load_dwordx2 v[16:17], v8, s[10:11] offset:32 glc
	global_load_dwordx2 v[2:3], v8, s[10:11] offset:40
	v_mov_b32_e32 v14, s6
	v_mov_b32_e32 v15, s7
	s_waitcnt vmcnt(0)
	v_readfirstlane_b32 s14, v2
	v_readfirstlane_b32 s15, v3
	s_and_b64 s[14:15], s[14:15], s[6:7]
	s_mul_i32 s15, s15, 24
	s_mul_hi_u32 s16, s14, 24
	s_mul_i32 s14, s14, 24
	s_add_i32 s15, s16, s15
	v_mov_b32_e32 v2, s15
	v_add_co_u32_e32 v6, vcc, s14, v0
	v_addc_co_u32_e32 v7, vcc, v1, v2, vcc
	global_store_dwordx2 v[6:7], v[16:17], off
	s_waitcnt vmcnt(0)
	global_atomic_cmpswap_x2 v[2:3], v8, v[14:17], s[10:11] offset:32 glc
	s_waitcnt vmcnt(0)
	v_cmp_ne_u64_e32 vcc, v[2:3], v[16:17]
	s_and_saveexec_b64 s[14:15], vcc
	s_cbranch_execz .LBB1_265
; %bb.263:
	s_mov_b64 s[16:17], 0
.LBB1_264:                              ; =>This Inner Loop Header: Depth=1
	s_sleep 1
	global_store_dwordx2 v[6:7], v[2:3], off
	v_mov_b32_e32 v0, s6
	v_mov_b32_e32 v1, s7
	s_waitcnt vmcnt(0)
	global_atomic_cmpswap_x2 v[0:1], v8, v[0:3], s[10:11] offset:32 glc
	s_waitcnt vmcnt(0)
	v_cmp_eq_u64_e32 vcc, v[0:1], v[2:3]
	v_mov_b32_e32 v3, v1
	s_or_b64 s[16:17], vcc, s[16:17]
	v_mov_b32_e32 v2, v0
	s_andn2_b64 exec, exec, s[16:17]
	s_cbranch_execnz .LBB1_264
.LBB1_265:
	s_or_b64 exec, exec, s[14:15]
	v_mov_b32_e32 v3, 0
	global_load_dwordx2 v[0:1], v3, s[10:11] offset:16
	s_mov_b64 s[14:15], exec
	v_mbcnt_lo_u32_b32 v2, s14, 0
	v_mbcnt_hi_u32_b32 v2, s15, v2
	v_cmp_eq_u32_e32 vcc, 0, v2
	s_and_saveexec_b64 s[16:17], vcc
	s_cbranch_execz .LBB1_267
; %bb.266:
	s_bcnt1_i32_b64 s14, s[14:15]
	v_mov_b32_e32 v2, s14
	s_waitcnt vmcnt(0)
	global_atomic_add_x2 v[0:1], v[2:3], off offset:8
.LBB1_267:
	s_or_b64 exec, exec, s[16:17]
	s_waitcnt vmcnt(0)
	global_load_dwordx2 v[2:3], v[0:1], off offset:16
	s_waitcnt vmcnt(0)
	v_cmp_eq_u64_e32 vcc, 0, v[2:3]
	s_cbranch_vccnz .LBB1_269
; %bb.268:
	global_load_dword v0, v[0:1], off offset:24
	v_mov_b32_e32 v1, 0
	s_waitcnt vmcnt(0)
	v_readfirstlane_b32 s14, v0
	s_and_b32 m0, s14, 0xffffff
	global_store_dwordx2 v[2:3], v[0:1], off
	s_sendmsg sendmsg(MSG_INTERRUPT)
.LBB1_269:
	s_or_b64 exec, exec, s[12:13]
	s_branch .LBB1_273
.LBB1_270:                              ;   in Loop: Header=BB1_273 Depth=1
	s_or_b64 exec, exec, s[12:13]
	v_readfirstlane_b32 s12, v0
	s_cmp_eq_u32 s12, 0
	s_cbranch_scc1 .LBB1_272
; %bb.271:                              ;   in Loop: Header=BB1_273 Depth=1
	s_sleep 1
	s_cbranch_execnz .LBB1_273
	s_branch .LBB1_275
.LBB1_272:
	s_branch .LBB1_275
.LBB1_273:                              ; =>This Inner Loop Header: Depth=1
	v_mov_b32_e32 v0, 1
	s_and_saveexec_b64 s[12:13], s[4:5]
	s_cbranch_execz .LBB1_270
; %bb.274:                              ;   in Loop: Header=BB1_273 Depth=1
	global_load_dword v0, v[10:11], off offset:20 glc
	s_waitcnt vmcnt(0)
	buffer_wbinvl1_vol
	v_and_b32_e32 v0, 1, v0
	s_branch .LBB1_270
.LBB1_275:
	global_load_dwordx2 v[0:1], v[12:13], off
	s_and_saveexec_b64 s[12:13], s[4:5]
	s_cbranch_execz .LBB1_278
; %bb.276:
	v_mov_b32_e32 v10, 0
	global_load_dwordx2 v[2:3], v10, s[10:11] offset:40
	global_load_dwordx2 v[13:14], v10, s[10:11] offset:24 glc
	global_load_dwordx2 v[6:7], v10, s[10:11]
	s_waitcnt vmcnt(2)
	v_readfirstlane_b32 s14, v2
	v_readfirstlane_b32 s15, v3
	s_add_u32 s16, s14, 1
	s_addc_u32 s17, s15, 0
	s_add_u32 s4, s16, s6
	s_addc_u32 s5, s17, s7
	s_cmp_eq_u64 s[4:5], 0
	s_cselect_b32 s5, s17, s5
	s_cselect_b32 s4, s16, s4
	s_and_b64 s[6:7], s[4:5], s[14:15]
	s_mul_i32 s7, s7, 24
	s_mul_hi_u32 s14, s6, 24
	s_mul_i32 s6, s6, 24
	s_add_i32 s7, s14, s7
	v_mov_b32_e32 v3, s7
	s_waitcnt vmcnt(0)
	v_add_co_u32_e32 v2, vcc, s6, v6
	v_addc_co_u32_e32 v3, vcc, v7, v3, vcc
	v_mov_b32_e32 v11, s4
	global_store_dwordx2 v[2:3], v[13:14], off
	v_mov_b32_e32 v12, s5
	s_waitcnt vmcnt(0)
	global_atomic_cmpswap_x2 v[8:9], v10, v[11:14], s[10:11] offset:24 glc
	s_mov_b64 s[6:7], 0
	s_waitcnt vmcnt(0)
	v_cmp_ne_u64_e32 vcc, v[8:9], v[13:14]
	s_and_b64 exec, exec, vcc
	s_cbranch_execz .LBB1_278
.LBB1_277:                              ; =>This Inner Loop Header: Depth=1
	s_sleep 1
	global_store_dwordx2 v[2:3], v[8:9], off
	v_mov_b32_e32 v6, s4
	v_mov_b32_e32 v7, s5
	s_waitcnt vmcnt(0)
	global_atomic_cmpswap_x2 v[6:7], v10, v[6:9], s[10:11] offset:24 glc
	s_waitcnt vmcnt(0)
	v_cmp_eq_u64_e32 vcc, v[6:7], v[8:9]
	v_mov_b32_e32 v9, v7
	s_or_b64 s[6:7], vcc, s[6:7]
	v_mov_b32_e32 v8, v6
	s_andn2_b64 exec, exec, s[6:7]
	s_cbranch_execnz .LBB1_277
.LBB1_278:
	s_or_b64 exec, exec, s[12:13]
	v_mov_b32_e32 v7, v5
	s_mov_b64 s[4:5], 0
	v_mov_b32_e32 v6, v4
.LBB1_279:                              ; =>This Inner Loop Header: Depth=1
	global_load_ubyte v8, v[6:7], off
	v_add_co_u32_e32 v2, vcc, 1, v6
	v_addc_co_u32_e32 v3, vcc, 0, v7, vcc
	v_mov_b32_e32 v7, v3
	v_mov_b32_e32 v6, v2
	s_waitcnt vmcnt(0)
	v_cmp_eq_u16_e32 vcc, 0, v8
	s_or_b64 s[4:5], vcc, s[4:5]
	s_andn2_b64 exec, exec, s[4:5]
	s_cbranch_execnz .LBB1_279
; %bb.280:
	s_or_b64 exec, exec, s[4:5]
	v_cmp_ne_u64_e32 vcc, 0, v[4:5]
	s_mov_b64 s[12:13], 0
	s_and_saveexec_b64 s[4:5], vcc
	s_xor_b64 s[6:7], exec, s[4:5]
	s_cbranch_execz .LBB1_366
; %bb.281:
	v_sub_u32_e32 v26, v2, v4
	v_ashrrev_i32_e32 v27, 31, v26
	v_and_b32_e32 v36, 2, v0
	v_mov_b32_e32 v29, 0
	v_and_b32_e32 v0, -3, v0
	s_mov_b32 s22, 0
	s_movk_i32 s23, 0x1e0
	v_mov_b32_e32 v8, 2
	v_mov_b32_e32 v9, 1
	s_branch .LBB1_283
.LBB1_282:                              ;   in Loop: Header=BB1_283 Depth=1
	s_or_b64 exec, exec, s[16:17]
	v_sub_co_u32_e32 v26, vcc, v26, v30
	v_subb_co_u32_e32 v27, vcc, v27, v31, vcc
	v_cmp_eq_u64_e32 vcc, 0, v[26:27]
	s_or_b64 s[12:13], vcc, s[12:13]
	v_add_co_u32_e32 v4, vcc, v4, v30
	v_addc_co_u32_e32 v5, vcc, v5, v31, vcc
	s_andn2_b64 exec, exec, s[12:13]
	s_cbranch_execz .LBB1_365
.LBB1_283:                              ; =>This Loop Header: Depth=1
                                        ;     Child Loop BB1_286 Depth 2
                                        ;     Child Loop BB1_294 Depth 2
	;; [unrolled: 1-line block ×11, first 2 shown]
	v_cmp_gt_u64_e32 vcc, 56, v[26:27]
	v_add_co_u32_e64 v12, s[4:5], 8, v4
	v_cndmask_b32_e32 v31, 0, v27, vcc
	v_cndmask_b32_e32 v30, 56, v26, vcc
	v_cmp_gt_u64_e32 vcc, 8, v[26:27]
	v_addc_co_u32_e64 v13, s[4:5], 0, v5, s[4:5]
	s_and_saveexec_b64 s[4:5], vcc
	s_xor_b64 s[4:5], exec, s[4:5]
	s_cbranch_execz .LBB1_289
; %bb.284:                              ;   in Loop: Header=BB1_283 Depth=1
	v_mov_b32_e32 v2, 0
	v_cmp_ne_u64_e32 vcc, 0, v[26:27]
	v_mov_b32_e32 v3, 0
	s_and_saveexec_b64 s[14:15], vcc
	s_cbranch_execz .LBB1_288
; %bb.285:                              ;   in Loop: Header=BB1_283 Depth=1
	v_lshlrev_b64 v[6:7], 3, v[30:31]
	v_mov_b32_e32 v2, 0
	v_mov_b32_e32 v11, v5
	s_mov_b64 s[16:17], 0
	v_mov_b32_e32 v3, 0
	v_mov_b32_e32 v10, v4
	s_mov_b64 s[18:19], 0
.LBB1_286:                              ;   Parent Loop BB1_283 Depth=1
                                        ; =>  This Inner Loop Header: Depth=2
	global_load_ubyte v7, v[10:11], off
	v_mov_b32_e32 v13, s22
	v_add_co_u32_e32 v10, vcc, 1, v10
	v_addc_co_u32_e32 v11, vcc, 0, v11, vcc
	s_waitcnt vmcnt(0)
	v_and_b32_e32 v12, 0xffff, v7
	v_lshlrev_b64 v[12:13], s18, v[12:13]
	s_add_u32 s18, s18, 8
	s_addc_u32 s19, s19, 0
	v_cmp_eq_u32_e32 vcc, s18, v6
	v_or_b32_e32 v3, v13, v3
	s_or_b64 s[16:17], vcc, s[16:17]
	v_or_b32_e32 v2, v12, v2
	s_andn2_b64 exec, exec, s[16:17]
	s_cbranch_execnz .LBB1_286
; %bb.287:                              ;   in Loop: Header=BB1_283 Depth=1
	s_or_b64 exec, exec, s[16:17]
.LBB1_288:                              ;   in Loop: Header=BB1_283 Depth=1
	s_or_b64 exec, exec, s[14:15]
	v_mov_b32_e32 v13, v5
	v_mov_b32_e32 v12, v4
.LBB1_289:                              ;   in Loop: Header=BB1_283 Depth=1
	s_or_saveexec_b64 s[4:5], s[4:5]
	v_mov_b32_e32 v14, 0
	s_xor_b64 exec, exec, s[4:5]
	s_cbranch_execz .LBB1_291
; %bb.290:                              ;   in Loop: Header=BB1_283 Depth=1
	global_load_dwordx2 v[2:3], v[4:5], off
	v_add_u32_e32 v14, -8, v30
.LBB1_291:                              ;   in Loop: Header=BB1_283 Depth=1
	s_or_b64 exec, exec, s[4:5]
	v_add_co_u32_e64 v6, s[4:5], 8, v12
	v_cmp_gt_u32_e32 vcc, 8, v14
	v_addc_co_u32_e64 v7, s[4:5], 0, v13, s[4:5]
                                        ; implicit-def: $vgpr10_vgpr11
	s_and_saveexec_b64 s[4:5], vcc
	s_xor_b64 s[4:5], exec, s[4:5]
	s_cbranch_execz .LBB1_297
; %bb.292:                              ;   in Loop: Header=BB1_283 Depth=1
	v_mov_b32_e32 v10, 0
	v_mov_b32_e32 v11, 0
	v_cmp_ne_u32_e32 vcc, 0, v14
	s_and_saveexec_b64 s[14:15], vcc
	s_cbranch_execz .LBB1_296
; %bb.293:                              ;   in Loop: Header=BB1_283 Depth=1
	v_mov_b32_e32 v10, 0
	s_mov_b64 s[16:17], 0
	v_mov_b32_e32 v11, 0
	s_mov_b64 s[18:19], 0
	s_mov_b64 s[20:21], 0
.LBB1_294:                              ;   Parent Loop BB1_283 Depth=1
                                        ; =>  This Inner Loop Header: Depth=2
	v_mov_b32_e32 v7, s21
	v_add_co_u32_e32 v6, vcc, s20, v12
	v_addc_co_u32_e32 v7, vcc, v13, v7, vcc
	global_load_ubyte v6, v[6:7], off
	s_add_u32 s20, s20, 1
	v_mov_b32_e32 v7, s22
	s_addc_u32 s21, s21, 0
	v_cmp_eq_u32_e32 vcc, s20, v14
	s_waitcnt vmcnt(0)
	v_and_b32_e32 v6, 0xffff, v6
	v_lshlrev_b64 v[6:7], s18, v[6:7]
	s_add_u32 s18, s18, 8
	s_addc_u32 s19, s19, 0
	v_or_b32_e32 v11, v7, v11
	s_or_b64 s[16:17], vcc, s[16:17]
	v_or_b32_e32 v10, v6, v10
	s_andn2_b64 exec, exec, s[16:17]
	s_cbranch_execnz .LBB1_294
; %bb.295:                              ;   in Loop: Header=BB1_283 Depth=1
	s_or_b64 exec, exec, s[16:17]
.LBB1_296:                              ;   in Loop: Header=BB1_283 Depth=1
	s_or_b64 exec, exec, s[14:15]
	v_mov_b32_e32 v6, v12
	v_mov_b32_e32 v7, v13
                                        ; implicit-def: $vgpr14
.LBB1_297:                              ;   in Loop: Header=BB1_283 Depth=1
	s_or_saveexec_b64 s[4:5], s[4:5]
	v_mov_b32_e32 v15, 0
	s_xor_b64 exec, exec, s[4:5]
	s_cbranch_execz .LBB1_299
; %bb.298:                              ;   in Loop: Header=BB1_283 Depth=1
	global_load_dwordx2 v[10:11], v[12:13], off
	v_add_u32_e32 v15, -8, v14
.LBB1_299:                              ;   in Loop: Header=BB1_283 Depth=1
	s_or_b64 exec, exec, s[4:5]
	v_add_co_u32_e64 v16, s[4:5], 8, v6
	v_cmp_gt_u32_e32 vcc, 8, v15
	v_addc_co_u32_e64 v17, s[4:5], 0, v7, s[4:5]
	s_and_saveexec_b64 s[4:5], vcc
	s_xor_b64 s[4:5], exec, s[4:5]
	s_cbranch_execz .LBB1_305
; %bb.300:                              ;   in Loop: Header=BB1_283 Depth=1
	v_mov_b32_e32 v12, 0
	v_mov_b32_e32 v13, 0
	v_cmp_ne_u32_e32 vcc, 0, v15
	s_and_saveexec_b64 s[14:15], vcc
	s_cbranch_execz .LBB1_304
; %bb.301:                              ;   in Loop: Header=BB1_283 Depth=1
	v_mov_b32_e32 v12, 0
	s_mov_b64 s[16:17], 0
	v_mov_b32_e32 v13, 0
	s_mov_b64 s[18:19], 0
	s_mov_b64 s[20:21], 0
.LBB1_302:                              ;   Parent Loop BB1_283 Depth=1
                                        ; =>  This Inner Loop Header: Depth=2
	v_mov_b32_e32 v14, s21
	v_add_co_u32_e32 v16, vcc, s20, v6
	v_addc_co_u32_e32 v17, vcc, v7, v14, vcc
	global_load_ubyte v14, v[16:17], off
	s_add_u32 s20, s20, 1
	v_mov_b32_e32 v17, s22
	s_addc_u32 s21, s21, 0
	v_cmp_eq_u32_e32 vcc, s20, v15
	s_waitcnt vmcnt(0)
	v_and_b32_e32 v16, 0xffff, v14
	v_lshlrev_b64 v[16:17], s18, v[16:17]
	s_add_u32 s18, s18, 8
	s_addc_u32 s19, s19, 0
	v_or_b32_e32 v13, v17, v13
	s_or_b64 s[16:17], vcc, s[16:17]
	v_or_b32_e32 v12, v16, v12
	s_andn2_b64 exec, exec, s[16:17]
	s_cbranch_execnz .LBB1_302
; %bb.303:                              ;   in Loop: Header=BB1_283 Depth=1
	s_or_b64 exec, exec, s[16:17]
.LBB1_304:                              ;   in Loop: Header=BB1_283 Depth=1
	s_or_b64 exec, exec, s[14:15]
	v_mov_b32_e32 v17, v7
	v_mov_b32_e32 v16, v6
                                        ; implicit-def: $vgpr15
.LBB1_305:                              ;   in Loop: Header=BB1_283 Depth=1
	s_or_saveexec_b64 s[4:5], s[4:5]
	v_mov_b32_e32 v18, 0
	s_xor_b64 exec, exec, s[4:5]
	s_cbranch_execz .LBB1_307
; %bb.306:                              ;   in Loop: Header=BB1_283 Depth=1
	global_load_dwordx2 v[12:13], v[6:7], off
	v_add_u32_e32 v18, -8, v15
.LBB1_307:                              ;   in Loop: Header=BB1_283 Depth=1
	s_or_b64 exec, exec, s[4:5]
	v_add_co_u32_e64 v6, s[4:5], 8, v16
	v_cmp_gt_u32_e32 vcc, 8, v18
	v_addc_co_u32_e64 v7, s[4:5], 0, v17, s[4:5]
                                        ; implicit-def: $vgpr14_vgpr15
	s_and_saveexec_b64 s[4:5], vcc
	s_xor_b64 s[4:5], exec, s[4:5]
	s_cbranch_execz .LBB1_313
; %bb.308:                              ;   in Loop: Header=BB1_283 Depth=1
	v_mov_b32_e32 v14, 0
	v_mov_b32_e32 v15, 0
	v_cmp_ne_u32_e32 vcc, 0, v18
	s_and_saveexec_b64 s[14:15], vcc
	s_cbranch_execz .LBB1_312
; %bb.309:                              ;   in Loop: Header=BB1_283 Depth=1
	v_mov_b32_e32 v14, 0
	s_mov_b64 s[16:17], 0
	v_mov_b32_e32 v15, 0
	s_mov_b64 s[18:19], 0
	s_mov_b64 s[20:21], 0
.LBB1_310:                              ;   Parent Loop BB1_283 Depth=1
                                        ; =>  This Inner Loop Header: Depth=2
	v_mov_b32_e32 v7, s21
	v_add_co_u32_e32 v6, vcc, s20, v16
	v_addc_co_u32_e32 v7, vcc, v17, v7, vcc
	global_load_ubyte v6, v[6:7], off
	s_add_u32 s20, s20, 1
	v_mov_b32_e32 v7, s22
	s_addc_u32 s21, s21, 0
	v_cmp_eq_u32_e32 vcc, s20, v18
	s_waitcnt vmcnt(0)
	v_and_b32_e32 v6, 0xffff, v6
	v_lshlrev_b64 v[6:7], s18, v[6:7]
	s_add_u32 s18, s18, 8
	s_addc_u32 s19, s19, 0
	v_or_b32_e32 v15, v7, v15
	s_or_b64 s[16:17], vcc, s[16:17]
	v_or_b32_e32 v14, v6, v14
	s_andn2_b64 exec, exec, s[16:17]
	s_cbranch_execnz .LBB1_310
; %bb.311:                              ;   in Loop: Header=BB1_283 Depth=1
	s_or_b64 exec, exec, s[16:17]
.LBB1_312:                              ;   in Loop: Header=BB1_283 Depth=1
	s_or_b64 exec, exec, s[14:15]
	v_mov_b32_e32 v6, v16
	v_mov_b32_e32 v7, v17
                                        ; implicit-def: $vgpr18
.LBB1_313:                              ;   in Loop: Header=BB1_283 Depth=1
	s_or_saveexec_b64 s[4:5], s[4:5]
	v_mov_b32_e32 v19, 0
	s_xor_b64 exec, exec, s[4:5]
	s_cbranch_execz .LBB1_315
; %bb.314:                              ;   in Loop: Header=BB1_283 Depth=1
	global_load_dwordx2 v[14:15], v[16:17], off
	v_add_u32_e32 v19, -8, v18
.LBB1_315:                              ;   in Loop: Header=BB1_283 Depth=1
	s_or_b64 exec, exec, s[4:5]
	v_add_co_u32_e64 v20, s[4:5], 8, v6
	v_cmp_gt_u32_e32 vcc, 8, v19
	v_addc_co_u32_e64 v21, s[4:5], 0, v7, s[4:5]
	s_and_saveexec_b64 s[4:5], vcc
	s_xor_b64 s[4:5], exec, s[4:5]
	s_cbranch_execz .LBB1_321
; %bb.316:                              ;   in Loop: Header=BB1_283 Depth=1
	v_mov_b32_e32 v16, 0
	v_mov_b32_e32 v17, 0
	v_cmp_ne_u32_e32 vcc, 0, v19
	s_and_saveexec_b64 s[14:15], vcc
	s_cbranch_execz .LBB1_320
; %bb.317:                              ;   in Loop: Header=BB1_283 Depth=1
	v_mov_b32_e32 v16, 0
	s_mov_b64 s[16:17], 0
	v_mov_b32_e32 v17, 0
	s_mov_b64 s[18:19], 0
	s_mov_b64 s[20:21], 0
.LBB1_318:                              ;   Parent Loop BB1_283 Depth=1
                                        ; =>  This Inner Loop Header: Depth=2
	v_mov_b32_e32 v18, s21
	v_add_co_u32_e32 v20, vcc, s20, v6
	v_addc_co_u32_e32 v21, vcc, v7, v18, vcc
	global_load_ubyte v18, v[20:21], off
	s_add_u32 s20, s20, 1
	v_mov_b32_e32 v21, s22
	s_addc_u32 s21, s21, 0
	v_cmp_eq_u32_e32 vcc, s20, v19
	s_waitcnt vmcnt(0)
	v_and_b32_e32 v20, 0xffff, v18
	v_lshlrev_b64 v[20:21], s18, v[20:21]
	s_add_u32 s18, s18, 8
	s_addc_u32 s19, s19, 0
	v_or_b32_e32 v17, v21, v17
	s_or_b64 s[16:17], vcc, s[16:17]
	v_or_b32_e32 v16, v20, v16
	s_andn2_b64 exec, exec, s[16:17]
	s_cbranch_execnz .LBB1_318
; %bb.319:                              ;   in Loop: Header=BB1_283 Depth=1
	s_or_b64 exec, exec, s[16:17]
.LBB1_320:                              ;   in Loop: Header=BB1_283 Depth=1
	s_or_b64 exec, exec, s[14:15]
	v_mov_b32_e32 v21, v7
	v_mov_b32_e32 v20, v6
                                        ; implicit-def: $vgpr19
.LBB1_321:                              ;   in Loop: Header=BB1_283 Depth=1
	s_or_saveexec_b64 s[4:5], s[4:5]
	v_mov_b32_e32 v22, 0
	s_xor_b64 exec, exec, s[4:5]
	s_cbranch_execz .LBB1_323
; %bb.322:                              ;   in Loop: Header=BB1_283 Depth=1
	global_load_dwordx2 v[16:17], v[6:7], off
	v_add_u32_e32 v22, -8, v19
.LBB1_323:                              ;   in Loop: Header=BB1_283 Depth=1
	s_or_b64 exec, exec, s[4:5]
	v_add_co_u32_e64 v6, s[4:5], 8, v20
	v_cmp_gt_u32_e32 vcc, 8, v22
	v_addc_co_u32_e64 v7, s[4:5], 0, v21, s[4:5]
                                        ; implicit-def: $vgpr18_vgpr19
	s_and_saveexec_b64 s[4:5], vcc
	s_xor_b64 s[4:5], exec, s[4:5]
	s_cbranch_execz .LBB1_329
; %bb.324:                              ;   in Loop: Header=BB1_283 Depth=1
	v_mov_b32_e32 v18, 0
	v_mov_b32_e32 v19, 0
	v_cmp_ne_u32_e32 vcc, 0, v22
	s_and_saveexec_b64 s[14:15], vcc
	s_cbranch_execz .LBB1_328
; %bb.325:                              ;   in Loop: Header=BB1_283 Depth=1
	v_mov_b32_e32 v18, 0
	s_mov_b64 s[16:17], 0
	v_mov_b32_e32 v19, 0
	s_mov_b64 s[18:19], 0
	s_mov_b64 s[20:21], 0
.LBB1_326:                              ;   Parent Loop BB1_283 Depth=1
                                        ; =>  This Inner Loop Header: Depth=2
	v_mov_b32_e32 v7, s21
	v_add_co_u32_e32 v6, vcc, s20, v20
	v_addc_co_u32_e32 v7, vcc, v21, v7, vcc
	global_load_ubyte v6, v[6:7], off
	s_add_u32 s20, s20, 1
	v_mov_b32_e32 v7, s22
	s_addc_u32 s21, s21, 0
	v_cmp_eq_u32_e32 vcc, s20, v22
	s_waitcnt vmcnt(0)
	v_and_b32_e32 v6, 0xffff, v6
	v_lshlrev_b64 v[6:7], s18, v[6:7]
	s_add_u32 s18, s18, 8
	s_addc_u32 s19, s19, 0
	v_or_b32_e32 v19, v7, v19
	s_or_b64 s[16:17], vcc, s[16:17]
	v_or_b32_e32 v18, v6, v18
	s_andn2_b64 exec, exec, s[16:17]
	s_cbranch_execnz .LBB1_326
; %bb.327:                              ;   in Loop: Header=BB1_283 Depth=1
	s_or_b64 exec, exec, s[16:17]
.LBB1_328:                              ;   in Loop: Header=BB1_283 Depth=1
	s_or_b64 exec, exec, s[14:15]
	v_mov_b32_e32 v6, v20
	v_mov_b32_e32 v7, v21
                                        ; implicit-def: $vgpr22
.LBB1_329:                              ;   in Loop: Header=BB1_283 Depth=1
	s_or_saveexec_b64 s[4:5], s[4:5]
	v_mov_b32_e32 v23, 0
	s_xor_b64 exec, exec, s[4:5]
	s_cbranch_execz .LBB1_331
; %bb.330:                              ;   in Loop: Header=BB1_283 Depth=1
	global_load_dwordx2 v[18:19], v[20:21], off
	v_add_u32_e32 v23, -8, v22
.LBB1_331:                              ;   in Loop: Header=BB1_283 Depth=1
	s_or_b64 exec, exec, s[4:5]
	v_cmp_gt_u32_e32 vcc, 8, v23
	s_and_saveexec_b64 s[4:5], vcc
	s_xor_b64 s[4:5], exec, s[4:5]
	s_cbranch_execz .LBB1_337
; %bb.332:                              ;   in Loop: Header=BB1_283 Depth=1
	v_mov_b32_e32 v20, 0
	v_mov_b32_e32 v21, 0
	v_cmp_ne_u32_e32 vcc, 0, v23
	s_and_saveexec_b64 s[14:15], vcc
	s_cbranch_execz .LBB1_336
; %bb.333:                              ;   in Loop: Header=BB1_283 Depth=1
	v_mov_b32_e32 v20, 0
	s_mov_b64 s[16:17], 0
	v_mov_b32_e32 v21, 0
	s_mov_b64 s[18:19], 0
.LBB1_334:                              ;   Parent Loop BB1_283 Depth=1
                                        ; =>  This Inner Loop Header: Depth=2
	global_load_ubyte v22, v[6:7], off
	v_mov_b32_e32 v25, s22
	v_add_co_u32_e32 v6, vcc, 1, v6
	v_add_u32_e32 v23, -1, v23
	v_addc_co_u32_e32 v7, vcc, 0, v7, vcc
	v_cmp_eq_u32_e32 vcc, 0, v23
	s_waitcnt vmcnt(0)
	v_and_b32_e32 v24, 0xffff, v22
	v_lshlrev_b64 v[24:25], s18, v[24:25]
	s_add_u32 s18, s18, 8
	s_addc_u32 s19, s19, 0
	v_or_b32_e32 v21, v25, v21
	s_or_b64 s[16:17], vcc, s[16:17]
	v_or_b32_e32 v20, v24, v20
	s_andn2_b64 exec, exec, s[16:17]
	s_cbranch_execnz .LBB1_334
; %bb.335:                              ;   in Loop: Header=BB1_283 Depth=1
	s_or_b64 exec, exec, s[16:17]
.LBB1_336:                              ;   in Loop: Header=BB1_283 Depth=1
	s_or_b64 exec, exec, s[14:15]
                                        ; implicit-def: $vgpr6_vgpr7
.LBB1_337:                              ;   in Loop: Header=BB1_283 Depth=1
	s_andn2_saveexec_b64 s[4:5], s[4:5]
	s_cbranch_execz .LBB1_339
; %bb.338:                              ;   in Loop: Header=BB1_283 Depth=1
	global_load_dwordx2 v[20:21], v[6:7], off
.LBB1_339:                              ;   in Loop: Header=BB1_283 Depth=1
	s_or_b64 exec, exec, s[4:5]
	v_readfirstlane_b32 s4, v34
	v_mov_b32_e32 v6, 0
	v_mov_b32_e32 v7, 0
	v_cmp_eq_u32_e64 s[4:5], s4, v34
	s_and_saveexec_b64 s[14:15], s[4:5]
	s_cbranch_execz .LBB1_345
; %bb.340:                              ;   in Loop: Header=BB1_283 Depth=1
	global_load_dwordx2 v[24:25], v29, s[10:11] offset:24 glc
	s_waitcnt vmcnt(0)
	buffer_wbinvl1_vol
	global_load_dwordx2 v[6:7], v29, s[10:11] offset:40
	global_load_dwordx2 v[22:23], v29, s[10:11]
	s_waitcnt vmcnt(1)
	v_and_b32_e32 v6, v6, v24
	v_and_b32_e32 v7, v7, v25
	v_mul_lo_u32 v7, v7, 24
	v_mul_hi_u32 v28, v6, 24
	v_mul_lo_u32 v6, v6, 24
	v_add_u32_e32 v7, v28, v7
	s_waitcnt vmcnt(0)
	v_add_co_u32_e32 v6, vcc, v22, v6
	v_addc_co_u32_e32 v7, vcc, v23, v7, vcc
	global_load_dwordx2 v[22:23], v[6:7], off glc
	s_waitcnt vmcnt(0)
	global_atomic_cmpswap_x2 v[6:7], v29, v[22:25], s[10:11] offset:24 glc
	s_waitcnt vmcnt(0)
	buffer_wbinvl1_vol
	v_cmp_ne_u64_e32 vcc, v[6:7], v[24:25]
	s_and_saveexec_b64 s[16:17], vcc
	s_cbranch_execz .LBB1_344
; %bb.341:                              ;   in Loop: Header=BB1_283 Depth=1
	s_mov_b64 s[18:19], 0
.LBB1_342:                              ;   Parent Loop BB1_283 Depth=1
                                        ; =>  This Inner Loop Header: Depth=2
	s_sleep 1
	global_load_dwordx2 v[22:23], v29, s[10:11] offset:40
	global_load_dwordx2 v[32:33], v29, s[10:11]
	v_mov_b32_e32 v25, v7
	v_mov_b32_e32 v24, v6
	s_waitcnt vmcnt(1)
	v_and_b32_e32 v6, v22, v24
	s_waitcnt vmcnt(0)
	v_mad_u64_u32 v[6:7], s[20:21], v6, 24, v[32:33]
	v_and_b32_e32 v22, v23, v25
	v_mad_u64_u32 v[22:23], s[20:21], v22, 24, v[7:8]
	v_mov_b32_e32 v7, v22
	global_load_dwordx2 v[22:23], v[6:7], off glc
	s_waitcnt vmcnt(0)
	global_atomic_cmpswap_x2 v[6:7], v29, v[22:25], s[10:11] offset:24 glc
	s_waitcnt vmcnt(0)
	buffer_wbinvl1_vol
	v_cmp_eq_u64_e32 vcc, v[6:7], v[24:25]
	s_or_b64 s[18:19], vcc, s[18:19]
	s_andn2_b64 exec, exec, s[18:19]
	s_cbranch_execnz .LBB1_342
; %bb.343:                              ;   in Loop: Header=BB1_283 Depth=1
	s_or_b64 exec, exec, s[18:19]
.LBB1_344:                              ;   in Loop: Header=BB1_283 Depth=1
	s_or_b64 exec, exec, s[16:17]
.LBB1_345:                              ;   in Loop: Header=BB1_283 Depth=1
	s_or_b64 exec, exec, s[14:15]
	global_load_dwordx2 v[32:33], v29, s[10:11] offset:40
	global_load_dwordx4 v[22:25], v29, s[10:11]
	v_readfirstlane_b32 s15, v7
	v_readfirstlane_b32 s14, v6
	s_mov_b64 s[16:17], exec
	s_waitcnt vmcnt(1)
	v_readfirstlane_b32 s18, v32
	v_readfirstlane_b32 s19, v33
	s_and_b64 s[18:19], s[18:19], s[14:15]
	s_mul_i32 s20, s19, 24
	s_mul_hi_u32 s21, s18, 24
	s_mul_i32 s24, s18, 24
	s_add_i32 s20, s21, s20
	v_mov_b32_e32 v6, s20
	s_waitcnt vmcnt(0)
	v_add_co_u32_e32 v32, vcc, s24, v22
	v_addc_co_u32_e32 v33, vcc, v23, v6, vcc
	s_and_saveexec_b64 s[20:21], s[4:5]
	s_cbranch_execz .LBB1_347
; %bb.346:                              ;   in Loop: Header=BB1_283 Depth=1
	v_mov_b32_e32 v6, s16
	v_mov_b32_e32 v7, s17
	global_store_dwordx4 v[32:33], v[6:9], off offset:8
.LBB1_347:                              ;   in Loop: Header=BB1_283 Depth=1
	s_or_b64 exec, exec, s[20:21]
	s_lshl_b64 s[16:17], s[18:19], 12
	v_mov_b32_e32 v6, s17
	v_add_co_u32_e32 v24, vcc, s16, v24
	v_addc_co_u32_e32 v25, vcc, v25, v6, vcc
	v_cmp_gt_u64_e32 vcc, 57, v[26:27]
	v_and_b32_e32 v0, 0xffffff1f, v0
	v_cndmask_b32_e32 v6, 0, v36, vcc
	v_lshl_add_u32 v7, v30, 2, 28
	v_or_b32_e32 v0, v0, v6
	v_and_or_b32 v0, v7, s23, v0
	v_readfirstlane_b32 s16, v24
	v_readfirstlane_b32 s17, v25
	s_nop 4
	global_store_dwordx4 v35, v[0:3], s[16:17]
	global_store_dwordx4 v35, v[10:13], s[16:17] offset:16
	global_store_dwordx4 v35, v[14:17], s[16:17] offset:32
	;; [unrolled: 1-line block ×3, first 2 shown]
	s_and_saveexec_b64 s[16:17], s[4:5]
	s_cbranch_execz .LBB1_355
; %bb.348:                              ;   in Loop: Header=BB1_283 Depth=1
	global_load_dwordx2 v[12:13], v29, s[10:11] offset:32 glc
	global_load_dwordx2 v[0:1], v29, s[10:11] offset:40
	v_mov_b32_e32 v10, s14
	v_mov_b32_e32 v11, s15
	s_waitcnt vmcnt(0)
	v_readfirstlane_b32 s18, v0
	v_readfirstlane_b32 s19, v1
	s_and_b64 s[18:19], s[18:19], s[14:15]
	s_mul_i32 s19, s19, 24
	s_mul_hi_u32 s20, s18, 24
	s_mul_i32 s18, s18, 24
	s_add_i32 s19, s20, s19
	v_mov_b32_e32 v0, s19
	v_add_co_u32_e32 v6, vcc, s18, v22
	v_addc_co_u32_e32 v7, vcc, v23, v0, vcc
	global_store_dwordx2 v[6:7], v[12:13], off
	s_waitcnt vmcnt(0)
	global_atomic_cmpswap_x2 v[2:3], v29, v[10:13], s[10:11] offset:32 glc
	s_waitcnt vmcnt(0)
	v_cmp_ne_u64_e32 vcc, v[2:3], v[12:13]
	s_and_saveexec_b64 s[18:19], vcc
	s_cbranch_execz .LBB1_351
; %bb.349:                              ;   in Loop: Header=BB1_283 Depth=1
	s_mov_b64 s[20:21], 0
.LBB1_350:                              ;   Parent Loop BB1_283 Depth=1
                                        ; =>  This Inner Loop Header: Depth=2
	s_sleep 1
	global_store_dwordx2 v[6:7], v[2:3], off
	v_mov_b32_e32 v0, s14
	v_mov_b32_e32 v1, s15
	s_waitcnt vmcnt(0)
	global_atomic_cmpswap_x2 v[0:1], v29, v[0:3], s[10:11] offset:32 glc
	s_waitcnt vmcnt(0)
	v_cmp_eq_u64_e32 vcc, v[0:1], v[2:3]
	v_mov_b32_e32 v3, v1
	s_or_b64 s[20:21], vcc, s[20:21]
	v_mov_b32_e32 v2, v0
	s_andn2_b64 exec, exec, s[20:21]
	s_cbranch_execnz .LBB1_350
.LBB1_351:                              ;   in Loop: Header=BB1_283 Depth=1
	s_or_b64 exec, exec, s[18:19]
	global_load_dwordx2 v[0:1], v29, s[10:11] offset:16
	s_mov_b64 s[20:21], exec
	v_mbcnt_lo_u32_b32 v2, s20, 0
	v_mbcnt_hi_u32_b32 v2, s21, v2
	v_cmp_eq_u32_e32 vcc, 0, v2
	s_and_saveexec_b64 s[18:19], vcc
	s_cbranch_execz .LBB1_353
; %bb.352:                              ;   in Loop: Header=BB1_283 Depth=1
	s_bcnt1_i32_b64 s20, s[20:21]
	v_mov_b32_e32 v28, s20
	s_waitcnt vmcnt(0)
	global_atomic_add_x2 v[0:1], v[28:29], off offset:8
.LBB1_353:                              ;   in Loop: Header=BB1_283 Depth=1
	s_or_b64 exec, exec, s[18:19]
	s_waitcnt vmcnt(0)
	global_load_dwordx2 v[2:3], v[0:1], off offset:16
	s_waitcnt vmcnt(0)
	v_cmp_eq_u64_e32 vcc, 0, v[2:3]
	s_cbranch_vccnz .LBB1_355
; %bb.354:                              ;   in Loop: Header=BB1_283 Depth=1
	global_load_dword v28, v[0:1], off offset:24
	s_waitcnt vmcnt(0)
	v_readfirstlane_b32 s18, v28
	s_and_b32 m0, s18, 0xffffff
	global_store_dwordx2 v[2:3], v[28:29], off
	s_sendmsg sendmsg(MSG_INTERRUPT)
.LBB1_355:                              ;   in Loop: Header=BB1_283 Depth=1
	s_or_b64 exec, exec, s[16:17]
	v_add_co_u32_e32 v0, vcc, v24, v35
	v_addc_co_u32_e32 v1, vcc, 0, v25, vcc
	s_branch .LBB1_359
.LBB1_356:                              ;   in Loop: Header=BB1_359 Depth=2
	s_or_b64 exec, exec, s[16:17]
	v_readfirstlane_b32 s16, v2
	s_cmp_eq_u32 s16, 0
	s_cbranch_scc1 .LBB1_358
; %bb.357:                              ;   in Loop: Header=BB1_359 Depth=2
	s_sleep 1
	s_cbranch_execnz .LBB1_359
	s_branch .LBB1_361
.LBB1_358:                              ;   in Loop: Header=BB1_283 Depth=1
	s_branch .LBB1_361
.LBB1_359:                              ;   Parent Loop BB1_283 Depth=1
                                        ; =>  This Inner Loop Header: Depth=2
	v_mov_b32_e32 v2, 1
	s_and_saveexec_b64 s[16:17], s[4:5]
	s_cbranch_execz .LBB1_356
; %bb.360:                              ;   in Loop: Header=BB1_359 Depth=2
	global_load_dword v2, v[32:33], off offset:20 glc
	s_waitcnt vmcnt(0)
	buffer_wbinvl1_vol
	v_and_b32_e32 v2, 1, v2
	s_branch .LBB1_356
.LBB1_361:                              ;   in Loop: Header=BB1_283 Depth=1
	global_load_dwordx2 v[0:1], v[0:1], off
	s_and_saveexec_b64 s[16:17], s[4:5]
	s_cbranch_execz .LBB1_282
; %bb.362:                              ;   in Loop: Header=BB1_283 Depth=1
	global_load_dwordx2 v[2:3], v29, s[10:11] offset:40
	global_load_dwordx2 v[14:15], v29, s[10:11] offset:24 glc
	global_load_dwordx2 v[6:7], v29, s[10:11]
	s_waitcnt vmcnt(2)
	v_readfirstlane_b32 s18, v2
	v_readfirstlane_b32 s19, v3
	s_add_u32 s20, s18, 1
	s_addc_u32 s21, s19, 0
	s_add_u32 s4, s20, s14
	s_addc_u32 s5, s21, s15
	s_cmp_eq_u64 s[4:5], 0
	s_cselect_b32 s5, s21, s5
	s_cselect_b32 s4, s20, s4
	s_and_b64 s[14:15], s[4:5], s[18:19]
	s_mul_i32 s15, s15, 24
	s_mul_hi_u32 s18, s14, 24
	s_mul_i32 s14, s14, 24
	s_add_i32 s15, s18, s15
	v_mov_b32_e32 v3, s15
	s_waitcnt vmcnt(0)
	v_add_co_u32_e32 v2, vcc, s14, v6
	v_addc_co_u32_e32 v3, vcc, v7, v3, vcc
	v_mov_b32_e32 v12, s4
	global_store_dwordx2 v[2:3], v[14:15], off
	v_mov_b32_e32 v13, s5
	s_waitcnt vmcnt(0)
	global_atomic_cmpswap_x2 v[12:13], v29, v[12:15], s[10:11] offset:24 glc
	s_waitcnt vmcnt(0)
	v_cmp_ne_u64_e32 vcc, v[12:13], v[14:15]
	s_and_b64 exec, exec, vcc
	s_cbranch_execz .LBB1_282
; %bb.363:                              ;   in Loop: Header=BB1_283 Depth=1
	s_mov_b64 s[14:15], 0
.LBB1_364:                              ;   Parent Loop BB1_283 Depth=1
                                        ; =>  This Inner Loop Header: Depth=2
	s_sleep 1
	global_store_dwordx2 v[2:3], v[12:13], off
	v_mov_b32_e32 v10, s4
	v_mov_b32_e32 v11, s5
	s_waitcnt vmcnt(0)
	global_atomic_cmpswap_x2 v[6:7], v29, v[10:13], s[10:11] offset:24 glc
	s_waitcnt vmcnt(0)
	v_cmp_eq_u64_e32 vcc, v[6:7], v[12:13]
	v_mov_b32_e32 v13, v7
	s_or_b64 s[14:15], vcc, s[14:15]
	v_mov_b32_e32 v12, v6
	s_andn2_b64 exec, exec, s[14:15]
	s_cbranch_execnz .LBB1_364
	s_branch .LBB1_282
.LBB1_365:
	s_or_b64 exec, exec, s[12:13]
                                        ; implicit-def: $vgpr35
                                        ; implicit-def: $vgpr34
.LBB1_366:
	s_andn2_saveexec_b64 s[6:7], s[6:7]
	s_cbranch_execz .LBB1_393
; %bb.367:
	v_readfirstlane_b32 s4, v34
	v_mov_b32_e32 v8, 0
	v_mov_b32_e32 v9, 0
	v_cmp_eq_u32_e64 s[4:5], s4, v34
	s_and_saveexec_b64 s[12:13], s[4:5]
	s_cbranch_execz .LBB1_373
; %bb.368:
	v_mov_b32_e32 v2, 0
	global_load_dwordx2 v[5:6], v2, s[10:11] offset:24 glc
	s_waitcnt vmcnt(0)
	buffer_wbinvl1_vol
	global_load_dwordx2 v[3:4], v2, s[10:11] offset:40
	global_load_dwordx2 v[7:8], v2, s[10:11]
	s_waitcnt vmcnt(1)
	v_and_b32_e32 v3, v3, v5
	v_and_b32_e32 v4, v4, v6
	v_mul_lo_u32 v4, v4, 24
	v_mul_hi_u32 v9, v3, 24
	v_mul_lo_u32 v3, v3, 24
	v_add_u32_e32 v4, v9, v4
	s_waitcnt vmcnt(0)
	v_add_co_u32_e32 v3, vcc, v7, v3
	v_addc_co_u32_e32 v4, vcc, v8, v4, vcc
	global_load_dwordx2 v[3:4], v[3:4], off glc
	s_waitcnt vmcnt(0)
	global_atomic_cmpswap_x2 v[8:9], v2, v[3:6], s[10:11] offset:24 glc
	s_waitcnt vmcnt(0)
	buffer_wbinvl1_vol
	v_cmp_ne_u64_e32 vcc, v[8:9], v[5:6]
	s_and_saveexec_b64 s[14:15], vcc
	s_cbranch_execz .LBB1_372
; %bb.369:
	s_mov_b64 s[16:17], 0
.LBB1_370:                              ; =>This Inner Loop Header: Depth=1
	s_sleep 1
	global_load_dwordx2 v[3:4], v2, s[10:11] offset:40
	global_load_dwordx2 v[10:11], v2, s[10:11]
	v_mov_b32_e32 v5, v8
	v_mov_b32_e32 v6, v9
	s_waitcnt vmcnt(1)
	v_and_b32_e32 v3, v3, v5
	s_waitcnt vmcnt(0)
	v_mad_u64_u32 v[7:8], s[18:19], v3, 24, v[10:11]
	v_and_b32_e32 v4, v4, v6
	v_mov_b32_e32 v3, v8
	v_mad_u64_u32 v[3:4], s[18:19], v4, 24, v[3:4]
	v_mov_b32_e32 v8, v3
	global_load_dwordx2 v[3:4], v[7:8], off glc
	s_waitcnt vmcnt(0)
	global_atomic_cmpswap_x2 v[8:9], v2, v[3:6], s[10:11] offset:24 glc
	s_waitcnt vmcnt(0)
	buffer_wbinvl1_vol
	v_cmp_eq_u64_e32 vcc, v[8:9], v[5:6]
	s_or_b64 s[16:17], vcc, s[16:17]
	s_andn2_b64 exec, exec, s[16:17]
	s_cbranch_execnz .LBB1_370
; %bb.371:
	s_or_b64 exec, exec, s[16:17]
.LBB1_372:
	s_or_b64 exec, exec, s[14:15]
.LBB1_373:
	s_or_b64 exec, exec, s[12:13]
	v_mov_b32_e32 v2, 0
	global_load_dwordx2 v[10:11], v2, s[10:11] offset:40
	global_load_dwordx4 v[4:7], v2, s[10:11]
	v_readfirstlane_b32 s13, v9
	v_readfirstlane_b32 s12, v8
	s_mov_b64 s[14:15], exec
	s_waitcnt vmcnt(1)
	v_readfirstlane_b32 s16, v10
	v_readfirstlane_b32 s17, v11
	s_and_b64 s[16:17], s[16:17], s[12:13]
	s_mul_i32 s18, s17, 24
	s_mul_hi_u32 s19, s16, 24
	s_mul_i32 s20, s16, 24
	s_add_i32 s18, s19, s18
	v_mov_b32_e32 v3, s18
	s_waitcnt vmcnt(0)
	v_add_co_u32_e32 v8, vcc, s20, v4
	v_addc_co_u32_e32 v9, vcc, v5, v3, vcc
	s_and_saveexec_b64 s[18:19], s[4:5]
	s_cbranch_execz .LBB1_375
; %bb.374:
	v_mov_b32_e32 v10, s14
	v_mov_b32_e32 v11, s15
	;; [unrolled: 1-line block ×4, first 2 shown]
	global_store_dwordx4 v[8:9], v[10:13], off offset:8
.LBB1_375:
	s_or_b64 exec, exec, s[18:19]
	s_lshl_b64 s[14:15], s[16:17], 12
	v_mov_b32_e32 v3, s15
	v_add_co_u32_e32 v10, vcc, s14, v6
	v_addc_co_u32_e32 v11, vcc, v7, v3, vcc
	s_movk_i32 s14, 0xff1f
	v_and_or_b32 v0, v0, s14, 32
	s_mov_b32 s16, 0
	v_mov_b32_e32 v3, v2
	v_readfirstlane_b32 s14, v10
	v_readfirstlane_b32 s15, v11
	v_add_co_u32_e32 v6, vcc, v10, v35
	s_mov_b32 s17, s16
	s_mov_b32 s18, s16
	s_mov_b32 s19, s16
	s_nop 0
	global_store_dwordx4 v35, v[0:3], s[14:15]
	v_addc_co_u32_e32 v7, vcc, 0, v11, vcc
	v_mov_b32_e32 v0, s16
	v_mov_b32_e32 v1, s17
	;; [unrolled: 1-line block ×4, first 2 shown]
	global_store_dwordx4 v35, v[0:3], s[14:15] offset:16
	global_store_dwordx4 v35, v[0:3], s[14:15] offset:32
	;; [unrolled: 1-line block ×3, first 2 shown]
	s_and_saveexec_b64 s[14:15], s[4:5]
	s_cbranch_execz .LBB1_383
; %bb.376:
	v_mov_b32_e32 v10, 0
	global_load_dwordx2 v[13:14], v10, s[10:11] offset:32 glc
	global_load_dwordx2 v[0:1], v10, s[10:11] offset:40
	v_mov_b32_e32 v11, s12
	v_mov_b32_e32 v12, s13
	s_waitcnt vmcnt(0)
	v_readfirstlane_b32 s16, v0
	v_readfirstlane_b32 s17, v1
	s_and_b64 s[16:17], s[16:17], s[12:13]
	s_mul_i32 s17, s17, 24
	s_mul_hi_u32 s18, s16, 24
	s_mul_i32 s16, s16, 24
	s_add_i32 s17, s18, s17
	v_mov_b32_e32 v0, s17
	v_add_co_u32_e32 v4, vcc, s16, v4
	v_addc_co_u32_e32 v5, vcc, v5, v0, vcc
	global_store_dwordx2 v[4:5], v[13:14], off
	s_waitcnt vmcnt(0)
	global_atomic_cmpswap_x2 v[2:3], v10, v[11:14], s[10:11] offset:32 glc
	s_waitcnt vmcnt(0)
	v_cmp_ne_u64_e32 vcc, v[2:3], v[13:14]
	s_and_saveexec_b64 s[16:17], vcc
	s_cbranch_execz .LBB1_379
; %bb.377:
	s_mov_b64 s[18:19], 0
.LBB1_378:                              ; =>This Inner Loop Header: Depth=1
	s_sleep 1
	global_store_dwordx2 v[4:5], v[2:3], off
	v_mov_b32_e32 v0, s12
	v_mov_b32_e32 v1, s13
	s_waitcnt vmcnt(0)
	global_atomic_cmpswap_x2 v[0:1], v10, v[0:3], s[10:11] offset:32 glc
	s_waitcnt vmcnt(0)
	v_cmp_eq_u64_e32 vcc, v[0:1], v[2:3]
	v_mov_b32_e32 v3, v1
	s_or_b64 s[18:19], vcc, s[18:19]
	v_mov_b32_e32 v2, v0
	s_andn2_b64 exec, exec, s[18:19]
	s_cbranch_execnz .LBB1_378
.LBB1_379:
	s_or_b64 exec, exec, s[16:17]
	v_mov_b32_e32 v3, 0
	global_load_dwordx2 v[0:1], v3, s[10:11] offset:16
	s_mov_b64 s[16:17], exec
	v_mbcnt_lo_u32_b32 v2, s16, 0
	v_mbcnt_hi_u32_b32 v2, s17, v2
	v_cmp_eq_u32_e32 vcc, 0, v2
	s_and_saveexec_b64 s[18:19], vcc
	s_cbranch_execz .LBB1_381
; %bb.380:
	s_bcnt1_i32_b64 s16, s[16:17]
	v_mov_b32_e32 v2, s16
	s_waitcnt vmcnt(0)
	global_atomic_add_x2 v[0:1], v[2:3], off offset:8
.LBB1_381:
	s_or_b64 exec, exec, s[18:19]
	s_waitcnt vmcnt(0)
	global_load_dwordx2 v[2:3], v[0:1], off offset:16
	s_waitcnt vmcnt(0)
	v_cmp_eq_u64_e32 vcc, 0, v[2:3]
	s_cbranch_vccnz .LBB1_383
; %bb.382:
	global_load_dword v0, v[0:1], off offset:24
	v_mov_b32_e32 v1, 0
	s_waitcnt vmcnt(0)
	v_readfirstlane_b32 s16, v0
	s_and_b32 m0, s16, 0xffffff
	global_store_dwordx2 v[2:3], v[0:1], off
	s_sendmsg sendmsg(MSG_INTERRUPT)
.LBB1_383:
	s_or_b64 exec, exec, s[14:15]
	s_branch .LBB1_387
.LBB1_384:                              ;   in Loop: Header=BB1_387 Depth=1
	s_or_b64 exec, exec, s[14:15]
	v_readfirstlane_b32 s14, v0
	s_cmp_eq_u32 s14, 0
	s_cbranch_scc1 .LBB1_386
; %bb.385:                              ;   in Loop: Header=BB1_387 Depth=1
	s_sleep 1
	s_cbranch_execnz .LBB1_387
	s_branch .LBB1_389
.LBB1_386:
	s_branch .LBB1_389
.LBB1_387:                              ; =>This Inner Loop Header: Depth=1
	v_mov_b32_e32 v0, 1
	s_and_saveexec_b64 s[14:15], s[4:5]
	s_cbranch_execz .LBB1_384
; %bb.388:                              ;   in Loop: Header=BB1_387 Depth=1
	global_load_dword v0, v[8:9], off offset:20 glc
	s_waitcnt vmcnt(0)
	buffer_wbinvl1_vol
	v_and_b32_e32 v0, 1, v0
	s_branch .LBB1_384
.LBB1_389:
	global_load_dwordx2 v[0:1], v[6:7], off
	s_and_saveexec_b64 s[14:15], s[4:5]
	s_cbranch_execz .LBB1_392
; %bb.390:
	v_mov_b32_e32 v8, 0
	global_load_dwordx2 v[2:3], v8, s[10:11] offset:40
	global_load_dwordx2 v[11:12], v8, s[10:11] offset:24 glc
	global_load_dwordx2 v[4:5], v8, s[10:11]
	s_waitcnt vmcnt(2)
	v_readfirstlane_b32 s16, v2
	v_readfirstlane_b32 s17, v3
	s_add_u32 s18, s16, 1
	s_addc_u32 s19, s17, 0
	s_add_u32 s4, s18, s12
	s_addc_u32 s5, s19, s13
	s_cmp_eq_u64 s[4:5], 0
	s_cselect_b32 s5, s19, s5
	s_cselect_b32 s4, s18, s4
	s_and_b64 s[12:13], s[4:5], s[16:17]
	s_mul_i32 s13, s13, 24
	s_mul_hi_u32 s16, s12, 24
	s_mul_i32 s12, s12, 24
	s_add_i32 s13, s16, s13
	v_mov_b32_e32 v2, s13
	s_waitcnt vmcnt(0)
	v_add_co_u32_e32 v6, vcc, s12, v4
	v_addc_co_u32_e32 v7, vcc, v5, v2, vcc
	v_mov_b32_e32 v9, s4
	global_store_dwordx2 v[6:7], v[11:12], off
	v_mov_b32_e32 v10, s5
	s_waitcnt vmcnt(0)
	global_atomic_cmpswap_x2 v[4:5], v8, v[9:12], s[10:11] offset:24 glc
	s_mov_b64 s[12:13], 0
	s_waitcnt vmcnt(0)
	v_cmp_ne_u64_e32 vcc, v[4:5], v[11:12]
	s_and_b64 exec, exec, vcc
	s_cbranch_execz .LBB1_392
.LBB1_391:                              ; =>This Inner Loop Header: Depth=1
	s_sleep 1
	global_store_dwordx2 v[6:7], v[4:5], off
	v_mov_b32_e32 v2, s4
	v_mov_b32_e32 v3, s5
	s_waitcnt vmcnt(0)
	global_atomic_cmpswap_x2 v[2:3], v8, v[2:5], s[10:11] offset:24 glc
	s_waitcnt vmcnt(0)
	v_cmp_eq_u64_e32 vcc, v[2:3], v[4:5]
	v_mov_b32_e32 v5, v3
	s_or_b64 s[12:13], vcc, s[12:13]
	v_mov_b32_e32 v4, v2
	s_andn2_b64 exec, exec, s[12:13]
	s_cbranch_execnz .LBB1_391
.LBB1_392:
	s_or_b64 exec, exec, s[14:15]
.LBB1_393:
	s_or_b64 exec, exec, s[6:7]
	s_getpc_b64 s[4:5]
	s_add_u32 s4, s4, .str.3@rel32@lo+4
	s_addc_u32 s5, s5, .str.3@rel32@hi+12
	s_getpc_b64 s[6:7]
	s_add_u32 s6, s6, .str.3@rel32@lo+32
	s_addc_u32 s7, s7, .str.3@rel32@hi+40
	s_sub_i32 s10, s6, s4
	s_ashr_i32 s11, s10, 31
	s_getpc_b64 s[6:7]
	s_add_u32 s6, s6, __ockl_fprintf_append_string_n@rel32@lo+4
	s_addc_u32 s7, s7, __ockl_fprintf_append_string_n@rel32@hi+12
	v_mov_b32_e32 v2, s4
	v_mov_b32_e32 v3, s5
	;; [unrolled: 1-line block ×5, first 2 shown]
	s_swappc_b64 s[30:31], s[6:7]
	s_trap 2
.Lfunc_end1:
	.size	__assert_fail, .Lfunc_end1-__assert_fail
                                        ; -- End function
	.set .L__assert_fail.num_vgpr, max(41, .L__ockl_fprintf_append_string_n.num_vgpr)
	.set .L__assert_fail.num_agpr, max(0, .L__ockl_fprintf_append_string_n.num_agpr)
	.set .L__assert_fail.numbered_sgpr, max(34, .L__ockl_fprintf_append_string_n.numbered_sgpr)
	.set .L__assert_fail.num_named_barrier, max(0, .L__ockl_fprintf_append_string_n.num_named_barrier)
	.set .L__assert_fail.private_seg_size, 64+max(.L__ockl_fprintf_append_string_n.private_seg_size)
	.set .L__assert_fail.uses_vcc, or(1, .L__ockl_fprintf_append_string_n.uses_vcc)
	.set .L__assert_fail.uses_flat_scratch, or(0, .L__ockl_fprintf_append_string_n.uses_flat_scratch)
	.set .L__assert_fail.has_dyn_sized_stack, or(0, .L__ockl_fprintf_append_string_n.has_dyn_sized_stack)
	.set .L__assert_fail.has_recursion, or(0, .L__ockl_fprintf_append_string_n.has_recursion)
	.set .L__assert_fail.has_indirect_call, or(0, .L__ockl_fprintf_append_string_n.has_indirect_call)
	.section	.AMDGPU.csdata,"",@progbits
; Function info:
; codeLenInByte = 13844
; TotalNumSgprs: 38
; NumVgprs: 41
; ScratchSize: 64
; MemoryBound: 0
	.text
	.p2align	2                               ; -- Begin function _ZN12_GLOBAL__N_17runRingI14__hip_fp8_e4m310FuncMinMaxIS1_E11ProtoSimpleILi1ELi1ELi0ELi1ELi0ELi0EELi0ELi1ELi0EEEviiP15ncclDevWorkColl
	.type	_ZN12_GLOBAL__N_17runRingI14__hip_fp8_e4m310FuncMinMaxIS1_E11ProtoSimpleILi1ELi1ELi0ELi1ELi0ELi0EELi0ELi1ELi0EEEviiP15ncclDevWorkColl,@function
_ZN12_GLOBAL__N_17runRingI14__hip_fp8_e4m310FuncMinMaxIS1_E11ProtoSimpleILi1ELi1ELi0ELi1ELi0ELi0EELi0ELi1ELi0EEEviiP15ncclDevWorkColl: ; @_ZN12_GLOBAL__N_17runRingI14__hip_fp8_e4m310FuncMinMaxIS1_E11ProtoSimpleILi1ELi1ELi0ELi1ELi0ELi0EELi0ELi1ELi0EEEviiP15ncclDevWorkColl
; %bb.0:
	s_waitcnt vmcnt(0) expcnt(0) lgkmcnt(0)
	s_mov_b32 s4, s33
	s_mov_b32 s33, s32
	s_or_saveexec_b64 s[6:7], -1
	buffer_store_dword v63, off, s[0:3], s33 offset:176 ; 4-byte Folded Spill
	s_mov_b64 exec, s[6:7]
	v_writelane_b32 v63, s4, 20
	s_addk_i32 s32, 0x3000
	buffer_store_dword v40, off, s[0:3], s33 offset:56 ; 4-byte Folded Spill
	buffer_store_dword v41, off, s[0:3], s33 offset:52 ; 4-byte Folded Spill
	;; [unrolled: 1-line block ×14, first 2 shown]
	buffer_store_dword v62, off, s[0:3], s33 ; 4-byte Folded Spill
	v_writelane_b32 v63, s34, 0
	v_writelane_b32 v63, s35, 1
	;; [unrolled: 1-line block ×20, first 2 shown]
	s_trap 2
	ds_read_b64 v[14:15], v0
	ds_read_b32 v6, v0
	v_mov_b32_e32 v44, v1
	flat_load_ushort v16, v[2:3] offset:8
	flat_load_dwordx2 v[8:9], v[2:3]
	v_mov_b32_e32 v45, v31
	s_waitcnt lgkmcnt(0)
	v_ashrrev_i32_e32 v5, 31, v15
	v_mov_b32_e32 v4, v15
	v_lshlrev_b64 v[4:5], 2, v[4:5]
                                        ; implicit-def: $vgpr26_vgpr27
                                        ; implicit-def: $vgpr58_vgpr59
	v_add_co_u32_e32 v4, vcc, v14, v4
	v_addc_co_u32_e32 v1, vcc, v15, v5, vcc
	v_add_co_u32_e32 v4, vcc, -4, v4
	v_addc_co_u32_e32 v5, vcc, -1, v1, vcc
	flat_load_dword v19, v[4:5]
                                        ; implicit-def: $vgpr4_vgpr5
	s_waitcnt vmcnt(0)
	v_mov_b32_e32 v15, v9
	v_cmp_ne_u32_sdwa s[4:5], v6, v8 src0_sel:DWORD src1_sel:BYTE_0
	s_and_saveexec_b64 s[6:7], s[4:5]
	s_xor_b64 s[4:5], exec, s[6:7]
	s_cbranch_execz .LBB2_6
; %bb.1:
	v_not_b32_sdwa v1, v8 dst_sel:DWORD dst_unused:UNUSED_PAD src0_sel:BYTE_0
	v_cmp_ne_u32_sdwa s[6:7], v6, v8 src0_sel:DWORD src1_sel:BYTE_1
                                        ; implicit-def: $vgpr26_vgpr27
                                        ; implicit-def: $vgpr4_vgpr5
                                        ; implicit-def: $vgpr58_vgpr59
	s_and_saveexec_b64 s[10:11], s[6:7]
	s_xor_b64 s[6:7], exec, s[10:11]
	s_cbranch_execz .LBB2_3
; %bb.2:
	flat_load_dwordx4 v[7:10], v[2:3] offset:72
	flat_load_dwordx2 v[4:5], v[2:3] offset:96
	v_add_u32_e32 v1, v6, v1
	v_ashrrev_i32_e32 v6, 31, v1
	s_waitcnt vmcnt(0) lgkmcnt(0)
	v_mul_lo_u32 v6, v9, v6
	v_mad_u64_u32 v[58:59], s[10:11], v9, v1, v[7:8]
	v_mul_lo_u32 v1, v10, v1
	v_lshrrev_b64 v[26:27], 12, v[4:5]
	v_mov_b32_e32 v4, v9
	v_mov_b32_e32 v5, v10
	v_add3_u32 v59, v1, v59, v6
                                        ; implicit-def: $vgpr8
                                        ; implicit-def: $vgpr1
.LBB2_3:
	s_andn2_saveexec_b64 s[6:7], s[6:7]
	s_cbranch_execz .LBB2_5
; %bb.4:
	flat_load_dwordx4 v[9:12], v[2:3] offset:72
	flat_load_dwordx4 v[4:7], v[2:3] offset:88
	v_add_u32_sdwa v1, v8, v1 dst_sel:DWORD dst_unused:UNUSED_PAD src0_sel:BYTE_1 src1_sel:DWORD
	s_waitcnt vmcnt(0) lgkmcnt(0)
	v_ashrrev_i32_e32 v6, 31, v1
	v_mul_lo_u32 v6, v11, v6
	v_mad_u64_u32 v[58:59], s[10:11], v11, v1, v[9:10]
	v_mul_lo_u32 v1, v12, v1
	v_lshrrev_b32_e32 v26, 1, v7
	v_add3_u32 v59, v1, v59, v6
.LBB2_5:
	s_or_b64 exec, exec, s[6:7]
.LBB2_6:
	s_andn2_saveexec_b64 s[4:5], s[4:5]
	s_cbranch_execz .LBB2_8
; %bb.7:
	flat_load_dwordx2 v[6:7], v[2:3] offset:96
	flat_load_dwordx2 v[4:5], v[2:3] offset:72
	v_mov_b32_e32 v58, 0
	v_mov_b32_e32 v59, 0
	s_waitcnt vmcnt(0) lgkmcnt(0)
	v_lshlrev_b64 v[26:27], 9, v[6:7]
.LBB2_8:
	s_or_b64 exec, exec, s[4:5]
	s_trap 2
	ds_read_b64 v[6:7], v0
	s_waitcnt lgkmcnt(0)
	v_cmp_ne_u32_e32 vcc, -1, v6
	v_cndmask_b32_e64 v18, 0, 1, vcc
	v_cmp_ne_u32_e32 vcc, -1, v7
	v_addc_co_u32_e64 v1, s[4:5], 0, v18, vcc
	v_lshlrev_b32_e32 v6, 1, v1
	v_cmp_le_u32_e64 s[4:5], v6, v44
	s_and_saveexec_b64 s[6:7], s[4:5]
	s_xor_b64 s[40:41], exec, s[6:7]
	s_cbranch_execz .LBB2_4275
; %bb.9:
	flat_load_dwordx4 v[10:13], v[2:3] offset:16
	flat_load_dwordx2 v[32:33], v[2:3] offset:104
	s_trap 2
	s_load_dword s4, s[8:9], 0x0
	v_mov_b32_e32 v2, 0
	v_mov_b32_e32 v57, 4
	s_waitcnt lgkmcnt(0)
	s_cmp_lt_u32 s12, s4
	s_cselect_b32 s4, 12, 18
	s_add_u32 s4, s8, s4
	s_addc_u32 s5, s9, 0
	global_load_ushort v46, v2, s[4:5]
	ds_read_b32 v2, v0
	v_cmp_ge_u32_e64 s[4:5], v0, v18
	s_waitcnt lgkmcnt(0)
	v_readfirstlane_b32 s50, v2
	s_and_saveexec_b64 s[6:7], s[4:5]
	s_cbranch_execz .LBB2_19
; %bb.10:
	v_cmp_ge_u32_e64 s[4:5], v0, v1
                                        ; implicit-def: $vgpr57
	s_and_saveexec_b64 s[10:11], s[4:5]
	s_xor_b64 s[4:5], exec, s[10:11]
	s_cbranch_execz .LBB2_16
; %bb.11:
	v_cndmask_b32_e64 v2, 0, 1, vcc
	v_sub_u32_e32 v2, v44, v2
	v_cmp_ge_u32_e32 vcc, v0, v2
	s_and_saveexec_b64 s[10:11], vcc
	s_xor_b64 s[10:11], exec, s[10:11]
; %bb.12:
                                        ; implicit-def: $vgpr1
; %bb.13:
	s_or_saveexec_b64 s[10:11], s[10:11]
	v_mov_b32_e32 v57, 16
	s_xor_b64 exec, exec, s[10:11]
; %bb.14:
	v_sub_u32_e32 v1, v44, v1
	v_cmp_lt_i32_e32 vcc, v0, v1
	v_cndmask_b32_e64 v57, 32, 0, vcc
; %bb.15:
	s_or_b64 exec, exec, s[10:11]
.LBB2_16:
	s_andn2_saveexec_b64 s[4:5], s[4:5]
; %bb.17:
	v_mov_b32_e32 v57, 8
; %bb.18:
	s_or_b64 exec, exec, s[4:5]
.LBB2_19:
	s_or_b64 exec, exec, s[6:7]
	v_and_b32_e32 v1, 36, v57
	v_cmp_ne_u32_e32 vcc, 0, v1
	v_mov_b32_e32 v36, -1
	s_and_saveexec_b64 s[4:5], vcc
	s_cbranch_execz .LBB2_21
; %bb.20:
	s_trap 2
	ds_read_b32 v36, v0
.LBB2_21:
	s_or_b64 exec, exec, s[4:5]
	v_and_b32_e32 v1, 24, v57
	v_cmp_ne_u32_e64 s[4:5], 0, v1
	s_and_saveexec_b64 s[6:7], s[4:5]
	s_cbranch_execz .LBB2_23
; %bb.22:
	s_trap 2
	s_waitcnt lgkmcnt(0)
	ds_read_b32 v36, v0
.LBB2_23:
	s_or_b64 exec, exec, s[6:7]
	v_lshrrev_b64 v[1:2], 31, v[15:16]
	v_mov_b32_e32 v60, 0
	v_mov_b32_e32 v6, 0
	;; [unrolled: 1-line block ×3, first 2 shown]
	v_and_b32_e32 v1, 3, v1
	v_mov_b32_e32 v7, 0
	s_waitcnt lgkmcnt(0)
	v_ashrrev_i32_e32 v37, 31, v36
                                        ; implicit-def: $vgpr2_vgpr3
                                        ; kill: killed $vgpr2_vgpr3
                                        ; implicit-def: $vgpr56
                                        ; implicit-def: $vgpr28_vgpr29
                                        ; implicit-def: $vgpr2_vgpr3
                                        ; kill: killed $vgpr2_vgpr3
                                        ; implicit-def: $vgpr22_vgpr23
	s_and_saveexec_b64 s[4:5], vcc
	s_cbranch_execz .LBB2_33
; %bb.24:
	s_trap 2
	ds_read_b64 v[2:3], v0
	v_lshlrev_b64 v[6:7], 3, v[36:37]
	s_movk_i32 s6, 0xa8
	s_waitcnt lgkmcnt(0)
	v_add_co_u32_e32 v2, vcc, v2, v6
	v_addc_co_u32_e32 v3, vcc, v3, v7, vcc
	flat_load_dwordx2 v[2:3], v[2:3]
	v_and_b32_e32 v6, 0xffff, v1
	s_waitcnt vmcnt(0) lgkmcnt(0)
	v_mad_u64_u32 v[16:17], s[6:7], v6, s6, v[2:3]
	flat_load_dword v2, v[16:17] offset:640
	s_waitcnt vmcnt(0) lgkmcnt(0)
	v_cmp_eq_u32_e32 vcc, 1, v2
                                        ; implicit-def: $vgpr2_vgpr3
                                        ; kill: killed $vgpr2_vgpr3
	s_and_saveexec_b64 s[6:7], vcc
	s_cbranch_execz .LBB2_26
; %bb.25:
	flat_load_dwordx2 v[6:7], v[16:17] offset:648
	v_or_b32_e32 v57, 0x2000, v57
	s_waitcnt vmcnt(0) lgkmcnt(0)
	flat_load_dwordx2 v[2:3], v[6:7]
	s_trap 2
	s_waitcnt vmcnt(0) lgkmcnt(0)
	ds_write_b64 v0, v[2:3]
	flat_load_dwordx2 v[2:3], v[6:7] offset:8
	s_waitcnt vmcnt(0) lgkmcnt(0)
	ds_write_b64 v0, v[2:3]
	buffer_store_dword v6, off, s[0:3], s33 offset:128 ; 4-byte Folded Spill
	s_nop 0
	buffer_store_dword v7, off, s[0:3], s33 offset:132 ; 4-byte Folded Spill
	flat_load_dwordx2 v[2:3], v[6:7] offset:16
	s_waitcnt vmcnt(0) lgkmcnt(0)
	ds_write_b64 v0, v[2:3]
.LBB2_26:
	s_or_b64 exec, exec, s[6:7]
	flat_load_dwordx2 v[8:9], v[16:17] offset:608
	v_and_b32_e32 v2, 32, v57
	v_cmp_ne_u32_e32 vcc, 0, v2
                                        ; implicit-def: $vgpr22_vgpr23
	s_and_saveexec_b64 s[6:7], vcc
	s_cbranch_execz .LBB2_28
; %bb.27:
	flat_load_dwordx2 v[22:23], v[16:17] offset:560
	s_waitcnt vmcnt(0) lgkmcnt(0)
	flat_store_dwordx2 v[22:23], v[8:9]
.LBB2_28:
	s_or_b64 exec, exec, s[6:7]
	v_add_co_u32_e32 v60, vcc, 0x1f8, v16
	v_addc_co_u32_e32 v61, vcc, 0, v17, vcc
	v_and_b32_e32 v2, 4, v57
	v_mov_b32_e32 v6, 0
	v_mov_b32_e32 v7, 0
	v_cmp_ne_u32_e32 vcc, 0, v2
                                        ; implicit-def: $vgpr56
                                        ; implicit-def: $vgpr28_vgpr29
                                        ; implicit-def: $vgpr2_vgpr3
                                        ; kill: killed $vgpr2_vgpr3
	s_and_saveexec_b64 s[6:7], vcc
	s_cbranch_execz .LBB2_32
; %bb.29:
	v_and_b32_e32 v2, 0x800, v57
	v_cmp_eq_u32_e32 vcc, 0, v2
	s_and_saveexec_b64 s[10:11], vcc
	s_cbranch_execz .LBB2_31
; %bb.30:
	s_trap 2
	ds_write_b64 v0, v[60:61]
.LBB2_31:
	s_or_b64 exec, exec, s[10:11]
	flat_load_dwordx2 v[22:23], v[16:17] offset:552
	s_waitcnt vmcnt(0) lgkmcnt(0)
	flat_load_dwordx2 v[28:29], v[22:23] glc
	flat_load_dwordx2 v[6:7], v[16:17] offset:600
	flat_load_dword v56, v[16:17] offset:576
	flat_load_dwordx2 v[2:3], v[16:17] offset:520
	s_waitcnt vmcnt(0) lgkmcnt(0)
	buffer_store_dword v2, off, s[0:3], s33 offset:60 ; 4-byte Folded Spill
	s_nop 0
	buffer_store_dword v3, off, s[0:3], s33 offset:64 ; 4-byte Folded Spill
	v_cmp_eq_u64_e32 vcc, 0, v[6:7]
	v_or_b32_e32 v2, 0x100, v57
	v_cndmask_b32_e32 v57, v2, v57, vcc
.LBB2_32:
	s_or_b64 exec, exec, s[6:7]
.LBB2_33:
	s_or_b64 exec, exec, s[4:5]
	v_and_b32_e32 v2, 24, v57
	v_cmp_ne_u32_e32 vcc, 0, v2
                                        ; implicit-def: $vgpr2_vgpr3
                                        ; kill: killed $vgpr2_vgpr3
	s_and_saveexec_b64 s[4:5], vcc
	s_cbranch_execz .LBB2_41
; %bb.34:
	s_trap 2
	ds_read_b64 v[2:3], v0
	v_lshlrev_b64 v[6:7], 3, v[36:37]
	v_and_b32_e32 v1, 0xffff, v1
	s_movk_i32 s6, 0xa8
	s_waitcnt lgkmcnt(0)
	v_add_co_u32_e32 v2, vcc, v2, v6
	v_addc_co_u32_e32 v3, vcc, v3, v7, vcc
	flat_load_dwordx2 v[2:3], v[2:3]
	s_waitcnt vmcnt(0) lgkmcnt(0)
	v_mad_u64_u32 v[60:61], s[6:7], v1, s6, v[2:3]
	v_or_b32_e32 v1, 0x100, v57
	flat_load_dwordx4 v[6:9], v[60:61] offset:96
	s_waitcnt vmcnt(0) lgkmcnt(0)
	v_cmp_eq_u64_e32 vcc, 0, v[6:7]
	v_cndmask_b32_e32 v57, v1, v57, vcc
	v_and_b32_e32 v1, 16, v57
	v_cmp_ne_u32_e32 vcc, 0, v1
                                        ; implicit-def: $vgpr1_vgpr2
                                        ; kill: killed $vgpr1_vgpr2
	s_and_saveexec_b64 s[6:7], vcc
	s_cbranch_execz .LBB2_36
; %bb.35:
	flat_load_dwordx2 v[22:23], v[60:61] offset:48
	flat_load_dwordx2 v[1:2], v[60:61] offset:120
	s_waitcnt vmcnt(0) lgkmcnt(0)
	buffer_store_dword v1, off, s[0:3], s33 offset:72 ; 4-byte Folded Spill
	s_nop 0
	buffer_store_dword v2, off, s[0:3], s33 offset:76 ; 4-byte Folded Spill
	flat_load_dwordx2 v[1:2], v[60:61] offset:16
	s_waitcnt vmcnt(0) lgkmcnt(0)
	buffer_store_dword v1, off, s[0:3], s33 offset:60 ; 4-byte Folded Spill
	s_nop 0
	buffer_store_dword v2, off, s[0:3], s33 offset:64 ; 4-byte Folded Spill
.LBB2_36:
	s_or_b64 exec, exec, s[6:7]
	v_and_b32_e32 v1, 8, v57
	v_cmp_ne_u32_e32 vcc, 0, v1
	s_and_saveexec_b64 s[6:7], vcc
	s_cbranch_execz .LBB2_40
; %bb.37:
	v_and_b32_e32 v1, 0x800, v57
	v_cmp_eq_u32_e32 vcc, 0, v1
	s_and_saveexec_b64 s[10:11], vcc
	s_cbranch_execz .LBB2_39
; %bb.38:
	s_trap 2
	ds_write_b64 v0, v[60:61]
.LBB2_39:
	s_or_b64 exec, exec, s[10:11]
	flat_load_dwordx2 v[22:23], v[60:61] offset:56
	s_waitcnt vmcnt(0) lgkmcnt(0)
	flat_load_dwordx2 v[28:29], v[22:23] glc
	flat_load_dword v56, v[60:61] offset:72
	flat_load_dwordx2 v[1:2], v[60:61] offset:16
	s_waitcnt vmcnt(0) lgkmcnt(0)
	buffer_store_dword v1, off, s[0:3], s33 offset:60 ; 4-byte Folded Spill
	s_nop 0
	buffer_store_dword v2, off, s[0:3], s33 offset:64 ; 4-byte Folded Spill
.LBB2_40:
	s_or_b64 exec, exec, s[6:7]
.LBB2_41:
	s_or_b64 exec, exec, s[4:5]
	v_cmp_eq_u32_e64 s[4:5], 0, v0
	s_and_saveexec_b64 s[6:7], s[4:5]
	s_cbranch_execz .LBB2_43
; %bb.42:
	s_waitcnt vmcnt(0)
	v_mov_b32_e32 v1, v12
	v_mov_b32_e32 v2, v13
	ds_write2_b64 v0, v[1:2], v[10:11] offset1:1
	v_mov_b32_e32 v1, 0
	v_mov_b32_e32 v2, v1
	s_trap 2
	ds_write_b64 v0, v[1:2]
	ds_write_b64 v0, v[32:33]
.LBB2_43:
	s_or_b64 exec, exec, s[6:7]
	v_bfe_u32 v1, v15, 1, 30
	s_waitcnt vmcnt(0)
	v_and_b32_e32 v32, 0x3ffffe00, v26
	v_mov_b32_e32 v33, 0
	v_cmp_ne_u32_e32 vcc, v19, v1
                                        ; implicit-def: $vgpr26_vgpr27
	s_and_saveexec_b64 s[6:7], vcc
	s_xor_b64 s[42:43], exec, s[6:7]
	s_cbranch_execz .LBB2_4069
; %bb.44:
	v_cmp_ne_u32_e32 vcc, v14, v1
                                        ; implicit-def: $vgpr26_vgpr27
	s_and_saveexec_b64 s[6:7], vcc
	s_xor_b64 s[44:45], exec, s[6:7]
	s_cbranch_execz .LBB2_2060
; %bb.45:
	v_mov_b32_e32 v26, 0
	v_cmp_ne_u64_e32 vcc, 0, v[4:5]
	v_mov_b32_e32 v27, 0
	s_and_saveexec_b64 s[46:47], vcc
	s_cbranch_execz .LBB2_2059
; %bb.46:
	s_ashr_i32 s6, s50, 31
	s_lshr_b32 s6, s6, 24
	s_add_i32 s6, s50, s6
	v_and_b32_e32 v1, 63, v45
	buffer_store_dword v60, off, s[0:3], s33 offset:136 ; 4-byte Folded Spill
	s_nop 0
	buffer_store_dword v61, off, s[0:3], s33 offset:140 ; 4-byte Folded Spill
	buffer_store_dword v58, off, s[0:3], s33 offset:84 ; 4-byte Folded Spill
	s_nop 0
	buffer_store_dword v59, off, s[0:3], s33 offset:88 ; 4-byte Folded Spill
	s_trap 2
	s_ashr_i32 s51, s6, 8
	v_cmp_ge_u32_e64 s[6:7], v0, v44
	v_cmp_eq_u32_e64 s[12:13], 0, v1
	v_and_b32_e32 v1, 63, v0
	buffer_store_dword v0, off, s[0:3], s33 offset:80 ; 4-byte Folded Spill
	v_lshlrev_b32_e32 v0, 4, v0
	buffer_store_dword v56, off, s[0:3], s33 offset:92 ; 4-byte Folded Spill
	buffer_store_dword v46, off, s[0:3], s33 offset:124 ; 4-byte Folded Spill
	;; [unrolled: 1-line block ×6, first 2 shown]
	v_cmp_le_u32_e64 s[14:15], v1, v18
	v_cmp_lt_u32_e64 s[16:17], v1, v18
	buffer_load_dword v0, off, s[0:3], s33 offset:72 ; 4-byte Folded Reload
	buffer_load_dword v1, off, s[0:3], s33 offset:76 ; 4-byte Folded Reload
	v_cmp_eq_u32_e32 vcc, 64, v44
	s_mov_b32 s58, 0
	v_lshrrev_b32_e32 v59, 6, v44
	v_mov_b32_e32 v38, 0
	v_mov_b32_e32 v26, 0
	s_mov_b32 s78, -1
	v_ashrrev_i32_e32 v35, 31, v56
	v_cmp_ne_u32_e64 s[10:11], 64, v44
	v_cmp_ne_u32_sdwa s[56:57], v44, v46 src0_sel:DWORD src1_sel:WORD_0
	s_mov_b32 s59, 0x1000000
	v_mov_b32_e32 v37, 0
	v_lshlrev_b32_e32 v61, 10, v59
	v_lshlrev_b32_e32 v62, 9, v59
	v_and_b32_e32 v52, 0x3fc0, v44
	s_mov_b64 s[60:61], 0
	v_mov_b32_e32 v39, 0
	v_mov_b32_e32 v27, 0
	s_movk_i32 s52, 0x108
	v_mov_b32_e32 v53, 1
	s_xor_b64 s[62:63], vcc, -1
	s_movk_i32 s53, 0x7f
	s_brev_b32 s54, 1
	s_movk_i32 s55, 0x80
	s_mov_b64 s[72:73], 0x7f800000
	s_mov_b64 s[74:75], 0x43e00001
	s_movk_i32 s64, 0x7a
	s_mov_b64 s[76:77], 0xffffff
	s_mov_b32 s79, 0xffffff
	s_mov_b32 s65, 0x3ffffc00
	s_movk_i32 s66, 0xffc0
	v_mov_b32_e32 v54, 0xc8
	v_mov_b32_e32 v55, 0x90
	v_bfrev_b32_e32 v3, 60
	v_mov_b32_e32 v56, 0x7f800001
	v_mov_b32_e32 v2, 0x78
	;; [unrolled: 1-line block ×3, first 2 shown]
	v_bfrev_b32_e32 v21, 1
	buffer_store_dword v35, off, s[0:3], s33 offset:104 ; 4-byte Folded Spill
	buffer_store_dword v59, off, s[0:3], s33 offset:68 ; 4-byte Folded Spill
	;; [unrolled: 1-line block ×3, first 2 shown]
	s_waitcnt vmcnt(0)
	v_cmp_eq_u64_e64 s[18:19], 0, v[0:1]
	s_branch .LBB2_49
.LBB2_47:                               ;   in Loop: Header=BB2_49 Depth=1
	s_or_b64 exec, exec, s[20:21]
.LBB2_48:                               ;   in Loop: Header=BB2_49 Depth=1
	s_or_b64 exec, exec, s[22:23]
	v_add_co_u32_e32 v38, vcc, v38, v32
	v_addc_co_u32_e32 v39, vcc, 0, v39, vcc
	v_cmp_ge_u64_e32 vcc, v[38:39], v[4:5]
	s_or_b64 s[60:61], vcc, s[60:61]
	s_andn2_b64 exec, exec, s[60:61]
	s_cbranch_execz .LBB2_2058
.LBB2_49:                               ; =>This Loop Header: Depth=1
                                        ;     Child Loop BB2_58 Depth 2
                                        ;     Child Loop BB2_84 Depth 2
	;; [unrolled: 1-line block ×10, first 2 shown]
	v_sub_co_u32_e32 v0, vcc, v4, v38
	v_subb_co_u32_e32 v1, vcc, v5, v39, vcc
	v_cmp_lt_u64_e32 vcc, v[32:33], v[0:1]
	v_cndmask_b32_e64 v49, v1, 0, vcc
	v_cndmask_b32_e32 v48, v0, v32, vcc
	v_cmp_eq_u64_e32 vcc, 0, v[48:49]
	v_add_u32_e32 v0, 15, v48
	v_and_b32_e32 v0, 0x7ffffff0, v0
	s_or_b64 s[88:89], s[6:7], vcc
	v_max_i32_e32 v49, s51, v0
	s_xor_b64 s[20:21], s[88:89], -1
	v_mov_b32_e32 v0, v37
	s_and_saveexec_b64 s[90:91], s[20:21]
	s_cbranch_execz .LBB2_2008
; %bb.50:                               ;   in Loop: Header=BB2_49 Depth=1
	s_and_saveexec_b64 s[20:21], s[4:5]
	s_cbranch_execz .LBB2_52
; %bb.51:                               ;   in Loop: Header=BB2_49 Depth=1
	s_trap 2
	ds_read_b64 v[0:1], v0
	buffer_load_dword v10, off, s[0:3], s33 offset:84 ; 4-byte Folded Reload
	buffer_load_dword v11, off, s[0:3], s33 offset:88 ; 4-byte Folded Reload
	v_mov_b32_e32 v36, v37
	s_waitcnt vmcnt(0) lgkmcnt(0)
	v_add_co_u32_e32 v0, vcc, v0, v10
	v_addc_co_u32_e32 v1, vcc, v1, v11, vcc
	v_add_co_u32_e32 v0, vcc, v0, v38
	v_addc_co_u32_e32 v1, vcc, v1, v39, vcc
	ds_write_b64 v0, v[0:1]
	ds_write_b64 v0, v[36:37]
.LBB2_52:                               ;   in Loop: Header=BB2_49 Depth=1
	s_or_b64 exec, exec, s[20:21]
	v_and_b32_e32 v0, 12, v57
	v_min_u32_e32 v49, v49, v48
	v_cmp_ne_u32_e32 vcc, 0, v0
	s_and_saveexec_b64 s[22:23], vcc
	s_cbranch_execz .LBB2_76
; %bb.53:                               ;   in Loop: Header=BB2_49 Depth=1
	v_and_b32_e32 v0, 8, v57
	v_add_co_u32_e32 v12, vcc, v28, v0
	v_addc_co_u32_e32 v13, vcc, 0, v29, vcc
	s_waitcnt lgkmcnt(0)
	v_add_co_u32_e32 v10, vcc, 1, v8
	v_addc_co_u32_e32 v11, vcc, 0, v9, vcc
	v_cmp_lt_u64_e32 vcc, v[12:13], v[10:11]
	s_and_saveexec_b64 s[24:25], vcc
	s_cbranch_execz .LBB2_65
; %bb.54:                               ;   in Loop: Header=BB2_49 Depth=1
	v_and_b32_e32 v1, 64, v57
	s_mov_b32 s67, 0
	v_cmp_eq_u32_e32 vcc, 0, v1
	s_mov_b64 s[26:27], 0
                                        ; implicit-def: $sgpr28_sgpr29
                                        ; implicit-def: $sgpr92_sgpr93
                                        ; implicit-def: $sgpr94_sgpr95
	s_branch .LBB2_58
.LBB2_55:                               ;   in Loop: Header=BB2_58 Depth=2
	s_waitcnt vmcnt(0) lgkmcnt(0)
	v_add_co_u32_e64 v12, s[20:21], v28, v0
	v_addc_co_u32_e64 v13, s[20:21], 0, v29, s[20:21]
	v_cmp_ge_u64_e64 s[20:21], v[12:13], v[10:11]
	s_or_b64 s[36:37], s[36:37], exec
	s_orn2_b64 s[34:35], s[20:21], exec
.LBB2_56:                               ;   in Loop: Header=BB2_58 Depth=2
	s_or_b64 exec, exec, s[48:49]
	s_andn2_b64 s[20:21], s[94:95], exec
	s_and_b64 s[94:95], s[36:37], exec
	s_or_b64 s[94:95], s[20:21], s[94:95]
	s_andn2_b64 s[20:21], s[92:93], exec
	s_and_b64 s[92:93], s[34:35], exec
	s_or_b64 s[92:93], s[20:21], s[92:93]
.LBB2_57:                               ;   in Loop: Header=BB2_58 Depth=2
	s_or_b64 exec, exec, s[30:31]
	s_and_b64 s[20:21], exec, s[92:93]
	s_or_b64 s[26:27], s[20:21], s[26:27]
	s_andn2_b64 s[20:21], s[28:29], exec
	s_and_b64 s[28:29], s[94:95], exec
	s_or_b64 s[28:29], s[20:21], s[28:29]
	s_andn2_b64 exec, exec, s[26:27]
	s_cbranch_execz .LBB2_62
.LBB2_58:                               ;   Parent Loop BB2_49 Depth=1
                                        ; =>  This Inner Loop Header: Depth=2
	s_sleep 1
	s_waitcnt vmcnt(0) lgkmcnt(0)
	flat_load_dwordx2 v[28:29], v[22:23] glc
	s_or_b64 s[94:95], s[94:95], exec
	s_or_b64 s[92:93], s[92:93], exec
                                        ; implicit-def: $vgpr1
	s_and_saveexec_b64 s[30:31], vcc
	s_cbranch_execz .LBB2_57
; %bb.59:                               ;   in Loop: Header=BB2_58 Depth=2
	s_cmpk_lt_i32 s67, 0x270f
	s_cselect_b64 s[38:39], -1, 0
	s_cmpk_gt_i32 s67, 0x270e
	s_mov_b64 s[34:35], -1
	s_cbranch_scc0 .LBB2_61
; %bb.60:                               ;   in Loop: Header=BB2_58 Depth=2
	s_trap 2
	ds_read_b64 v[12:13], v0
	s_andn2_b64 s[38:39], s[38:39], exec
	s_mov_b32 s67, 0
	s_mov_b64 s[36:37], 0
	s_waitcnt vmcnt(0) lgkmcnt(0)
	flat_load_dword v1, v[12:13] glc
	s_waitcnt vmcnt(0) lgkmcnt(0)
	buffer_wbinvl1_vol
	v_cmp_eq_u32_e64 s[20:21], 0, v1
	s_and_b64 s[20:21], s[20:21], exec
	s_or_b64 s[38:39], s[38:39], s[20:21]
	s_and_saveexec_b64 s[48:49], s[38:39]
	s_cbranch_execz .LBB2_56
	s_branch .LBB2_55
.LBB2_61:                               ;   in Loop: Header=BB2_58 Depth=2
	s_add_i32 s67, s67, 1
	s_mov_b64 s[36:37], -1
                                        ; implicit-def: $vgpr1
	s_and_saveexec_b64 s[48:49], s[38:39]
	s_cbranch_execz .LBB2_56
	s_branch .LBB2_55
.LBB2_62:                               ;   in Loop: Header=BB2_49 Depth=1
	s_or_b64 exec, exec, s[26:27]
	s_xor_b64 s[20:21], s[28:29], -1
	s_and_saveexec_b64 s[26:27], s[20:21]
	s_xor_b64 s[20:21], exec, s[26:27]
	s_cbranch_execz .LBB2_64
; %bb.63:                               ;   in Loop: Header=BB2_49 Depth=1
	v_or_b32_e32 v57, 64, v57
	s_waitcnt lgkmcnt(0)
	ds_write_b32 v0, v1
	s_trap 2
.LBB2_64:                               ;   in Loop: Header=BB2_49 Depth=1
	s_or_b64 exec, exec, s[20:21]
.LBB2_65:                               ;   in Loop: Header=BB2_49 Depth=1
	s_or_b64 exec, exec, s[24:25]
	v_and_b32_e32 v1, 0x108, v57
	v_cmp_ne_u32_e32 vcc, s52, v1
	v_and_b32_e32 v1, 7, v8
	;;#ASMSTART
	s_wakeup
	;;#ASMEND
	s_and_saveexec_b64 s[20:21], vcc
	s_xor_b64 s[20:21], exec, s[20:21]
	s_andn2_saveexec_b64 s[20:21], s[20:21]
	s_cbranch_execz .LBB2_67
; %bb.66:                               ;   in Loop: Header=BB2_49 Depth=1
	v_mad_u64_u32 v[8:9], s[24:25], v1, 24, v[6:7]
	v_mov_b32_e32 v50, v37
	flat_store_dwordx2 v[8:9], v[49:50] offset:8
.LBB2_67:                               ;   in Loop: Header=BB2_49 Depth=1
	s_or_b64 exec, exec, s[20:21]
	v_and_b32_e32 v8, 0x100, v57
	v_cmp_ne_u32_e32 vcc, 0, v8
	s_mov_b64 s[20:21], -1
                                        ; implicit-def: $vgpr8_vgpr9
	s_and_saveexec_b64 s[24:25], vcc
	s_cbranch_execz .LBB2_71
; %bb.68:                               ;   in Loop: Header=BB2_49 Depth=1
	v_mad_u64_u32 v[12:13], s[20:21], v1, 24, v[6:7]
	v_mov_b32_e32 v8, v13
	v_mad_u64_u32 v[8:9], s[20:21], v37, 24, v[8:9]
	v_mov_b32_e32 v13, v8
	flat_load_dword v8, v[12:13]
	s_waitcnt vmcnt(0) lgkmcnt(0)
	v_cmp_ne_u32_e32 vcc, 1, v8
	v_cmp_eq_u32_e64 s[20:21], 1, v8
                                        ; implicit-def: $vgpr8_vgpr9
	s_and_saveexec_b64 s[26:27], s[20:21]
	s_cbranch_execz .LBB2_70
; %bb.69:                               ;   in Loop: Header=BB2_49 Depth=1
	flat_load_dword v8, v[12:13] offset:4 glc
	s_waitcnt vmcnt(0) lgkmcnt(0)
	v_ashrrev_i32_e32 v9, 31, v8
.LBB2_70:                               ;   in Loop: Header=BB2_49 Depth=1
	s_or_b64 exec, exec, s[26:27]
	s_orn2_b64 s[20:21], vcc, exec
.LBB2_71:                               ;   in Loop: Header=BB2_49 Depth=1
	s_or_b64 exec, exec, s[24:25]
	s_and_saveexec_b64 s[24:25], s[20:21]
	s_cbranch_execz .LBB2_73
; %bb.72:                               ;   in Loop: Header=BB2_49 Depth=1
	buffer_load_dword v8, off, s[0:3], s33 offset:92 ; 4-byte Folded Reload
	v_mul_lo_u32 v13, v1, v35
	s_waitcnt vmcnt(0)
	v_mul_lo_u32 v12, v37, v8
	v_mad_u64_u32 v[8:9], s[20:21], v1, v8, 0
	v_add3_u32 v9, v9, v13, v12
.LBB2_73:                               ;   in Loop: Header=BB2_49 Depth=1
	s_or_b64 exec, exec, s[24:25]
	v_cmp_eq_u32_e32 vcc, 0, v0
	buffer_load_dword v0, off, s[0:3], s33 offset:60 ; 4-byte Folded Reload
	buffer_load_dword v1, off, s[0:3], s33 offset:64 ; 4-byte Folded Reload
	v_cndmask_b32_e32 v12, v54, v55, vcc
	s_waitcnt vmcnt(0)
	v_add_co_u32_e32 v0, vcc, v0, v8
	v_addc_co_u32_e32 v1, vcc, v1, v9, vcc
	v_add_u32_e32 v8, v0, v12
	ds_write_b64 v8, v[0:1] offset:584
	v_and_b32_e32 v0, 0x2000, v57
	v_cmp_ne_u32_e32 vcc, 0, v0
	s_and_saveexec_b64 s[20:21], vcc
	s_cbranch_execz .LBB2_75
; %bb.74:                               ;   in Loop: Header=BB2_49 Depth=1
	ds_read_b64 v[0:1], v0 offset:872
	s_waitcnt lgkmcnt(0)
	v_add_co_u32_e32 v0, vcc, 1, v0
	v_addc_co_u32_e32 v1, vcc, 0, v1, vcc
	ds_write_b64 v0, v[0:1] offset:872
.LBB2_75:                               ;   in Loop: Header=BB2_49 Depth=1
	s_or_b64 exec, exec, s[20:21]
	v_mov_b32_e32 v8, v10
	v_mov_b32_e32 v9, v11
.LBB2_76:                               ;   in Loop: Header=BB2_49 Depth=1
	s_or_b64 exec, exec, s[22:23]
	s_and_saveexec_b64 s[20:21], s[10:11]
	s_cbranch_execz .LBB2_95
; %bb.77:                               ;   in Loop: Header=BB2_49 Depth=1
	s_and_saveexec_b64 s[22:23], s[56:57]
	s_xor_b64 s[22:23], exec, s[22:23]
	s_cbranch_execz .LBB2_92
; %bb.78:                               ;   in Loop: Header=BB2_49 Depth=1
	s_and_saveexec_b64 s[24:25], s[12:13]
	s_cbranch_execz .LBB2_91
; %bb.79:                               ;   in Loop: Header=BB2_49 Depth=1
	s_mov_b64 s[28:29], exec
	v_mbcnt_lo_u32_b32 v0, s28, 0
	v_mbcnt_hi_u32_b32 v0, s29, v0
	v_cmp_eq_u32_e32 vcc, 0, v0
	s_waitcnt vmcnt(0) lgkmcnt(0)
	buffer_wbinvl1_vol
	s_and_saveexec_b64 s[26:27], vcc
	s_cbranch_execz .LBB2_81
; %bb.80:                               ;   in Loop: Header=BB2_49 Depth=1
	s_bcnt1_i32_b64 s28, s[28:29]
	v_mov_b32_e32 v36, s28
	ds_add_u64 v0, v[36:37]
	s_trap 2
.LBB2_81:                               ;   in Loop: Header=BB2_49 Depth=1
	s_or_b64 exec, exec, s[26:27]
	s_trap 2
	ds_read_b64 v[0:1], v0
	s_waitcnt lgkmcnt(0)
	v_add_co_u32_e32 v26, vcc, v26, v59
	v_addc_co_u32_e32 v27, vcc, 0, v27, vcc
	v_cmp_lt_u64_e32 vcc, v[0:1], v[26:27]
	s_and_saveexec_b64 s[26:27], vcc
	s_cbranch_execz .LBB2_90
; %bb.82:                               ;   in Loop: Header=BB2_49 Depth=1
	s_mov_b32 s36, 0
	s_mov_b64 s[28:29], 0
                                        ; implicit-def: $sgpr92_sgpr93
                                        ; implicit-def: $sgpr94_sgpr95
	s_branch .LBB2_84
.LBB2_83:                               ;   in Loop: Header=BB2_84 Depth=2
	s_or_b64 exec, exec, s[34:35]
	s_and_b64 vcc, exec, vcc
	s_or_b64 s[28:29], vcc, s[28:29]
	s_andn2_b64 s[92:93], s[92:93], exec
	s_and_b64 vcc, s[94:95], exec
	s_or_b64 s[92:93], s[92:93], vcc
	s_andn2_b64 exec, exec, s[28:29]
	s_cbranch_execz .LBB2_88
.LBB2_84:                               ;   Parent Loop BB2_49 Depth=1
                                        ; =>  This Inner Loop Header: Depth=2
	s_add_i32 s36, s36, 1
	s_cmpk_lg_i32 s36, 0x2710
	s_cselect_b64 s[30:31], -1, 0
	s_and_b64 vcc, exec, s[30:31]
	s_cbranch_vccz .LBB2_86
; %bb.85:                               ;   in Loop: Header=BB2_84 Depth=2
	s_mov_b64 vcc, -1
	s_or_b64 s[94:95], s[94:95], exec
	s_and_saveexec_b64 s[34:35], s[30:31]
	s_cbranch_execz .LBB2_83
	s_branch .LBB2_87
.LBB2_86:                               ;   in Loop: Header=BB2_84 Depth=2
	s_trap 2
	ds_read_b64 v[0:1], v0
	s_andn2_b64 s[30:31], s[30:31], exec
	s_mov_b32 s36, 0
	s_waitcnt lgkmcnt(0)
	flat_load_dword v0, v[0:1] glc
	s_waitcnt vmcnt(0) lgkmcnt(0)
	buffer_wbinvl1_vol
	v_cmp_eq_u32_e32 vcc, 0, v0
	s_and_b64 vcc, vcc, exec
	s_or_b64 s[30:31], s[30:31], vcc
	s_mov_b64 vcc, -1
	s_or_b64 s[94:95], s[94:95], exec
	s_and_saveexec_b64 s[34:35], s[30:31]
	s_cbranch_execz .LBB2_83
.LBB2_87:                               ;   in Loop: Header=BB2_84 Depth=2
	s_sleep 1
	s_trap 2
	ds_read_b64 v[0:1], v0
	s_waitcnt lgkmcnt(0)
	s_andn2_b64 s[94:95], s[94:95], exec
	v_cmp_ge_u64_e32 vcc, v[0:1], v[26:27]
	s_orn2_b64 vcc, vcc, exec
	s_branch .LBB2_83
.LBB2_88:                               ;   in Loop: Header=BB2_49 Depth=1
	s_or_b64 exec, exec, s[28:29]
	s_and_saveexec_b64 s[28:29], s[92:93]
	s_xor_b64 s[28:29], exec, s[28:29]
	s_cbranch_execz .LBB2_90
; %bb.89:                               ;   in Loop: Header=BB2_49 Depth=1
	ds_write_b32 v0, v53
	s_trap 2
.LBB2_90:                               ;   in Loop: Header=BB2_49 Depth=1
	s_or_b64 exec, exec, s[26:27]
	;;#ASMSTART
	s_wakeup
	;;#ASMEND
.LBB2_91:                               ;   in Loop: Header=BB2_49 Depth=1
	s_or_b64 exec, exec, s[24:25]
.LBB2_92:                               ;   in Loop: Header=BB2_49 Depth=1
	s_andn2_saveexec_b64 s[22:23], s[22:23]
	s_cbranch_execz .LBB2_94
; %bb.93:                               ;   in Loop: Header=BB2_49 Depth=1
	s_waitcnt vmcnt(0) lgkmcnt(0)
	buffer_wbinvl1_vol
	s_barrier
.LBB2_94:                               ;   in Loop: Header=BB2_49 Depth=1
	s_or_b64 exec, exec, s[22:23]
.LBB2_95:                               ;   in Loop: Header=BB2_49 Depth=1
	s_or_b64 exec, exec, s[20:21]
	s_trap 2
	ds_read_b32 v0, v0
	v_and_b32_e32 v1, 0x4000, v57
	v_cmp_ne_u32_e32 vcc, 0, v1
	s_and_b64 s[22:23], s[62:63], vcc
	s_and_saveexec_b64 s[20:21], s[22:23]
	s_cbranch_execz .LBB2_114
; %bb.96:                               ;   in Loop: Header=BB2_49 Depth=1
	s_and_saveexec_b64 s[22:23], s[56:57]
	s_xor_b64 s[22:23], exec, s[22:23]
	s_cbranch_execz .LBB2_111
; %bb.97:                               ;   in Loop: Header=BB2_49 Depth=1
	s_and_saveexec_b64 s[24:25], s[12:13]
	s_cbranch_execz .LBB2_110
; %bb.98:                               ;   in Loop: Header=BB2_49 Depth=1
	s_mov_b64 s[28:29], exec
	v_mbcnt_lo_u32_b32 v1, s28, 0
	v_mbcnt_hi_u32_b32 v1, s29, v1
	v_cmp_eq_u32_e32 vcc, 0, v1
	s_waitcnt vmcnt(0) lgkmcnt(0)
	buffer_wbinvl1_vol
	s_and_saveexec_b64 s[26:27], vcc
	s_cbranch_execz .LBB2_100
; %bb.99:                               ;   in Loop: Header=BB2_49 Depth=1
	s_bcnt1_i32_b64 s28, s[28:29]
	v_mov_b32_e32 v36, s28
	ds_add_u64 v0, v[36:37]
	s_trap 2
.LBB2_100:                              ;   in Loop: Header=BB2_49 Depth=1
	s_or_b64 exec, exec, s[26:27]
	s_trap 2
	ds_read_b64 v[10:11], v0
	s_waitcnt lgkmcnt(0)
	v_add_co_u32_e32 v26, vcc, v26, v59
	v_addc_co_u32_e32 v27, vcc, 0, v27, vcc
	v_cmp_lt_u64_e32 vcc, v[10:11], v[26:27]
	s_and_saveexec_b64 s[26:27], vcc
	s_cbranch_execz .LBB2_109
; %bb.101:                              ;   in Loop: Header=BB2_49 Depth=1
	s_mov_b32 s36, 0
	s_mov_b64 s[28:29], 0
                                        ; implicit-def: $sgpr92_sgpr93
                                        ; implicit-def: $sgpr94_sgpr95
	s_branch .LBB2_103
.LBB2_102:                              ;   in Loop: Header=BB2_103 Depth=2
	s_or_b64 exec, exec, s[34:35]
	s_and_b64 vcc, exec, vcc
	s_or_b64 s[28:29], vcc, s[28:29]
	s_andn2_b64 s[92:93], s[92:93], exec
	s_and_b64 vcc, s[94:95], exec
	s_or_b64 s[92:93], s[92:93], vcc
	s_andn2_b64 exec, exec, s[28:29]
	s_cbranch_execz .LBB2_107
.LBB2_103:                              ;   Parent Loop BB2_49 Depth=1
                                        ; =>  This Inner Loop Header: Depth=2
	s_add_i32 s36, s36, 1
	s_cmpk_lg_i32 s36, 0x2710
	s_cselect_b64 s[30:31], -1, 0
	s_and_b64 vcc, exec, s[30:31]
	s_cbranch_vccz .LBB2_105
; %bb.104:                              ;   in Loop: Header=BB2_103 Depth=2
	s_mov_b64 vcc, -1
	s_or_b64 s[94:95], s[94:95], exec
	s_and_saveexec_b64 s[34:35], s[30:31]
	s_cbranch_execz .LBB2_102
	s_branch .LBB2_106
.LBB2_105:                              ;   in Loop: Header=BB2_103 Depth=2
	s_trap 2
	ds_read_b64 v[10:11], v0
	s_andn2_b64 s[30:31], s[30:31], exec
	s_mov_b32 s36, 0
	s_waitcnt lgkmcnt(0)
	flat_load_dword v1, v[10:11] glc
	s_waitcnt vmcnt(0) lgkmcnt(0)
	buffer_wbinvl1_vol
	v_cmp_eq_u32_e32 vcc, 0, v1
	s_and_b64 vcc, vcc, exec
	s_or_b64 s[30:31], s[30:31], vcc
	s_mov_b64 vcc, -1
	s_or_b64 s[94:95], s[94:95], exec
	s_and_saveexec_b64 s[34:35], s[30:31]
	s_cbranch_execz .LBB2_102
.LBB2_106:                              ;   in Loop: Header=BB2_103 Depth=2
	s_sleep 1
	s_trap 2
	ds_read_b64 v[10:11], v0
	s_waitcnt lgkmcnt(0)
	s_andn2_b64 s[94:95], s[94:95], exec
	v_cmp_ge_u64_e32 vcc, v[10:11], v[26:27]
	s_orn2_b64 vcc, vcc, exec
	s_branch .LBB2_102
.LBB2_107:                              ;   in Loop: Header=BB2_49 Depth=1
	s_or_b64 exec, exec, s[28:29]
	s_and_saveexec_b64 s[28:29], s[92:93]
	s_xor_b64 s[28:29], exec, s[28:29]
	s_cbranch_execz .LBB2_109
; %bb.108:                              ;   in Loop: Header=BB2_49 Depth=1
	ds_write_b32 v0, v53
	s_trap 2
.LBB2_109:                              ;   in Loop: Header=BB2_49 Depth=1
	s_or_b64 exec, exec, s[26:27]
	;;#ASMSTART
	s_wakeup
	;;#ASMEND
.LBB2_110:                              ;   in Loop: Header=BB2_49 Depth=1
	s_or_b64 exec, exec, s[24:25]
.LBB2_111:                              ;   in Loop: Header=BB2_49 Depth=1
	s_andn2_saveexec_b64 s[22:23], s[22:23]
	s_cbranch_execz .LBB2_113
; %bb.112:                              ;   in Loop: Header=BB2_49 Depth=1
	s_waitcnt vmcnt(0) lgkmcnt(0)
	buffer_wbinvl1_vol
	s_barrier
.LBB2_113:                              ;   in Loop: Header=BB2_49 Depth=1
	s_or_b64 exec, exec, s[22:23]
.LBB2_114:                              ;   in Loop: Header=BB2_49 Depth=1
	s_or_b64 exec, exec, s[20:21]
	s_trap 2
	s_waitcnt lgkmcnt(0)
	ds_read_b64 v[18:19], v0
	s_waitcnt lgkmcnt(0)
	v_cmp_eq_u64_e32 vcc, 0, v[18:19]
	s_cbranch_vccnz .LBB2_122
; %bb.115:                              ;   in Loop: Header=BB2_49 Depth=1
	s_trap 2
	ds_read_b64 v[16:17], v0
	s_waitcnt lgkmcnt(0)
	v_cmp_eq_u64_e32 vcc, 0, v[16:17]
	s_cbranch_vccnz .LBB2_122
; %bb.116:                              ;   in Loop: Header=BB2_49 Depth=1
	s_trap 2
	ds_read_b64 v[10:11], v0
	s_mov_b64 s[20:21], -1
	s_waitcnt lgkmcnt(0)
	v_readfirstlane_b32 s48, v10
	s_and_saveexec_b64 s[22:23], s[14:15]
	s_cbranch_execz .LBB2_118
; %bb.117:                              ;   in Loop: Header=BB2_49 Depth=1
	ds_read_b32 v1, v0 offset:720
	s_waitcnt lgkmcnt(0)
	v_and_b32_e32 v1, 15, v1
	v_cmp_eq_u32_e32 vcc, 0, v1
	s_orn2_b64 s[20:21], vcc, exec
.LBB2_118:                              ;   in Loop: Header=BB2_49 Depth=1
	s_or_b64 exec, exec, s[22:23]
	s_and_saveexec_b64 s[22:23], s[16:17]
	s_cbranch_execz .LBB2_120
; %bb.119:                              ;   in Loop: Header=BB2_49 Depth=1
	ds_read_b32 v1, v0 offset:784
	s_waitcnt lgkmcnt(0)
	v_and_b32_e32 v1, 15, v1
	v_cmp_eq_u32_e32 vcc, 0, v1
	s_and_b64 s[24:25], s[20:21], vcc
	s_andn2_b64 s[20:21], s[20:21], exec
	s_and_b64 s[24:25], s[24:25], exec
	s_or_b64 s[20:21], s[20:21], s[24:25]
.LBB2_120:                              ;   in Loop: Header=BB2_49 Depth=1
	s_or_b64 exec, exec, s[22:23]
	s_xor_b64 s[20:21], s[20:21], -1
	v_cmp_eq_u32_e32 vcc, 0, v0
	v_cndmask_b32_e64 v0, 0, 1, s[20:21]
	v_cndmask_b32_e32 v40, 0, v49, vcc
	v_cmp_ne_u32_e32 vcc, 0, v0
	buffer_load_dword v0, off, s[0:3], s33 offset:80 ; 4-byte Folded Reload
	s_mov_b64 s[22:23], -1
	v_mov_b32_e32 v12, 0
	v_mov_b32_e32 v11, v40
	s_cbranch_vccz .LBB2_123
; %bb.121:                              ;   in Loop: Header=BB2_49 Depth=1
	s_and_saveexec_b64 s[26:27], s[22:23]
	s_cbranch_execnz .LBB2_1542
	s_branch .LBB2_1982
.LBB2_122:                              ;   in Loop: Header=BB2_49 Depth=1
	s_mov_b64 s[20:21], 0
	s_and_saveexec_b64 s[22:23], s[10:11]
	s_cbranch_execnz .LBB2_1983
	s_branch .LBB2_2001
.LBB2_123:                              ;   in Loop: Header=BB2_49 Depth=1
	buffer_load_dword v0, off, s[0:3], s33 offset:100 ; 4-byte Folded Reload
	buffer_load_dword v1, off, s[0:3], s33 offset:80 ; 4-byte Folded Reload
	v_and_b32_e32 v10, 0x3ff, v40
	v_cmp_lt_u32_e64 s[20:21], 15, v10
	s_waitcnt vmcnt(0)
	v_sub_u32_e32 v58, v40, v0
	v_lshrrev_b32_e32 v0, 10, v40
	s_waitcnt vmcnt(0)
	v_lshrrev_b32_e32 v1, 6, v1
	v_sub_u32_e32 v0, v0, v1
	v_addc_co_u32_e64 v31, vcc, 0, v0, s[20:21]
	v_cmp_lt_i32_e32 vcc, 15, v58
	s_and_saveexec_b64 s[92:93], vcc
	s_cbranch_execz .LBB2_831
; %bb.124:                              ;   in Loop: Header=BB2_49 Depth=1
	buffer_store_dword v10, off, s[0:3], s33 offset:160 ; 4-byte Folded Spill
	buffer_store_dword v40, off, s[0:3], s33 offset:96 ; 4-byte Folded Spill
	s_trap 2
	buffer_load_dword v10, off, s[0:3], s33 offset:100 ; 4-byte Folded Reload
	ds_read_b64 v[0:1], v0
	s_bitcmp1_b32 s48, 0
	s_mov_b64 s[94:95], 0
	s_cselect_b64 s[30:31], -1, 0
	s_waitcnt vmcnt(0)
	v_add_co_u32_e32 v54, vcc, v18, v10
	buffer_store_dword v18, off, s[0:3], s33 offset:152 ; 4-byte Folded Spill
	s_nop 0
	buffer_store_dword v19, off, s[0:3], s33 offset:156 ; 4-byte Folded Spill
	v_addc_co_u32_e32 v55, vcc, 0, v19, vcc
	s_waitcnt lgkmcnt(0)
	v_add_co_u32_e32 v40, vcc, v0, v10
	v_addc_co_u32_e32 v41, vcc, 0, v1, vcc
	v_add_co_u32_e32 v42, vcc, v16, v10
	buffer_store_dword v16, off, s[0:3], s33 offset:144 ; 4-byte Folded Spill
	s_nop 0
	buffer_store_dword v17, off, s[0:3], s33 offset:148 ; 4-byte Folded Spill
	v_addc_co_u32_e32 v43, vcc, 0, v17, vcc
	s_branch .LBB2_126
.LBB2_125:                              ;   in Loop: Header=BB2_126 Depth=2
	s_or_b64 exec, exec, s[22:23]
	v_lshlrev_b32_e32 v13, 24, v59
	buffer_load_dword v59, off, s[0:3], s33 offset:68 ; 4-byte Folded Reload
	v_lshl_or_b32 v0, v0, 8, v51
	v_lshlrev_b32_e32 v11, 16, v46
	v_lshlrev_b32_e32 v12, 24, v30
	v_or3_b32 v12, v0, v11, v12
	v_lshl_or_b32 v0, v34, 8, v1
	v_lshlrev_b32_e32 v1, 16, v35
	v_lshlrev_b32_e32 v11, 24, v50
	v_add_co_u32_e32 v54, vcc, v54, v61
	v_or3_b32 v11, v0, v1, v11
	v_lshl_or_b32 v0, v18, 8, v47
	v_lshlrev_b32_e32 v1, 16, v19
	v_addc_co_u32_e32 v55, vcc, 0, v55, vcc
	v_or3_b32 v13, v0, v1, v13
	v_lshlrev_b32_e32 v0, 24, v10
	v_lshlrev_b32_e32 v1, 16, v14
	v_lshl_or_b32 v10, v45, 8, v44
	v_add_co_u32_e32 v40, vcc, v40, v61
	v_or3_b32 v14, v10, v1, v0
	v_addc_co_u32_e32 v41, vcc, 0, v41, vcc
	global_store_dwordx4 v[42:43], v[11:14], off glc slc
	v_add_co_u32_e32 v42, vcc, v42, v61
	v_addc_co_u32_e32 v43, vcc, 0, v43, vcc
	v_sub_u32_e32 v58, v58, v61
	v_cmp_gt_i32_e32 vcc, 16, v58
	s_or_b64 s[94:95], vcc, s[94:95]
	s_waitcnt vmcnt(1)
	v_sub_u32_e32 v31, v31, v59
	s_andn2_b64 exec, exec, s[94:95]
	s_cbranch_execz .LBB2_830
.LBB2_126:                              ;   Parent Loop BB2_49 Depth=1
                                        ; =>  This Inner Loop Header: Depth=2
	global_load_dwordx4 v[10:13], v[54:55], off glc slc
	global_load_dwordx4 v[14:17], v[40:41], off glc slc
	s_mov_b64 s[26:27], -1
	s_waitcnt vmcnt(1)
	v_cmp_ne_u16_sdwa s[24:25], v10, v37 src0_sel:BYTE_0 src1_sel:DWORD
	s_waitcnt vmcnt(0)
	v_and_b32_e32 v0, 7, v14
	v_ffbh_u32_e32 v0, v0
	v_and_b32_e32 v1, 0x7f, v14
	v_min_u32_e32 v0, 32, v0
	v_bfe_u32 v18, v14, 3, 4
	v_cmp_eq_u32_e64 s[22:23], s53, v1
	v_cmp_gt_u32_e32 vcc, 8, v1
	v_subrev_u32_e32 v1, 28, v0
	v_sub_u32_e32 v0, 29, v0
	v_cndmask_b32_e32 v18, v18, v0, vcc
	v_cndmask_b32_e32 v0, 0, v1, vcc
	v_lshlrev_b64 v[0:1], v0, v[14:15]
	v_lshlrev_b32_e32 v1, 24, v14
	v_lshlrev_b32_e32 v0, 20, v0
	v_and_b32_e32 v0, 0x700000, v0
	v_and_b32_e32 v1, 0x80000000, v1
	v_lshl_add_u32 v18, v18, 23, v3
	v_or3_b32 v0, v1, v18, v0
	s_and_b64 vcc, exec, s[30:31]
                                        ; implicit-def: $vgpr18
	s_cbranch_vccz .LBB2_140
; %bb.127:                              ;   in Loop: Header=BB2_126 Depth=2
	v_mov_b32_e32 v1, 0
	s_and_saveexec_b64 s[26:27], s[24:25]
	s_cbranch_execz .LBB2_133
; %bb.128:                              ;   in Loop: Header=BB2_126 Depth=2
	v_cmp_ne_u16_sdwa vcc, v10, s55 src0_sel:BYTE_0 src1_sel:DWORD
	v_bfrev_b32_e32 v1, 1
	s_and_saveexec_b64 s[28:29], vcc
	s_cbranch_execz .LBB2_132
; %bb.129:                              ;   in Loop: Header=BB2_126 Depth=2
	v_and_b32_e32 v18, 0x7f, v10
	v_cmp_ne_u32_e32 vcc, s53, v18
	v_mov_b32_e32 v1, 0x7f800001
	s_and_saveexec_b64 s[34:35], vcc
	s_cbranch_execz .LBB2_131
; %bb.130:                              ;   in Loop: Header=BB2_126 Depth=2
	v_and_b32_e32 v1, 7, v10
	v_ffbh_u32_e32 v1, v1
	v_min_u32_e32 v1, 32, v1
	v_lshrrev_b32_e32 v19, 3, v18
	v_cmp_gt_u32_e32 vcc, 8, v18
	v_subrev_u32_e32 v18, 28, v1
	v_sub_u32_e32 v1, 29, v1
	v_cndmask_b32_e32 v18, 0, v18, vcc
	v_cndmask_b32_e32 v1, v19, v1, vcc
	v_lshlrev_b64 v[18:19], v18, v[10:11]
	v_lshlrev_b32_e32 v19, 24, v10
	v_lshlrev_b32_e32 v18, 20, v18
	v_and_b32_e32 v18, 0x700000, v18
	v_and_b32_e32 v19, 0x80000000, v19
	v_lshl_add_u32 v1, v1, 23, v3
	v_or3_b32 v1, v19, v1, v18
.LBB2_131:                              ;   in Loop: Header=BB2_126 Depth=2
	s_or_b64 exec, exec, s[34:35]
.LBB2_132:                              ;   in Loop: Header=BB2_126 Depth=2
	s_or_b64 exec, exec, s[28:29]
.LBB2_133:                              ;   in Loop: Header=BB2_126 Depth=2
	s_or_b64 exec, exec, s[26:27]
	v_cmp_gt_i16_sdwa s[28:29], v14, s53 src0_sel:BYTE_0 src1_sel:DWORD
	s_mov_b64 s[26:27], 0
	s_and_saveexec_b64 vcc, s[28:29]
	s_xor_b64 s[28:29], exec, vcc
	s_cbranch_execz .LBB2_782
; %bb.134:                              ;   in Loop: Header=BB2_126 Depth=2
	v_cmp_eq_u16_sdwa s[34:35], v14, s55 src0_sel:BYTE_0 src1_sel:DWORD
	s_mov_b64 s[26:27], -1
	s_and_saveexec_b64 vcc, s[34:35]
; %bb.135:                              ;   in Loop: Header=BB2_126 Depth=2
	s_xor_b64 s[26:27], exec, -1
; %bb.136:                              ;   in Loop: Header=BB2_126 Depth=2
	s_or_b64 exec, exec, vcc
	s_and_b64 s[26:27], s[26:27], exec
	s_or_saveexec_b64 s[28:29], s[28:29]
	v_bfrev_b32_e32 v18, 1
	s_xor_b64 exec, exec, s[28:29]
	s_cbranch_execnz .LBB2_783
.LBB2_137:                              ;   in Loop: Header=BB2_126 Depth=2
	s_or_b64 exec, exec, s[28:29]
	s_and_saveexec_b64 s[28:29], s[26:27]
.LBB2_138:                              ;   in Loop: Header=BB2_126 Depth=2
	v_cndmask_b32_e64 v18, v0, v56, s[22:23]
.LBB2_139:                              ;   in Loop: Header=BB2_126 Depth=2
	s_or_b64 exec, exec, s[28:29]
	v_max_f32_e32 v18, v18, v18
	v_max_f32_e32 v1, v1, v1
	;; [unrolled: 1-line block ×3, first 2 shown]
	s_mov_b64 s[26:27], 0
.LBB2_140:                              ;   in Loop: Header=BB2_126 Depth=2
	s_and_b64 vcc, exec, s[26:27]
	s_cbranch_vccz .LBB2_154
; %bb.141:                              ;   in Loop: Header=BB2_126 Depth=2
	v_mov_b32_e32 v1, 0
	s_and_saveexec_b64 s[26:27], s[24:25]
	s_cbranch_execz .LBB2_147
; %bb.142:                              ;   in Loop: Header=BB2_126 Depth=2
	v_cmp_ne_u16_sdwa s[28:29], v10, s55 src0_sel:BYTE_0 src1_sel:DWORD
	v_bfrev_b32_e32 v1, 1
	s_and_saveexec_b64 s[24:25], s[28:29]
	s_cbranch_execz .LBB2_146
; %bb.143:                              ;   in Loop: Header=BB2_126 Depth=2
	v_and_b32_e32 v18, 0x7f, v10
	v_cmp_ne_u32_e32 vcc, s53, v18
	v_mov_b32_e32 v1, 0x7f800001
	s_and_saveexec_b64 s[28:29], vcc
	s_cbranch_execz .LBB2_145
; %bb.144:                              ;   in Loop: Header=BB2_126 Depth=2
	v_and_b32_e32 v1, 7, v10
	v_ffbh_u32_e32 v1, v1
	v_min_u32_e32 v1, 32, v1
	v_lshrrev_b32_e32 v19, 3, v18
	v_cmp_gt_u32_e32 vcc, 8, v18
	v_subrev_u32_e32 v18, 28, v1
	v_sub_u32_e32 v1, 29, v1
	v_cndmask_b32_e32 v18, 0, v18, vcc
	v_cndmask_b32_e32 v1, v19, v1, vcc
	v_lshlrev_b64 v[18:19], v18, v[10:11]
	v_lshlrev_b32_e32 v19, 24, v10
	v_lshlrev_b32_e32 v18, 20, v18
	v_and_b32_e32 v18, 0x700000, v18
	v_and_b32_e32 v19, 0x80000000, v19
	v_lshl_add_u32 v1, v1, 23, v3
	v_or3_b32 v1, v19, v1, v18
.LBB2_145:                              ;   in Loop: Header=BB2_126 Depth=2
	s_or_b64 exec, exec, s[28:29]
.LBB2_146:                              ;   in Loop: Header=BB2_126 Depth=2
	s_or_b64 exec, exec, s[24:25]
.LBB2_147:                              ;   in Loop: Header=BB2_126 Depth=2
	s_or_b64 exec, exec, s[26:27]
	v_cmp_gt_i16_sdwa s[26:27], v14, s53 src0_sel:BYTE_0 src1_sel:DWORD
	s_mov_b64 s[24:25], 0
	s_and_saveexec_b64 s[28:29], s[26:27]
	s_xor_b64 s[26:27], exec, s[28:29]
	s_cbranch_execz .LBB2_784
; %bb.148:                              ;   in Loop: Header=BB2_126 Depth=2
	v_cmp_eq_u16_sdwa vcc, v14, s55 src0_sel:BYTE_0 src1_sel:DWORD
	s_mov_b64 s[24:25], -1
	s_and_saveexec_b64 s[28:29], vcc
; %bb.149:                              ;   in Loop: Header=BB2_126 Depth=2
	s_xor_b64 s[24:25], exec, -1
; %bb.150:                              ;   in Loop: Header=BB2_126 Depth=2
	s_or_b64 exec, exec, s[28:29]
	s_and_b64 s[24:25], s[24:25], exec
	s_or_saveexec_b64 s[26:27], s[26:27]
	v_bfrev_b32_e32 v18, 1
	s_xor_b64 exec, exec, s[26:27]
	s_cbranch_execnz .LBB2_785
.LBB2_151:                              ;   in Loop: Header=BB2_126 Depth=2
	s_or_b64 exec, exec, s[26:27]
	s_and_saveexec_b64 s[26:27], s[24:25]
.LBB2_152:                              ;   in Loop: Header=BB2_126 Depth=2
	v_cndmask_b32_e64 v18, v0, v56, s[22:23]
.LBB2_153:                              ;   in Loop: Header=BB2_126 Depth=2
	s_or_b64 exec, exec, s[26:27]
	v_max_f32_e32 v0, v18, v18
	v_max_f32_e32 v1, v1, v1
	v_min_f32_e32 v18, v1, v0
.LBB2_154:                              ;   in Loop: Header=BB2_126 Depth=2
	v_and_b32_e32 v36, 0x7f800000, v18
	v_cmp_ne_u64_e32 vcc, s[72:73], v[36:37]
                                        ; implicit-def: $vgpr1
	s_and_saveexec_b64 s[22:23], vcc
	s_xor_b64 s[24:25], exec, s[22:23]
	s_cbranch_execz .LBB2_168
; %bb.155:                              ;   in Loop: Header=BB2_126 Depth=2
	v_and_b32_e32 v36, 0x7fffffff, v18
	v_cmp_gt_u64_e32 vcc, s[74:75], v[36:37]
	v_and_b32_sdwa v0, v18, s55 dst_sel:DWORD dst_unused:UNUSED_PAD src0_sel:BYTE_3 src1_sel:DWORD
                                        ; implicit-def: $vgpr1
	s_and_saveexec_b64 s[22:23], vcc
	s_xor_b64 s[26:27], exec, s[22:23]
	s_cbranch_execz .LBB2_165
; %bb.156:                              ;   in Loop: Header=BB2_126 Depth=2
	v_mov_b32_e32 v1, 0
	v_cmp_ne_u32_e32 vcc, 0, v18
	s_and_saveexec_b64 s[28:29], vcc
	s_cbranch_execz .LBB2_164
; %bb.157:                              ;   in Loop: Header=BB2_126 Depth=2
	v_bfe_u32 v1, v18, 23, 8
	v_and_b32_e32 v19, 0x7fffff, v18
	v_cmp_gt_u32_e64 s[22:23], s64, v1
	v_sub_u32_e32 v18, 0x79, v1
	v_cmp_eq_u32_e32 vcc, 0, v1
	v_cndmask_b32_e64 v18, 0, v18, s[22:23]
	v_or_b32_e32 v24, 0x800000, v19
	v_cndmask_b32_e32 v18, v18, v2, vcc
	v_cndmask_b32_e32 v36, v24, v19, vcc
	v_add_u32_e32 v19, 20, v18
	v_lshlrev_b64 v[24:25], v19, -1
	v_add_u32_e32 v19, 19, v18
	v_lshlrev_b64 v[34:35], v19, 1
	v_lshrrev_b64 v[44:45], v18, v[36:37]
	v_bfi_b32 v25, v25, 0, 0
	v_bfi_b32 v24, v24, 0, v36
	v_cmp_eq_u64_e64 s[22:23], v[24:25], v[34:35]
	v_mov_b32_e32 v46, v45
	v_mov_b32_e32 v45, v44
	s_and_saveexec_b64 s[34:35], s[22:23]
; %bb.158:                              ;   in Loop: Header=BB2_126 Depth=2
	v_bfe_u32 v19, v44, 20, 1
	v_add_co_u32_e64 v19, s[22:23], v44, v19
	v_add_co_u32_e64 v45, s[22:23], -1, v19
; %bb.159:                              ;   in Loop: Header=BB2_126 Depth=2
	s_or_b64 exec, exec, s[34:35]
	v_add_u32_e32 v1, 0xffffff81, v1
	v_cndmask_b32_e32 v1, v1, v20, vcc
	v_lshrrev_b32_e32 v19, 23, v44
	v_add3_u32 v19, v18, v1, v19
	v_add_u32_e32 v18, 6, v19
	v_and_b32_e32 v1, 0xfffff, v45
	v_add_u32_e32 v36, v1, v44
	v_cmp_ne_u32_e32 vcc, 0, v18
                                        ; implicit-def: $vgpr44_vgpr45
                                        ; implicit-def: $vgpr1
	s_and_saveexec_b64 s[22:23], vcc
	s_xor_b64 s[22:23], exec, s[22:23]
; %bb.160:                              ;   in Loop: Header=BB2_126 Depth=2
	v_cmp_lt_u64_e32 vcc, s[76:77], v[36:37]
	v_add_u32_e32 v1, 7, v19
	v_cndmask_b32_e32 v1, v18, v1, vcc
	v_cndmask_b32_e64 v18, 0, 1, vcc
	v_lshrrev_b64 v[44:45], v18, v[36:37]
; %bb.161:                              ;   in Loop: Header=BB2_126 Depth=2
	s_andn2_saveexec_b64 s[22:23], s[22:23]
; %bb.162:                              ;   in Loop: Header=BB2_126 Depth=2
	v_mov_b32_e32 v45, v37
	v_bfe_u32 v1, v36, 23, 1
	v_mov_b32_e32 v44, v36
; %bb.163:                              ;   in Loop: Header=BB2_126 Depth=2
	s_or_b64 exec, exec, s[22:23]
	v_lshrrev_b64 v[18:19], 20, v[44:45]
	v_cmp_gt_i32_e32 vcc, 16, v1
	v_cndmask_b32_e32 v19, 0, v19, vcc
	v_cndmask_b32_e32 v18, 7, v18, vcc
	v_cmp_eq_u32_e32 vcc, 0, v1
	v_min_i32_e32 v1, 15, v1
	v_cmp_eq_u64_e64 s[22:23], 0, v[18:19]
	v_lshlrev_b32_e32 v1, 3, v1
	v_and_b32_e32 v1, 0xf8, v1
	v_and_or_b32 v1, v18, 7, v1
	s_and_b64 s[22:23], vcc, s[22:23]
	v_cndmask_b32_e64 v1, v1, 0, s[22:23]
	v_or_b32_e32 v1, v1, v0
.LBB2_164:                              ;   in Loop: Header=BB2_126 Depth=2
	s_or_b64 exec, exec, s[28:29]
                                        ; implicit-def: $vgpr0
.LBB2_165:                              ;   in Loop: Header=BB2_126 Depth=2
	s_andn2_saveexec_b64 s[22:23], s[26:27]
; %bb.166:                              ;   in Loop: Header=BB2_126 Depth=2
	v_or_b32_e32 v1, 0x7e, v0
; %bb.167:                              ;   in Loop: Header=BB2_126 Depth=2
	s_or_b64 exec, exec, s[22:23]
                                        ; implicit-def: $vgpr18
.LBB2_168:                              ;   in Loop: Header=BB2_126 Depth=2
	s_andn2_saveexec_b64 s[22:23], s[24:25]
; %bb.169:                              ;   in Loop: Header=BB2_126 Depth=2
	v_or_b32_sdwa v1, v18, s53 dst_sel:DWORD dst_unused:UNUSED_PAD src0_sel:BYTE_3 src1_sel:DWORD
; %bb.170:                              ;   in Loop: Header=BB2_126 Depth=2
	s_or_b64 exec, exec, s[22:23]
	v_lshrrev_b16_e32 v36, 8, v14
	v_and_b32_e32 v0, 7, v36
	v_and_b32_e32 v18, 0x7f, v36
	v_cmp_eq_u32_e64 s[22:23], s53, v18
	v_cmp_gt_u32_e32 vcc, 8, v18
	v_ffbh_u32_e32 v18, v0
	v_min_u32_e32 v25, 32, v18
	v_subrev_u32_e32 v18, 28, v25
	v_lshlrev_b64 v[18:19], v18, v[36:37]
	v_bfe_u32 v24, v36, 3, 4
	v_sub_u32_e32 v19, 29, v25
	v_and_b32_e32 v18, 7, v18
	v_cndmask_b32_e32 v19, v24, v19, vcc
	v_cndmask_b32_e32 v0, v0, v18, vcc
	v_lshlrev_b32_e32 v18, 24, v36
	v_lshlrev_b32_e32 v0, 20, v0
	v_and_b32_e32 v18, 0x80000000, v18
	v_lshl_add_u32 v19, v19, 23, v3
	v_lshrrev_b16_e32 v30, 8, v10
	v_or3_b32 v0, v18, v19, v0
	v_cmp_ne_u16_e64 s[24:25], 0, v30
	s_mov_b64 s[26:27], -1
	s_and_b64 vcc, exec, s[30:31]
                                        ; implicit-def: $vgpr18
	s_cbranch_vccz .LBB2_184
; %bb.171:                              ;   in Loop: Header=BB2_126 Depth=2
	v_mov_b32_e32 v18, 0
	s_and_saveexec_b64 s[26:27], s[24:25]
	s_cbranch_execz .LBB2_177
; %bb.172:                              ;   in Loop: Header=BB2_126 Depth=2
	v_cmp_ne_u16_e32 vcc, s55, v30
	v_bfrev_b32_e32 v18, 1
	s_and_saveexec_b64 s[28:29], vcc
	s_cbranch_execz .LBB2_176
; %bb.173:                              ;   in Loop: Header=BB2_126 Depth=2
	v_and_b32_e32 v19, 0x7f, v30
	v_cmp_ne_u32_e32 vcc, s53, v19
	v_mov_b32_e32 v18, 0x7f800001
	s_and_saveexec_b64 s[34:35], vcc
	s_cbranch_execz .LBB2_175
; %bb.174:                              ;   in Loop: Header=BB2_126 Depth=2
	v_and_b32_e32 v24, 7, v30
	v_ffbh_u32_e32 v18, v24
	v_min_u32_e32 v34, 32, v18
	v_subrev_u32_e32 v18, 28, v34
	v_lshrrev_b32_e32 v25, 3, v19
	v_cmp_gt_u32_e32 vcc, 8, v19
	v_lshlrev_b64 v[18:19], v18, v[30:31]
	v_sub_u32_e32 v19, 29, v34
	v_and_b32_e32 v18, 7, v18
	v_cndmask_b32_e32 v19, v25, v19, vcc
	v_cndmask_b32_e32 v18, v24, v18, vcc
	v_lshlrev_b32_e32 v24, 16, v10
	v_lshlrev_b32_e32 v18, 20, v18
	v_and_b32_e32 v24, 0x80000000, v24
	v_lshl_add_u32 v19, v19, 23, v3
	v_or3_b32 v18, v24, v19, v18
.LBB2_175:                              ;   in Loop: Header=BB2_126 Depth=2
	s_or_b64 exec, exec, s[34:35]
.LBB2_176:                              ;   in Loop: Header=BB2_126 Depth=2
	s_or_b64 exec, exec, s[28:29]
.LBB2_177:                              ;   in Loop: Header=BB2_126 Depth=2
	s_or_b64 exec, exec, s[26:27]
	v_cmp_lt_i16_e32 vcc, s53, v36
	s_mov_b64 s[26:27], 0
	s_and_saveexec_b64 s[28:29], vcc
	s_xor_b64 s[28:29], exec, s[28:29]
	s_cbranch_execz .LBB2_786
; %bb.178:                              ;   in Loop: Header=BB2_126 Depth=2
	v_cmp_eq_u16_e32 vcc, s55, v36
	s_mov_b64 s[26:27], -1
	s_and_saveexec_b64 s[34:35], vcc
; %bb.179:                              ;   in Loop: Header=BB2_126 Depth=2
	s_xor_b64 s[26:27], exec, -1
; %bb.180:                              ;   in Loop: Header=BB2_126 Depth=2
	s_or_b64 exec, exec, s[34:35]
	s_and_b64 s[26:27], s[26:27], exec
	s_or_saveexec_b64 s[28:29], s[28:29]
	v_bfrev_b32_e32 v19, 1
	s_xor_b64 exec, exec, s[28:29]
	s_cbranch_execnz .LBB2_787
.LBB2_181:                              ;   in Loop: Header=BB2_126 Depth=2
	s_or_b64 exec, exec, s[28:29]
	s_and_saveexec_b64 s[28:29], s[26:27]
.LBB2_182:                              ;   in Loop: Header=BB2_126 Depth=2
	v_cndmask_b32_e64 v19, v0, v56, s[22:23]
.LBB2_183:                              ;   in Loop: Header=BB2_126 Depth=2
	s_or_b64 exec, exec, s[28:29]
	v_max_f32_e32 v19, v19, v19
	v_max_f32_e32 v18, v18, v18
	;; [unrolled: 1-line block ×3, first 2 shown]
	s_mov_b64 s[26:27], 0
.LBB2_184:                              ;   in Loop: Header=BB2_126 Depth=2
	s_and_b64 vcc, exec, s[26:27]
	s_cbranch_vccz .LBB2_198
; %bb.185:                              ;   in Loop: Header=BB2_126 Depth=2
	v_mov_b32_e32 v18, 0
	s_and_saveexec_b64 s[26:27], s[24:25]
	s_cbranch_execz .LBB2_191
; %bb.186:                              ;   in Loop: Header=BB2_126 Depth=2
	v_cmp_ne_u16_e32 vcc, s55, v30
	v_bfrev_b32_e32 v18, 1
	s_and_saveexec_b64 s[24:25], vcc
	s_cbranch_execz .LBB2_190
; %bb.187:                              ;   in Loop: Header=BB2_126 Depth=2
	v_and_b32_e32 v19, 0x7f, v30
	v_cmp_ne_u32_e32 vcc, s53, v19
	v_mov_b32_e32 v18, 0x7f800001
	s_and_saveexec_b64 s[28:29], vcc
	s_cbranch_execz .LBB2_189
; %bb.188:                              ;   in Loop: Header=BB2_126 Depth=2
	v_and_b32_e32 v24, 7, v30
	v_ffbh_u32_e32 v18, v24
	v_min_u32_e32 v34, 32, v18
	v_subrev_u32_e32 v18, 28, v34
	v_lshrrev_b32_e32 v25, 3, v19
	v_cmp_gt_u32_e32 vcc, 8, v19
	v_lshlrev_b64 v[18:19], v18, v[30:31]
	v_sub_u32_e32 v19, 29, v34
	v_and_b32_e32 v18, 7, v18
	v_cndmask_b32_e32 v19, v25, v19, vcc
	v_cndmask_b32_e32 v18, v24, v18, vcc
	v_lshlrev_b32_e32 v24, 16, v10
	v_lshlrev_b32_e32 v18, 20, v18
	v_and_b32_e32 v24, 0x80000000, v24
	v_lshl_add_u32 v19, v19, 23, v3
	v_or3_b32 v18, v24, v19, v18
.LBB2_189:                              ;   in Loop: Header=BB2_126 Depth=2
	s_or_b64 exec, exec, s[28:29]
.LBB2_190:                              ;   in Loop: Header=BB2_126 Depth=2
	s_or_b64 exec, exec, s[24:25]
.LBB2_191:                              ;   in Loop: Header=BB2_126 Depth=2
	s_or_b64 exec, exec, s[26:27]
	v_cmp_lt_i16_e32 vcc, s53, v36
	s_mov_b64 s[24:25], 0
	s_and_saveexec_b64 s[26:27], vcc
	s_xor_b64 s[26:27], exec, s[26:27]
	s_cbranch_execz .LBB2_788
; %bb.192:                              ;   in Loop: Header=BB2_126 Depth=2
	v_cmp_eq_u16_e32 vcc, s55, v36
	s_mov_b64 s[24:25], -1
	s_and_saveexec_b64 s[28:29], vcc
; %bb.193:                              ;   in Loop: Header=BB2_126 Depth=2
	s_xor_b64 s[24:25], exec, -1
; %bb.194:                              ;   in Loop: Header=BB2_126 Depth=2
	s_or_b64 exec, exec, s[28:29]
	s_and_b64 s[24:25], s[24:25], exec
	s_or_saveexec_b64 s[26:27], s[26:27]
	v_bfrev_b32_e32 v19, 1
	s_xor_b64 exec, exec, s[26:27]
	s_cbranch_execnz .LBB2_789
.LBB2_195:                              ;   in Loop: Header=BB2_126 Depth=2
	s_or_b64 exec, exec, s[26:27]
	s_and_saveexec_b64 s[26:27], s[24:25]
.LBB2_196:                              ;   in Loop: Header=BB2_126 Depth=2
	v_cndmask_b32_e64 v19, v0, v56, s[22:23]
.LBB2_197:                              ;   in Loop: Header=BB2_126 Depth=2
	s_or_b64 exec, exec, s[26:27]
	v_max_f32_e32 v0, v19, v19
	v_max_f32_e32 v18, v18, v18
	v_min_f32_e32 v18, v18, v0
.LBB2_198:                              ;   in Loop: Header=BB2_126 Depth=2
	v_and_b32_e32 v36, 0x7f800000, v18
	v_cmp_ne_u64_e32 vcc, s[72:73], v[36:37]
                                        ; implicit-def: $vgpr34
	s_and_saveexec_b64 s[22:23], vcc
	s_xor_b64 s[24:25], exec, s[22:23]
	s_cbranch_execz .LBB2_212
; %bb.199:                              ;   in Loop: Header=BB2_126 Depth=2
	v_and_b32_e32 v36, 0x7fffffff, v18
	v_cmp_gt_u64_e32 vcc, s[74:75], v[36:37]
	v_and_b32_sdwa v0, v18, s55 dst_sel:DWORD dst_unused:UNUSED_PAD src0_sel:BYTE_3 src1_sel:DWORD
                                        ; implicit-def: $vgpr34
	s_and_saveexec_b64 s[22:23], vcc
	s_xor_b64 s[26:27], exec, s[22:23]
	s_cbranch_execz .LBB2_209
; %bb.200:                              ;   in Loop: Header=BB2_126 Depth=2
	v_mov_b32_e32 v34, 0
	v_cmp_ne_u32_e32 vcc, 0, v18
	s_and_saveexec_b64 s[28:29], vcc
	s_cbranch_execz .LBB2_208
; %bb.201:                              ;   in Loop: Header=BB2_126 Depth=2
	v_and_b32_e32 v24, 0x7fffff, v18
	v_bfe_u32 v18, v18, 23, 8
	v_cmp_gt_u32_e64 s[22:23], s64, v18
	v_sub_u32_e32 v19, 0x79, v18
	v_cmp_eq_u32_e32 vcc, 0, v18
	v_cndmask_b32_e64 v19, 0, v19, s[22:23]
	v_or_b32_e32 v25, 0x800000, v24
	v_cndmask_b32_e32 v19, v19, v2, vcc
	v_cndmask_b32_e32 v36, v25, v24, vcc
	v_add_u32_e32 v24, 20, v19
	v_lshlrev_b64 v[24:25], v24, -1
	v_add_u32_e32 v30, 19, v19
	v_lshlrev_b64 v[34:35], v30, 1
	v_lshrrev_b64 v[44:45], v19, v[36:37]
	v_bfi_b32 v25, v25, 0, 0
	v_bfi_b32 v24, v24, 0, v36
	v_cmp_eq_u64_e64 s[22:23], v[24:25], v[34:35]
	v_mov_b32_e32 v46, v45
	v_mov_b32_e32 v45, v44
	s_and_saveexec_b64 s[34:35], s[22:23]
; %bb.202:                              ;   in Loop: Header=BB2_126 Depth=2
	v_bfe_u32 v24, v44, 20, 1
	v_add_co_u32_e64 v24, s[22:23], v44, v24
	v_add_co_u32_e64 v45, s[22:23], -1, v24
; %bb.203:                              ;   in Loop: Header=BB2_126 Depth=2
	s_or_b64 exec, exec, s[34:35]
	v_add_u32_e32 v18, 0xffffff81, v18
	v_cndmask_b32_e32 v18, v18, v20, vcc
	v_lshrrev_b32_e32 v24, 23, v44
	v_add3_u32 v30, v19, v18, v24
	v_add_u32_e32 v19, 6, v30
	v_and_b32_e32 v18, 0xfffff, v45
	v_add_u32_e32 v36, v18, v44
	v_cmp_ne_u32_e32 vcc, 0, v19
                                        ; implicit-def: $vgpr44_vgpr45
                                        ; implicit-def: $vgpr18
	s_and_saveexec_b64 s[22:23], vcc
	s_xor_b64 s[22:23], exec, s[22:23]
; %bb.204:                              ;   in Loop: Header=BB2_126 Depth=2
	v_cmp_lt_u64_e32 vcc, s[76:77], v[36:37]
	v_add_u32_e32 v18, 7, v30
	v_cndmask_b32_e32 v18, v19, v18, vcc
	v_cndmask_b32_e64 v19, 0, 1, vcc
	v_lshrrev_b64 v[44:45], v19, v[36:37]
; %bb.205:                              ;   in Loop: Header=BB2_126 Depth=2
	s_andn2_saveexec_b64 s[22:23], s[22:23]
; %bb.206:                              ;   in Loop: Header=BB2_126 Depth=2
	v_mov_b32_e32 v45, v37
	v_bfe_u32 v18, v36, 23, 1
	v_mov_b32_e32 v44, v36
; %bb.207:                              ;   in Loop: Header=BB2_126 Depth=2
	s_or_b64 exec, exec, s[22:23]
	v_lshrrev_b64 v[24:25], 20, v[44:45]
	v_cmp_gt_i32_e32 vcc, 16, v18
	v_cndmask_b32_e32 v25, 0, v25, vcc
	v_cndmask_b32_e32 v24, 7, v24, vcc
	v_cmp_eq_u32_e32 vcc, 0, v18
	v_min_i32_e32 v18, 15, v18
	v_cmp_eq_u64_e64 s[22:23], 0, v[24:25]
	v_lshlrev_b32_e32 v18, 3, v18
	v_and_b32_e32 v18, 0xf8, v18
	v_and_or_b32 v18, v24, 7, v18
	s_and_b64 s[22:23], vcc, s[22:23]
	v_cndmask_b32_e64 v18, v18, 0, s[22:23]
	v_or_b32_e32 v34, v18, v0
.LBB2_208:                              ;   in Loop: Header=BB2_126 Depth=2
	s_or_b64 exec, exec, s[28:29]
                                        ; implicit-def: $vgpr0
.LBB2_209:                              ;   in Loop: Header=BB2_126 Depth=2
	s_andn2_saveexec_b64 s[22:23], s[26:27]
; %bb.210:                              ;   in Loop: Header=BB2_126 Depth=2
	v_or_b32_e32 v34, 0x7e, v0
; %bb.211:                              ;   in Loop: Header=BB2_126 Depth=2
	s_or_b64 exec, exec, s[22:23]
                                        ; implicit-def: $vgpr18
.LBB2_212:                              ;   in Loop: Header=BB2_126 Depth=2
	s_andn2_saveexec_b64 s[22:23], s[24:25]
; %bb.213:                              ;   in Loop: Header=BB2_126 Depth=2
	v_or_b32_sdwa v34, v18, s53 dst_sel:DWORD dst_unused:UNUSED_PAD src0_sel:BYTE_3 src1_sel:DWORD
; %bb.214:                              ;   in Loop: Header=BB2_126 Depth=2
	s_or_b64 exec, exec, s[22:23]
	v_bfe_u32 v0, v14, 16, 3
	v_bfe_u32 v18, v14, 16, 7
	v_cmp_eq_u32_e64 s[22:23], s53, v18
	v_cmp_gt_u32_e32 vcc, 8, v18
	v_ffbh_u32_e32 v18, v0
	v_min_u32_e32 v25, 32, v18
	v_lshrrev_b32_e32 v30, 16, v14
	v_subrev_u32_e32 v18, 28, v25
	v_lshlrev_b64 v[18:19], v18, v[30:31]
	v_bfe_u32 v24, v30, 3, 4
	v_sub_u32_e32 v19, 29, v25
	v_and_b32_e32 v18, 7, v18
	v_cndmask_b32_e32 v19, v24, v19, vcc
	v_cndmask_b32_e32 v0, v0, v18, vcc
	v_lshlrev_b32_e32 v18, 8, v14
	v_lshlrev_b32_e32 v0, 20, v0
	v_and_b32_e32 v18, 0x80000000, v18
	v_lshl_add_u32 v19, v19, 23, v3
	v_lshrrev_b32_e32 v36, 16, v10
	v_or3_b32 v0, v18, v19, v0
	v_cmp_ne_u16_sdwa s[24:25], v36, v37 src0_sel:BYTE_0 src1_sel:DWORD
	s_mov_b64 s[26:27], -1
	s_and_b64 vcc, exec, s[30:31]
                                        ; implicit-def: $vgpr18
	s_cbranch_vccz .LBB2_228
; %bb.215:                              ;   in Loop: Header=BB2_126 Depth=2
	v_mov_b32_e32 v18, 0
	s_and_saveexec_b64 s[26:27], s[24:25]
	s_cbranch_execz .LBB2_221
; %bb.216:                              ;   in Loop: Header=BB2_126 Depth=2
	v_cmp_ne_u16_sdwa vcc, v36, s55 src0_sel:BYTE_0 src1_sel:DWORD
	v_bfrev_b32_e32 v18, 1
	s_and_saveexec_b64 s[28:29], vcc
	s_cbranch_execz .LBB2_220
; %bb.217:                              ;   in Loop: Header=BB2_126 Depth=2
	v_bfe_u32 v19, v10, 16, 7
	v_cmp_ne_u32_e32 vcc, s53, v19
	v_mov_b32_e32 v18, 0x7f800001
	s_and_saveexec_b64 s[34:35], vcc
	s_cbranch_execz .LBB2_219
; %bb.218:                              ;   in Loop: Header=BB2_126 Depth=2
	v_and_b32_e32 v24, 7, v36
	v_ffbh_u32_e32 v18, v24
	v_min_u32_e32 v35, 32, v18
	v_subrev_u32_e32 v18, 28, v35
	v_lshrrev_b32_e32 v25, 3, v19
	v_cmp_gt_u32_e32 vcc, 8, v19
	v_lshlrev_b64 v[18:19], v18, v[36:37]
	v_sub_u32_e32 v19, 29, v35
	v_and_b32_e32 v18, 7, v18
	v_cndmask_b32_e32 v19, v25, v19, vcc
	v_cndmask_b32_e32 v18, v24, v18, vcc
	v_lshlrev_b32_e32 v24, 24, v36
	v_lshlrev_b32_e32 v18, 20, v18
	v_and_b32_e32 v24, 0x80000000, v24
	v_lshl_add_u32 v19, v19, 23, v3
	v_or3_b32 v18, v24, v19, v18
.LBB2_219:                              ;   in Loop: Header=BB2_126 Depth=2
	s_or_b64 exec, exec, s[34:35]
.LBB2_220:                              ;   in Loop: Header=BB2_126 Depth=2
	s_or_b64 exec, exec, s[28:29]
.LBB2_221:                              ;   in Loop: Header=BB2_126 Depth=2
	s_or_b64 exec, exec, s[26:27]
	v_cmp_gt_i16_sdwa s[28:29], v30, s53 src0_sel:BYTE_0 src1_sel:DWORD
	s_mov_b64 s[26:27], 0
	s_and_saveexec_b64 vcc, s[28:29]
	s_xor_b64 s[28:29], exec, vcc
	s_cbranch_execz .LBB2_790
; %bb.222:                              ;   in Loop: Header=BB2_126 Depth=2
	v_cmp_eq_u16_sdwa s[34:35], v30, s55 src0_sel:BYTE_0 src1_sel:DWORD
	s_mov_b64 s[26:27], -1
	s_and_saveexec_b64 vcc, s[34:35]
; %bb.223:                              ;   in Loop: Header=BB2_126 Depth=2
	s_xor_b64 s[26:27], exec, -1
; %bb.224:                              ;   in Loop: Header=BB2_126 Depth=2
	s_or_b64 exec, exec, vcc
	s_and_b64 s[26:27], s[26:27], exec
	s_or_saveexec_b64 s[28:29], s[28:29]
	v_bfrev_b32_e32 v19, 1
	s_xor_b64 exec, exec, s[28:29]
	s_cbranch_execnz .LBB2_791
.LBB2_225:                              ;   in Loop: Header=BB2_126 Depth=2
	s_or_b64 exec, exec, s[28:29]
	s_and_saveexec_b64 s[28:29], s[26:27]
.LBB2_226:                              ;   in Loop: Header=BB2_126 Depth=2
	v_cndmask_b32_e64 v19, v0, v56, s[22:23]
.LBB2_227:                              ;   in Loop: Header=BB2_126 Depth=2
	s_or_b64 exec, exec, s[28:29]
	v_max_f32_e32 v19, v19, v19
	v_max_f32_e32 v18, v18, v18
	v_max_f32_e32 v18, v18, v19
	s_mov_b64 s[26:27], 0
.LBB2_228:                              ;   in Loop: Header=BB2_126 Depth=2
	s_and_b64 vcc, exec, s[26:27]
	s_cbranch_vccz .LBB2_242
; %bb.229:                              ;   in Loop: Header=BB2_126 Depth=2
	v_mov_b32_e32 v18, 0
	s_and_saveexec_b64 s[26:27], s[24:25]
	s_cbranch_execz .LBB2_235
; %bb.230:                              ;   in Loop: Header=BB2_126 Depth=2
	v_cmp_ne_u16_sdwa s[28:29], v36, s55 src0_sel:BYTE_0 src1_sel:DWORD
	v_bfrev_b32_e32 v18, 1
	s_and_saveexec_b64 s[24:25], s[28:29]
	s_cbranch_execz .LBB2_234
; %bb.231:                              ;   in Loop: Header=BB2_126 Depth=2
	v_bfe_u32 v19, v10, 16, 7
	v_cmp_ne_u32_e32 vcc, s53, v19
	v_mov_b32_e32 v18, 0x7f800001
	s_and_saveexec_b64 s[28:29], vcc
	s_cbranch_execz .LBB2_233
; %bb.232:                              ;   in Loop: Header=BB2_126 Depth=2
	v_and_b32_e32 v24, 7, v36
	v_ffbh_u32_e32 v18, v24
	v_min_u32_e32 v35, 32, v18
	v_subrev_u32_e32 v18, 28, v35
	v_lshrrev_b32_e32 v25, 3, v19
	v_cmp_gt_u32_e32 vcc, 8, v19
	v_lshlrev_b64 v[18:19], v18, v[36:37]
	v_sub_u32_e32 v19, 29, v35
	v_and_b32_e32 v18, 7, v18
	v_cndmask_b32_e32 v19, v25, v19, vcc
	v_cndmask_b32_e32 v18, v24, v18, vcc
	v_lshlrev_b32_e32 v24, 24, v36
	v_lshlrev_b32_e32 v18, 20, v18
	v_and_b32_e32 v24, 0x80000000, v24
	v_lshl_add_u32 v19, v19, 23, v3
	v_or3_b32 v18, v24, v19, v18
.LBB2_233:                              ;   in Loop: Header=BB2_126 Depth=2
	s_or_b64 exec, exec, s[28:29]
.LBB2_234:                              ;   in Loop: Header=BB2_126 Depth=2
	s_or_b64 exec, exec, s[24:25]
.LBB2_235:                              ;   in Loop: Header=BB2_126 Depth=2
	s_or_b64 exec, exec, s[26:27]
	v_cmp_gt_i16_sdwa s[26:27], v30, s53 src0_sel:BYTE_0 src1_sel:DWORD
	s_mov_b64 s[24:25], 0
	s_and_saveexec_b64 s[28:29], s[26:27]
	s_xor_b64 s[26:27], exec, s[28:29]
	s_cbranch_execz .LBB2_792
; %bb.236:                              ;   in Loop: Header=BB2_126 Depth=2
	v_cmp_eq_u16_sdwa vcc, v30, s55 src0_sel:BYTE_0 src1_sel:DWORD
	s_mov_b64 s[24:25], -1
	s_and_saveexec_b64 s[28:29], vcc
; %bb.237:                              ;   in Loop: Header=BB2_126 Depth=2
	s_xor_b64 s[24:25], exec, -1
; %bb.238:                              ;   in Loop: Header=BB2_126 Depth=2
	s_or_b64 exec, exec, s[28:29]
	s_and_b64 s[24:25], s[24:25], exec
                                        ; implicit-def: $vgpr30
	s_or_saveexec_b64 s[26:27], s[26:27]
	v_bfrev_b32_e32 v19, 1
	s_xor_b64 exec, exec, s[26:27]
	s_cbranch_execnz .LBB2_793
.LBB2_239:                              ;   in Loop: Header=BB2_126 Depth=2
	s_or_b64 exec, exec, s[26:27]
	s_and_saveexec_b64 s[26:27], s[24:25]
.LBB2_240:                              ;   in Loop: Header=BB2_126 Depth=2
	v_cndmask_b32_e64 v19, v0, v56, s[22:23]
.LBB2_241:                              ;   in Loop: Header=BB2_126 Depth=2
	s_or_b64 exec, exec, s[26:27]
	v_max_f32_e32 v0, v19, v19
	v_max_f32_e32 v18, v18, v18
	v_min_f32_e32 v18, v18, v0
.LBB2_242:                              ;   in Loop: Header=BB2_126 Depth=2
	v_and_b32_e32 v36, 0x7f800000, v18
	v_cmp_ne_u64_e32 vcc, s[72:73], v[36:37]
                                        ; implicit-def: $vgpr35
	s_and_saveexec_b64 s[22:23], vcc
	s_xor_b64 s[24:25], exec, s[22:23]
	s_cbranch_execz .LBB2_256
; %bb.243:                              ;   in Loop: Header=BB2_126 Depth=2
	v_and_b32_e32 v36, 0x7fffffff, v18
	v_cmp_gt_u64_e32 vcc, s[74:75], v[36:37]
	v_and_b32_sdwa v0, v18, s55 dst_sel:DWORD dst_unused:UNUSED_PAD src0_sel:BYTE_3 src1_sel:DWORD
                                        ; implicit-def: $vgpr35
	s_and_saveexec_b64 s[22:23], vcc
	s_xor_b64 s[26:27], exec, s[22:23]
	s_cbranch_execz .LBB2_253
; %bb.244:                              ;   in Loop: Header=BB2_126 Depth=2
	v_mov_b32_e32 v35, 0
	v_cmp_ne_u32_e32 vcc, 0, v18
	s_and_saveexec_b64 s[28:29], vcc
	s_cbranch_execz .LBB2_252
; %bb.245:                              ;   in Loop: Header=BB2_126 Depth=2
	v_and_b32_e32 v24, 0x7fffff, v18
	v_bfe_u32 v18, v18, 23, 8
	v_cmp_gt_u32_e64 s[22:23], s64, v18
	v_sub_u32_e32 v19, 0x79, v18
	v_cmp_eq_u32_e32 vcc, 0, v18
	v_cndmask_b32_e64 v19, 0, v19, s[22:23]
	v_or_b32_e32 v25, 0x800000, v24
	v_cndmask_b32_e32 v19, v19, v2, vcc
	v_cndmask_b32_e32 v36, v25, v24, vcc
	v_add_u32_e32 v24, 20, v19
	v_lshlrev_b64 v[24:25], v24, -1
	v_add_u32_e32 v30, 19, v19
	v_lshlrev_b64 v[50:51], v30, 1
	v_lshrrev_b64 v[44:45], v19, v[36:37]
	v_bfi_b32 v25, v25, 0, 0
	v_bfi_b32 v24, v24, 0, v36
	v_cmp_eq_u64_e64 s[22:23], v[24:25], v[50:51]
	v_mov_b32_e32 v46, v45
	v_mov_b32_e32 v45, v44
	s_and_saveexec_b64 s[34:35], s[22:23]
; %bb.246:                              ;   in Loop: Header=BB2_126 Depth=2
	v_bfe_u32 v24, v44, 20, 1
	v_add_co_u32_e64 v24, s[22:23], v44, v24
	v_add_co_u32_e64 v45, s[22:23], -1, v24
; %bb.247:                              ;   in Loop: Header=BB2_126 Depth=2
	s_or_b64 exec, exec, s[34:35]
	v_add_u32_e32 v18, 0xffffff81, v18
	v_cndmask_b32_e32 v18, v18, v20, vcc
	v_lshrrev_b32_e32 v24, 23, v44
	v_add3_u32 v30, v19, v18, v24
	v_add_u32_e32 v19, 6, v30
	v_and_b32_e32 v18, 0xfffff, v45
	v_add_u32_e32 v36, v18, v44
	v_cmp_ne_u32_e32 vcc, 0, v19
                                        ; implicit-def: $vgpr44_vgpr45
                                        ; implicit-def: $vgpr18
	s_and_saveexec_b64 s[22:23], vcc
	s_xor_b64 s[22:23], exec, s[22:23]
; %bb.248:                              ;   in Loop: Header=BB2_126 Depth=2
	v_cmp_lt_u64_e32 vcc, s[76:77], v[36:37]
	v_add_u32_e32 v18, 7, v30
	v_cndmask_b32_e32 v18, v19, v18, vcc
	v_cndmask_b32_e64 v19, 0, 1, vcc
	v_lshrrev_b64 v[44:45], v19, v[36:37]
; %bb.249:                              ;   in Loop: Header=BB2_126 Depth=2
	s_andn2_saveexec_b64 s[22:23], s[22:23]
; %bb.250:                              ;   in Loop: Header=BB2_126 Depth=2
	v_mov_b32_e32 v45, v37
	v_bfe_u32 v18, v36, 23, 1
	v_mov_b32_e32 v44, v36
; %bb.251:                              ;   in Loop: Header=BB2_126 Depth=2
	s_or_b64 exec, exec, s[22:23]
	v_lshrrev_b64 v[24:25], 20, v[44:45]
	v_cmp_gt_i32_e32 vcc, 16, v18
	v_cndmask_b32_e32 v25, 0, v25, vcc
	v_cndmask_b32_e32 v24, 7, v24, vcc
	v_cmp_eq_u32_e32 vcc, 0, v18
	v_min_i32_e32 v18, 15, v18
	v_cmp_eq_u64_e64 s[22:23], 0, v[24:25]
	v_lshlrev_b32_e32 v18, 3, v18
	v_and_b32_e32 v18, 0xf8, v18
	v_and_or_b32 v18, v24, 7, v18
	s_and_b64 s[22:23], vcc, s[22:23]
	v_cndmask_b32_e64 v18, v18, 0, s[22:23]
	v_or_b32_e32 v35, v18, v0
.LBB2_252:                              ;   in Loop: Header=BB2_126 Depth=2
	s_or_b64 exec, exec, s[28:29]
                                        ; implicit-def: $vgpr0
.LBB2_253:                              ;   in Loop: Header=BB2_126 Depth=2
	s_andn2_saveexec_b64 s[22:23], s[26:27]
; %bb.254:                              ;   in Loop: Header=BB2_126 Depth=2
	v_or_b32_e32 v35, 0x7e, v0
; %bb.255:                              ;   in Loop: Header=BB2_126 Depth=2
	s_or_b64 exec, exec, s[22:23]
                                        ; implicit-def: $vgpr18
.LBB2_256:                              ;   in Loop: Header=BB2_126 Depth=2
	s_andn2_saveexec_b64 s[22:23], s[24:25]
; %bb.257:                              ;   in Loop: Header=BB2_126 Depth=2
	v_or_b32_sdwa v35, v18, s53 dst_sel:DWORD dst_unused:UNUSED_PAD src0_sel:BYTE_3 src1_sel:DWORD
; %bb.258:                              ;   in Loop: Header=BB2_126 Depth=2
	s_or_b64 exec, exec, s[22:23]
	v_bfe_u32 v24, v14, 24, 3
	v_bfe_u32 v18, v14, 24, 7
	v_cmp_eq_u32_e64 s[26:27], s53, v18
	v_cmp_gt_u32_e32 vcc, 8, v18
	v_ffbh_u32_e32 v18, v24
	v_min_u32_e32 v36, 32, v18
	v_lshrrev_b32_e32 v0, 24, v14
	v_subrev_u32_e32 v18, 28, v36
	v_lshlrev_b64 v[18:19], v18, v[0:1]
	v_bfe_u32 v25, v0, 3, 4
	v_cmp_eq_u32_e64 s[24:25], s55, v0
	v_sub_u32_e32 v0, 29, v36
	v_and_b32_e32 v18, 7, v18
	v_cndmask_b32_e32 v0, v25, v0, vcc
	v_cndmask_b32_e32 v18, v24, v18, vcc
	v_lshlrev_b32_e32 v18, 20, v18
	v_and_b32_e32 v19, 0x80000000, v14
	v_lshl_add_u32 v0, v0, 23, v3
	v_lshrrev_b32_e32 v30, 24, v10
	v_cmp_gt_u32_e64 s[22:23], s59, v14
	v_or3_b32 v0, v19, v0, v18
	v_cmp_lt_u32_e64 s[28:29], s79, v10
	s_mov_b64 s[34:35], -1
	s_and_b64 vcc, exec, s[30:31]
                                        ; implicit-def: $vgpr18
	s_cbranch_vccz .LBB2_266
; %bb.259:                              ;   in Loop: Header=BB2_126 Depth=2
	v_mov_b32_e32 v18, 0
	s_and_saveexec_b64 s[34:35], s[28:29]
	s_cbranch_execz .LBB2_265
; %bb.260:                              ;   in Loop: Header=BB2_126 Depth=2
	v_cmp_ne_u32_e32 vcc, s55, v30
	v_bfrev_b32_e32 v18, 1
	s_and_saveexec_b64 s[36:37], vcc
	s_cbranch_execz .LBB2_264
; %bb.261:                              ;   in Loop: Header=BB2_126 Depth=2
	v_bfe_u32 v19, v10, 24, 7
	v_cmp_ne_u32_e32 vcc, s53, v19
	v_mov_b32_e32 v18, 0x7f800001
	s_and_saveexec_b64 s[38:39], vcc
	s_cbranch_execz .LBB2_263
; %bb.262:                              ;   in Loop: Header=BB2_126 Depth=2
	v_and_b32_e32 v24, 7, v30
	v_ffbh_u32_e32 v18, v24
	v_min_u32_e32 v36, 32, v18
	v_subrev_u32_e32 v18, 28, v36
	v_lshrrev_b32_e32 v25, 3, v19
	v_cmp_gt_u32_e32 vcc, 8, v19
	v_lshlrev_b64 v[18:19], v18, v[30:31]
	v_sub_u32_e32 v19, 29, v36
	v_and_b32_e32 v18, 7, v18
	v_cndmask_b32_e32 v19, v25, v19, vcc
	v_cndmask_b32_e32 v18, v24, v18, vcc
	v_lshlrev_b32_e32 v24, 24, v30
	v_lshlrev_b32_e32 v18, 20, v18
	v_and_b32_e32 v24, 0x80000000, v24
	v_lshl_add_u32 v19, v19, 23, v3
	v_or3_b32 v18, v24, v19, v18
.LBB2_263:                              ;   in Loop: Header=BB2_126 Depth=2
	s_or_b64 exec, exec, s[38:39]
.LBB2_264:                              ;   in Loop: Header=BB2_126 Depth=2
	s_or_b64 exec, exec, s[36:37]
.LBB2_265:                              ;   in Loop: Header=BB2_126 Depth=2
	s_or_b64 exec, exec, s[34:35]
	v_cndmask_b32_e64 v19, v0, v56, s[26:27]
	v_cndmask_b32_e64 v19, v19, v21, s[24:25]
	;; [unrolled: 1-line block ×3, first 2 shown]
	v_max_f32_e32 v19, v19, v19
	v_max_f32_e32 v18, v18, v18
	;; [unrolled: 1-line block ×3, first 2 shown]
	s_mov_b64 s[34:35], 0
.LBB2_266:                              ;   in Loop: Header=BB2_126 Depth=2
	s_and_b64 vcc, exec, s[34:35]
	s_cbranch_vccz .LBB2_274
; %bb.267:                              ;   in Loop: Header=BB2_126 Depth=2
	v_mov_b32_e32 v18, 0
	s_and_saveexec_b64 s[34:35], s[28:29]
	s_cbranch_execz .LBB2_273
; %bb.268:                              ;   in Loop: Header=BB2_126 Depth=2
	v_cmp_ne_u32_e32 vcc, s55, v30
	v_bfrev_b32_e32 v18, 1
	s_and_saveexec_b64 s[28:29], vcc
	s_cbranch_execz .LBB2_272
; %bb.269:                              ;   in Loop: Header=BB2_126 Depth=2
	v_bfe_u32 v19, v10, 24, 7
	v_cmp_ne_u32_e32 vcc, s53, v19
	v_mov_b32_e32 v18, 0x7f800001
	s_and_saveexec_b64 s[36:37], vcc
	s_cbranch_execz .LBB2_271
; %bb.270:                              ;   in Loop: Header=BB2_126 Depth=2
	v_and_b32_e32 v24, 7, v30
	v_ffbh_u32_e32 v18, v24
	v_min_u32_e32 v36, 32, v18
	v_subrev_u32_e32 v18, 28, v36
	v_lshrrev_b32_e32 v25, 3, v19
	v_cmp_gt_u32_e32 vcc, 8, v19
	v_lshlrev_b64 v[18:19], v18, v[30:31]
	v_sub_u32_e32 v19, 29, v36
	v_and_b32_e32 v18, 7, v18
	v_cndmask_b32_e32 v19, v25, v19, vcc
	v_cndmask_b32_e32 v18, v24, v18, vcc
	v_lshlrev_b32_e32 v24, 24, v30
	v_lshlrev_b32_e32 v18, 20, v18
	v_and_b32_e32 v24, 0x80000000, v24
	v_lshl_add_u32 v19, v19, 23, v3
	v_or3_b32 v18, v24, v19, v18
.LBB2_271:                              ;   in Loop: Header=BB2_126 Depth=2
	s_or_b64 exec, exec, s[36:37]
.LBB2_272:                              ;   in Loop: Header=BB2_126 Depth=2
	s_or_b64 exec, exec, s[28:29]
.LBB2_273:                              ;   in Loop: Header=BB2_126 Depth=2
	s_or_b64 exec, exec, s[34:35]
	v_cndmask_b32_e64 v0, v0, v56, s[26:27]
	v_cndmask_b32_e64 v0, v0, v21, s[24:25]
	;; [unrolled: 1-line block ×3, first 2 shown]
	v_max_f32_e32 v0, v0, v0
	v_max_f32_e32 v18, v18, v18
	v_min_f32_e32 v18, v18, v0
.LBB2_274:                              ;   in Loop: Header=BB2_126 Depth=2
	v_and_b32_e32 v36, 0x7f800000, v18
	v_cmp_ne_u64_e32 vcc, s[72:73], v[36:37]
                                        ; implicit-def: $vgpr50
	s_and_saveexec_b64 s[22:23], vcc
	s_xor_b64 s[24:25], exec, s[22:23]
	s_cbranch_execz .LBB2_288
; %bb.275:                              ;   in Loop: Header=BB2_126 Depth=2
	v_and_b32_e32 v36, 0x7fffffff, v18
	v_cmp_gt_u64_e32 vcc, s[74:75], v[36:37]
	v_and_b32_sdwa v0, v18, s55 dst_sel:DWORD dst_unused:UNUSED_PAD src0_sel:BYTE_3 src1_sel:DWORD
                                        ; implicit-def: $vgpr50
	s_and_saveexec_b64 s[22:23], vcc
	s_xor_b64 s[26:27], exec, s[22:23]
	s_cbranch_execz .LBB2_285
; %bb.276:                              ;   in Loop: Header=BB2_126 Depth=2
	v_mov_b32_e32 v50, 0
	v_cmp_ne_u32_e32 vcc, 0, v18
	s_and_saveexec_b64 s[28:29], vcc
	s_cbranch_execz .LBB2_284
; %bb.277:                              ;   in Loop: Header=BB2_126 Depth=2
	v_and_b32_e32 v24, 0x7fffff, v18
	v_bfe_u32 v18, v18, 23, 8
	v_cmp_gt_u32_e64 s[22:23], s64, v18
	v_sub_u32_e32 v19, 0x79, v18
	v_cmp_eq_u32_e32 vcc, 0, v18
	v_cndmask_b32_e64 v19, 0, v19, s[22:23]
	v_or_b32_e32 v25, 0x800000, v24
	v_cndmask_b32_e32 v19, v19, v2, vcc
	v_cndmask_b32_e32 v36, v25, v24, vcc
	v_add_u32_e32 v24, 20, v19
	v_lshlrev_b64 v[24:25], v24, -1
	v_add_u32_e32 v30, 19, v19
	v_lshlrev_b64 v[50:51], v30, 1
	v_lshrrev_b64 v[44:45], v19, v[36:37]
	v_bfi_b32 v25, v25, 0, 0
	v_bfi_b32 v24, v24, 0, v36
	v_cmp_eq_u64_e64 s[22:23], v[24:25], v[50:51]
	v_mov_b32_e32 v46, v45
	v_mov_b32_e32 v45, v44
	s_and_saveexec_b64 s[34:35], s[22:23]
; %bb.278:                              ;   in Loop: Header=BB2_126 Depth=2
	v_bfe_u32 v24, v44, 20, 1
	v_add_co_u32_e64 v24, s[22:23], v44, v24
	v_add_co_u32_e64 v45, s[22:23], -1, v24
; %bb.279:                              ;   in Loop: Header=BB2_126 Depth=2
	s_or_b64 exec, exec, s[34:35]
	v_add_u32_e32 v18, 0xffffff81, v18
	v_cndmask_b32_e32 v18, v18, v20, vcc
	v_lshrrev_b32_e32 v24, 23, v44
	v_add3_u32 v30, v19, v18, v24
	v_add_u32_e32 v19, 6, v30
	v_and_b32_e32 v18, 0xfffff, v45
	v_add_u32_e32 v36, v18, v44
	v_cmp_ne_u32_e32 vcc, 0, v19
                                        ; implicit-def: $vgpr44_vgpr45
                                        ; implicit-def: $vgpr18
	s_and_saveexec_b64 s[22:23], vcc
	s_xor_b64 s[22:23], exec, s[22:23]
; %bb.280:                              ;   in Loop: Header=BB2_126 Depth=2
	v_cmp_lt_u64_e32 vcc, s[76:77], v[36:37]
	v_add_u32_e32 v18, 7, v30
	v_cndmask_b32_e32 v18, v19, v18, vcc
	v_cndmask_b32_e64 v19, 0, 1, vcc
	v_lshrrev_b64 v[44:45], v19, v[36:37]
; %bb.281:                              ;   in Loop: Header=BB2_126 Depth=2
	s_andn2_saveexec_b64 s[22:23], s[22:23]
; %bb.282:                              ;   in Loop: Header=BB2_126 Depth=2
	v_mov_b32_e32 v45, v37
	v_bfe_u32 v18, v36, 23, 1
	v_mov_b32_e32 v44, v36
; %bb.283:                              ;   in Loop: Header=BB2_126 Depth=2
	s_or_b64 exec, exec, s[22:23]
	v_lshrrev_b64 v[24:25], 20, v[44:45]
	v_cmp_gt_i32_e32 vcc, 16, v18
	v_cndmask_b32_e32 v25, 0, v25, vcc
	v_cndmask_b32_e32 v24, 7, v24, vcc
	v_cmp_eq_u32_e32 vcc, 0, v18
	v_min_i32_e32 v18, 15, v18
	v_cmp_eq_u64_e64 s[22:23], 0, v[24:25]
	v_lshlrev_b32_e32 v18, 3, v18
	v_and_b32_e32 v18, 0xf8, v18
	v_and_or_b32 v18, v24, 7, v18
	s_and_b64 s[22:23], vcc, s[22:23]
	v_cndmask_b32_e64 v18, v18, 0, s[22:23]
	v_or_b32_e32 v50, v18, v0
.LBB2_284:                              ;   in Loop: Header=BB2_126 Depth=2
	s_or_b64 exec, exec, s[28:29]
                                        ; implicit-def: $vgpr0
.LBB2_285:                              ;   in Loop: Header=BB2_126 Depth=2
	s_andn2_saveexec_b64 s[22:23], s[26:27]
; %bb.286:                              ;   in Loop: Header=BB2_126 Depth=2
	v_or_b32_e32 v50, 0x7e, v0
; %bb.287:                              ;   in Loop: Header=BB2_126 Depth=2
	s_or_b64 exec, exec, s[22:23]
                                        ; implicit-def: $vgpr18
.LBB2_288:                              ;   in Loop: Header=BB2_126 Depth=2
	s_andn2_saveexec_b64 s[22:23], s[24:25]
; %bb.289:                              ;   in Loop: Header=BB2_126 Depth=2
	v_or_b32_sdwa v50, v18, s53 dst_sel:DWORD dst_unused:UNUSED_PAD src0_sel:BYTE_3 src1_sel:DWORD
; %bb.290:                              ;   in Loop: Header=BB2_126 Depth=2
	s_or_b64 exec, exec, s[22:23]
	v_and_b32_e32 v0, 7, v15
	v_ffbh_u32_e32 v0, v0
	v_and_b32_e32 v18, 0x7f, v15
	v_min_u32_e32 v0, 32, v0
	v_cmp_eq_u32_e64 s[22:23], s53, v18
	v_cmp_gt_u32_e32 vcc, 8, v18
	v_subrev_u32_e32 v18, 28, v0
	v_mov_b32_e32 v36, v15
	v_bfe_u32 v19, v15, 3, 4
	v_sub_u32_e32 v0, 29, v0
	v_cndmask_b32_e32 v18, 0, v18, vcc
	v_cndmask_b32_e32 v0, v19, v0, vcc
	v_lshlrev_b64 v[18:19], v18, v[36:37]
	v_lshlrev_b32_e32 v19, 24, v15
	v_lshlrev_b32_e32 v18, 20, v18
	v_and_b32_e32 v18, 0x700000, v18
	v_and_b32_e32 v19, 0x80000000, v19
	v_lshl_add_u32 v0, v0, 23, v3
	v_or3_b32 v0, v19, v0, v18
	v_mov_b32_e32 v44, v11
	v_mov_b32_e32 v45, v37
	v_cmp_ne_u16_sdwa s[24:25], v11, v37 src0_sel:BYTE_0 src1_sel:DWORD
	s_mov_b64 s[26:27], -1
	s_and_b64 vcc, exec, s[30:31]
                                        ; implicit-def: $vgpr18
	s_cbranch_vccz .LBB2_304
; %bb.291:                              ;   in Loop: Header=BB2_126 Depth=2
	v_mov_b32_e32 v18, 0
	s_and_saveexec_b64 s[26:27], s[24:25]
	s_cbranch_execz .LBB2_297
; %bb.292:                              ;   in Loop: Header=BB2_126 Depth=2
	v_cmp_ne_u16_sdwa vcc, v11, s55 src0_sel:BYTE_0 src1_sel:DWORD
	v_bfrev_b32_e32 v18, 1
	s_and_saveexec_b64 s[28:29], vcc
	s_cbranch_execz .LBB2_296
; %bb.293:                              ;   in Loop: Header=BB2_126 Depth=2
	v_and_b32_e32 v19, 0x7f, v11
	v_cmp_ne_u32_e32 vcc, s53, v19
	v_mov_b32_e32 v18, 0x7f800001
	s_and_saveexec_b64 s[34:35], vcc
	s_cbranch_execz .LBB2_295
; %bb.294:                              ;   in Loop: Header=BB2_126 Depth=2
	v_and_b32_e32 v18, 7, v11
	v_ffbh_u32_e32 v18, v18
	v_min_u32_e32 v18, 32, v18
	v_lshrrev_b32_e32 v24, 3, v19
	v_cmp_gt_u32_e32 vcc, 8, v19
	v_subrev_u32_e32 v19, 28, v18
	v_sub_u32_e32 v18, 29, v18
	v_cndmask_b32_e32 v24, v24, v18, vcc
	v_cndmask_b32_e32 v18, 0, v19, vcc
	v_lshlrev_b64 v[18:19], v18, v[44:45]
	v_lshlrev_b32_e32 v19, 24, v44
	v_lshlrev_b32_e32 v18, 20, v18
	v_and_b32_e32 v18, 0x700000, v18
	v_and_b32_e32 v19, 0x80000000, v19
	v_lshl_add_u32 v24, v24, 23, v3
	v_or3_b32 v18, v19, v24, v18
.LBB2_295:                              ;   in Loop: Header=BB2_126 Depth=2
	s_or_b64 exec, exec, s[34:35]
.LBB2_296:                              ;   in Loop: Header=BB2_126 Depth=2
	s_or_b64 exec, exec, s[28:29]
.LBB2_297:                              ;   in Loop: Header=BB2_126 Depth=2
	s_or_b64 exec, exec, s[26:27]
	v_cmp_gt_i16_sdwa s[28:29], v15, s53 src0_sel:BYTE_0 src1_sel:DWORD
	s_mov_b64 s[26:27], 0
	s_and_saveexec_b64 vcc, s[28:29]
	s_xor_b64 s[28:29], exec, vcc
	s_cbranch_execz .LBB2_794
; %bb.298:                              ;   in Loop: Header=BB2_126 Depth=2
	v_cmp_eq_u16_sdwa s[34:35], v15, s55 src0_sel:BYTE_0 src1_sel:DWORD
	s_mov_b64 s[26:27], -1
	s_and_saveexec_b64 vcc, s[34:35]
; %bb.299:                              ;   in Loop: Header=BB2_126 Depth=2
	s_xor_b64 s[26:27], exec, -1
; %bb.300:                              ;   in Loop: Header=BB2_126 Depth=2
	s_or_b64 exec, exec, vcc
	s_and_b64 s[26:27], s[26:27], exec
	s_or_saveexec_b64 s[28:29], s[28:29]
	v_bfrev_b32_e32 v19, 1
	s_xor_b64 exec, exec, s[28:29]
	s_cbranch_execnz .LBB2_795
.LBB2_301:                              ;   in Loop: Header=BB2_126 Depth=2
	s_or_b64 exec, exec, s[28:29]
	s_and_saveexec_b64 s[28:29], s[26:27]
.LBB2_302:                              ;   in Loop: Header=BB2_126 Depth=2
	v_cndmask_b32_e64 v19, v0, v56, s[22:23]
.LBB2_303:                              ;   in Loop: Header=BB2_126 Depth=2
	s_or_b64 exec, exec, s[28:29]
	v_max_f32_e32 v19, v19, v19
	v_max_f32_e32 v18, v18, v18
	;; [unrolled: 1-line block ×3, first 2 shown]
	s_mov_b64 s[26:27], 0
.LBB2_304:                              ;   in Loop: Header=BB2_126 Depth=2
	s_and_b64 vcc, exec, s[26:27]
	s_cbranch_vccz .LBB2_318
; %bb.305:                              ;   in Loop: Header=BB2_126 Depth=2
	v_mov_b32_e32 v18, 0
	s_and_saveexec_b64 s[26:27], s[24:25]
	s_cbranch_execz .LBB2_311
; %bb.306:                              ;   in Loop: Header=BB2_126 Depth=2
	v_cmp_ne_u16_sdwa s[28:29], v11, s55 src0_sel:BYTE_0 src1_sel:DWORD
	v_bfrev_b32_e32 v18, 1
	s_and_saveexec_b64 s[24:25], s[28:29]
	s_cbranch_execz .LBB2_310
; %bb.307:                              ;   in Loop: Header=BB2_126 Depth=2
	v_and_b32_e32 v19, 0x7f, v11
	v_cmp_ne_u32_e32 vcc, s53, v19
	v_mov_b32_e32 v18, 0x7f800001
	s_and_saveexec_b64 s[28:29], vcc
	s_cbranch_execz .LBB2_309
; %bb.308:                              ;   in Loop: Header=BB2_126 Depth=2
	v_and_b32_e32 v18, 7, v11
	v_ffbh_u32_e32 v18, v18
	v_min_u32_e32 v18, 32, v18
	v_lshrrev_b32_e32 v24, 3, v19
	v_cmp_gt_u32_e32 vcc, 8, v19
	v_subrev_u32_e32 v19, 28, v18
	v_sub_u32_e32 v18, 29, v18
	v_cndmask_b32_e32 v24, v24, v18, vcc
	v_cndmask_b32_e32 v18, 0, v19, vcc
	v_lshlrev_b64 v[18:19], v18, v[44:45]
	v_lshlrev_b32_e32 v19, 24, v44
	v_lshlrev_b32_e32 v18, 20, v18
	v_and_b32_e32 v18, 0x700000, v18
	v_and_b32_e32 v19, 0x80000000, v19
	v_lshl_add_u32 v24, v24, 23, v3
	v_or3_b32 v18, v19, v24, v18
.LBB2_309:                              ;   in Loop: Header=BB2_126 Depth=2
	s_or_b64 exec, exec, s[28:29]
.LBB2_310:                              ;   in Loop: Header=BB2_126 Depth=2
	s_or_b64 exec, exec, s[24:25]
.LBB2_311:                              ;   in Loop: Header=BB2_126 Depth=2
	s_or_b64 exec, exec, s[26:27]
	v_cmp_gt_i16_sdwa s[26:27], v15, s53 src0_sel:BYTE_0 src1_sel:DWORD
	s_mov_b64 s[24:25], 0
	s_and_saveexec_b64 s[28:29], s[26:27]
	s_xor_b64 s[26:27], exec, s[28:29]
	s_cbranch_execz .LBB2_796
; %bb.312:                              ;   in Loop: Header=BB2_126 Depth=2
	v_cmp_eq_u16_sdwa vcc, v15, s55 src0_sel:BYTE_0 src1_sel:DWORD
	s_mov_b64 s[24:25], -1
	s_and_saveexec_b64 s[28:29], vcc
; %bb.313:                              ;   in Loop: Header=BB2_126 Depth=2
	s_xor_b64 s[24:25], exec, -1
; %bb.314:                              ;   in Loop: Header=BB2_126 Depth=2
	s_or_b64 exec, exec, s[28:29]
	s_and_b64 s[24:25], s[24:25], exec
	s_or_saveexec_b64 s[26:27], s[26:27]
	v_bfrev_b32_e32 v19, 1
	s_xor_b64 exec, exec, s[26:27]
	s_cbranch_execnz .LBB2_797
.LBB2_315:                              ;   in Loop: Header=BB2_126 Depth=2
	s_or_b64 exec, exec, s[26:27]
	s_and_saveexec_b64 s[26:27], s[24:25]
.LBB2_316:                              ;   in Loop: Header=BB2_126 Depth=2
	v_cndmask_b32_e64 v19, v0, v56, s[22:23]
.LBB2_317:                              ;   in Loop: Header=BB2_126 Depth=2
	s_or_b64 exec, exec, s[26:27]
	v_max_f32_e32 v0, v19, v19
	v_max_f32_e32 v18, v18, v18
	v_min_f32_e32 v18, v18, v0
.LBB2_318:                              ;   in Loop: Header=BB2_126 Depth=2
	v_and_b32_e32 v24, 0x7f800000, v18
	v_mov_b32_e32 v25, v37
	v_cmp_ne_u64_e32 vcc, s[72:73], v[24:25]
                                        ; implicit-def: $vgpr51
	s_and_saveexec_b64 s[22:23], vcc
	s_xor_b64 s[24:25], exec, s[22:23]
	s_cbranch_execz .LBB2_332
; %bb.319:                              ;   in Loop: Header=BB2_126 Depth=2
	v_and_b32_e32 v24, 0x7fffffff, v18
	v_mov_b32_e32 v25, v37
	v_cmp_gt_u64_e32 vcc, s[74:75], v[24:25]
	v_and_b32_sdwa v0, v18, s55 dst_sel:DWORD dst_unused:UNUSED_PAD src0_sel:BYTE_3 src1_sel:DWORD
                                        ; implicit-def: $vgpr51
	s_and_saveexec_b64 s[22:23], vcc
	s_xor_b64 s[26:27], exec, s[22:23]
	s_cbranch_execz .LBB2_329
; %bb.320:                              ;   in Loop: Header=BB2_126 Depth=2
	v_mov_b32_e32 v51, 0
	v_cmp_ne_u32_e32 vcc, 0, v18
	s_and_saveexec_b64 s[28:29], vcc
	s_cbranch_execz .LBB2_328
; %bb.321:                              ;   in Loop: Header=BB2_126 Depth=2
	v_and_b32_e32 v24, 0x7fffff, v18
	v_bfe_u32 v18, v18, 23, 8
	v_cmp_gt_u32_e64 s[22:23], s64, v18
	v_sub_u32_e32 v19, 0x79, v18
	v_cmp_eq_u32_e32 vcc, 0, v18
	v_cndmask_b32_e64 v19, 0, v19, s[22:23]
	v_cndmask_b32_e32 v19, v19, v2, vcc
	v_add_u32_e32 v30, 20, v19
	v_or_b32_e32 v25, 0x800000, v24
	v_lshlrev_b64 v[51:52], v30, -1
	v_add_u32_e32 v30, 19, v19
	v_cndmask_b32_e32 v24, v25, v24, vcc
	v_lshlrev_b64 v[45:46], v30, 1
	v_mov_b32_e32 v25, v37
	v_bfi_b32 v52, v52, 0, 0
	v_bfi_b32 v51, v51, 0, v24
	v_cmp_eq_u64_e64 s[22:23], v[51:52], v[45:46]
	v_lshrrev_b64 v[45:46], v19, v[24:25]
	v_mov_b32_e32 v47, v46
	v_mov_b32_e32 v46, v45
	s_and_saveexec_b64 s[34:35], s[22:23]
; %bb.322:                              ;   in Loop: Header=BB2_126 Depth=2
	v_bfe_u32 v24, v45, 20, 1
	v_add_co_u32_e64 v24, s[22:23], v45, v24
	v_add_co_u32_e64 v46, s[22:23], -1, v24
; %bb.323:                              ;   in Loop: Header=BB2_126 Depth=2
	s_or_b64 exec, exec, s[34:35]
	v_add_u32_e32 v18, 0xffffff81, v18
	v_cndmask_b32_e32 v18, v18, v20, vcc
	v_lshrrev_b32_e32 v24, 23, v45
	v_add3_u32 v30, v19, v18, v24
	v_add_u32_e32 v19, 6, v30
	v_and_b32_e32 v18, 0xfffff, v46
	v_add_u32_e32 v45, v18, v45
	v_mov_b32_e32 v46, v37
	v_cmp_ne_u32_e32 vcc, 0, v19
                                        ; implicit-def: $vgpr18
	s_and_saveexec_b64 s[22:23], vcc
	s_xor_b64 s[22:23], exec, s[22:23]
; %bb.324:                              ;   in Loop: Header=BB2_126 Depth=2
	v_cmp_lt_u64_e32 vcc, s[76:77], v[45:46]
	v_add_u32_e32 v18, 7, v30
	v_cndmask_b32_e32 v18, v19, v18, vcc
	v_cndmask_b32_e64 v19, 0, 1, vcc
	v_lshrrev_b64 v[45:46], v19, v[45:46]
; %bb.325:                              ;   in Loop: Header=BB2_126 Depth=2
	s_andn2_saveexec_b64 s[22:23], s[22:23]
; %bb.326:                              ;   in Loop: Header=BB2_126 Depth=2
	v_bfe_u32 v18, v45, 23, 1
; %bb.327:                              ;   in Loop: Header=BB2_126 Depth=2
	s_or_b64 exec, exec, s[22:23]
	v_lshrrev_b64 v[24:25], 20, v[45:46]
	v_cmp_gt_i32_e32 vcc, 16, v18
	v_cndmask_b32_e32 v25, 0, v25, vcc
	v_cndmask_b32_e32 v24, 7, v24, vcc
	v_cmp_eq_u32_e32 vcc, 0, v18
	v_min_i32_e32 v18, 15, v18
	v_cmp_eq_u64_e64 s[22:23], 0, v[24:25]
	v_lshlrev_b32_e32 v18, 3, v18
	v_and_b32_e32 v18, 0xf8, v18
	v_and_or_b32 v18, v24, 7, v18
	s_and_b64 s[22:23], vcc, s[22:23]
	v_cndmask_b32_e64 v18, v18, 0, s[22:23]
	v_or_b32_e32 v51, v18, v0
.LBB2_328:                              ;   in Loop: Header=BB2_126 Depth=2
	s_or_b64 exec, exec, s[28:29]
                                        ; implicit-def: $vgpr0
.LBB2_329:                              ;   in Loop: Header=BB2_126 Depth=2
	s_andn2_saveexec_b64 s[22:23], s[26:27]
; %bb.330:                              ;   in Loop: Header=BB2_126 Depth=2
	v_or_b32_e32 v51, 0x7e, v0
; %bb.331:                              ;   in Loop: Header=BB2_126 Depth=2
	s_or_b64 exec, exec, s[22:23]
                                        ; implicit-def: $vgpr18
.LBB2_332:                              ;   in Loop: Header=BB2_126 Depth=2
	s_andn2_saveexec_b64 s[22:23], s[24:25]
; %bb.333:                              ;   in Loop: Header=BB2_126 Depth=2
	v_or_b32_sdwa v51, v18, s53 dst_sel:DWORD dst_unused:UNUSED_PAD src0_sel:BYTE_3 src1_sel:DWORD
; %bb.334:                              ;   in Loop: Header=BB2_126 Depth=2
	s_or_b64 exec, exec, s[22:23]
	v_lshrrev_b16_e32 v36, 8, v36
	v_and_b32_e32 v0, 7, v36
	v_and_b32_e32 v18, 0x7f, v36
	v_cmp_eq_u32_e64 s[22:23], s53, v18
	v_cmp_gt_u32_e32 vcc, 8, v18
	v_ffbh_u32_e32 v18, v0
	v_min_u32_e32 v25, 32, v18
	v_subrev_u32_e32 v18, 28, v25
	v_lshlrev_b64 v[18:19], v18, v[36:37]
	v_bfe_u32 v24, v36, 3, 4
	v_sub_u32_e32 v19, 29, v25
	v_and_b32_e32 v18, 7, v18
	v_cndmask_b32_e32 v19, v24, v19, vcc
	v_cndmask_b32_e32 v0, v0, v18, vcc
	v_lshlrev_b32_e32 v18, 24, v36
	v_lshrrev_b16_e32 v30, 8, v44
	v_lshlrev_b32_e32 v0, 20, v0
	v_and_b32_e32 v18, 0x80000000, v18
	v_lshl_add_u32 v19, v19, 23, v3
	v_or3_b32 v0, v18, v19, v0
	v_cmp_ne_u16_e64 s[24:25], 0, v30
	s_mov_b64 s[26:27], -1
	s_and_b64 vcc, exec, s[30:31]
                                        ; implicit-def: $vgpr19
	s_cbranch_vccz .LBB2_348
; %bb.335:                              ;   in Loop: Header=BB2_126 Depth=2
	v_mov_b32_e32 v18, 0
	s_and_saveexec_b64 s[26:27], s[24:25]
	s_cbranch_execz .LBB2_341
; %bb.336:                              ;   in Loop: Header=BB2_126 Depth=2
	v_cmp_ne_u16_e32 vcc, s55, v30
	v_bfrev_b32_e32 v18, 1
	s_and_saveexec_b64 s[28:29], vcc
	s_cbranch_execz .LBB2_340
; %bb.337:                              ;   in Loop: Header=BB2_126 Depth=2
	v_and_b32_e32 v19, 0x7f, v30
	v_cmp_ne_u32_e32 vcc, s53, v19
	v_mov_b32_e32 v18, 0x7f800001
	s_and_saveexec_b64 s[34:35], vcc
	s_cbranch_execz .LBB2_339
; %bb.338:                              ;   in Loop: Header=BB2_126 Depth=2
	v_and_b32_e32 v24, 7, v30
	v_ffbh_u32_e32 v18, v24
	v_min_u32_e32 v52, 32, v18
	v_subrev_u32_e32 v18, 28, v52
	v_lshrrev_b32_e32 v25, 3, v19
	v_cmp_gt_u32_e32 vcc, 8, v19
	v_lshlrev_b64 v[18:19], v18, v[30:31]
	v_sub_u32_e32 v19, 29, v52
	v_and_b32_e32 v18, 7, v18
	v_cndmask_b32_e32 v19, v25, v19, vcc
	v_cndmask_b32_e32 v18, v24, v18, vcc
	v_lshlrev_b32_e32 v24, 16, v44
	v_lshlrev_b32_e32 v18, 20, v18
	v_and_b32_e32 v24, 0x80000000, v24
	v_lshl_add_u32 v19, v19, 23, v3
	v_or3_b32 v18, v24, v19, v18
.LBB2_339:                              ;   in Loop: Header=BB2_126 Depth=2
	s_or_b64 exec, exec, s[34:35]
.LBB2_340:                              ;   in Loop: Header=BB2_126 Depth=2
	s_or_b64 exec, exec, s[28:29]
.LBB2_341:                              ;   in Loop: Header=BB2_126 Depth=2
	s_or_b64 exec, exec, s[26:27]
	v_cmp_lt_i16_e32 vcc, s53, v36
	s_mov_b64 s[26:27], 0
	s_and_saveexec_b64 s[28:29], vcc
	s_xor_b64 s[28:29], exec, s[28:29]
	s_cbranch_execz .LBB2_798
; %bb.342:                              ;   in Loop: Header=BB2_126 Depth=2
	v_cmp_eq_u16_e32 vcc, s55, v36
	s_mov_b64 s[26:27], -1
	s_and_saveexec_b64 s[34:35], vcc
; %bb.343:                              ;   in Loop: Header=BB2_126 Depth=2
	s_xor_b64 s[26:27], exec, -1
; %bb.344:                              ;   in Loop: Header=BB2_126 Depth=2
	s_or_b64 exec, exec, s[34:35]
	s_and_b64 s[26:27], s[26:27], exec
	s_or_saveexec_b64 s[28:29], s[28:29]
	v_bfrev_b32_e32 v19, 1
	s_xor_b64 exec, exec, s[28:29]
	s_cbranch_execnz .LBB2_799
.LBB2_345:                              ;   in Loop: Header=BB2_126 Depth=2
	s_or_b64 exec, exec, s[28:29]
	s_and_saveexec_b64 s[28:29], s[26:27]
.LBB2_346:                              ;   in Loop: Header=BB2_126 Depth=2
	v_cndmask_b32_e64 v19, v0, v56, s[22:23]
.LBB2_347:                              ;   in Loop: Header=BB2_126 Depth=2
	s_or_b64 exec, exec, s[28:29]
	v_max_f32_e32 v19, v19, v19
	v_max_f32_e32 v18, v18, v18
	;; [unrolled: 1-line block ×3, first 2 shown]
	s_mov_b64 s[26:27], 0
.LBB2_348:                              ;   in Loop: Header=BB2_126 Depth=2
	s_and_b64 vcc, exec, s[26:27]
	s_cbranch_vccz .LBB2_362
; %bb.349:                              ;   in Loop: Header=BB2_126 Depth=2
	v_mov_b32_e32 v18, 0
	s_and_saveexec_b64 s[26:27], s[24:25]
	s_cbranch_execz .LBB2_355
; %bb.350:                              ;   in Loop: Header=BB2_126 Depth=2
	v_cmp_ne_u16_e32 vcc, s55, v30
	v_bfrev_b32_e32 v18, 1
	s_and_saveexec_b64 s[24:25], vcc
	s_cbranch_execz .LBB2_354
; %bb.351:                              ;   in Loop: Header=BB2_126 Depth=2
	v_and_b32_e32 v19, 0x7f, v30
	v_cmp_ne_u32_e32 vcc, s53, v19
	v_mov_b32_e32 v18, 0x7f800001
	s_and_saveexec_b64 s[28:29], vcc
	s_cbranch_execz .LBB2_353
; %bb.352:                              ;   in Loop: Header=BB2_126 Depth=2
	v_and_b32_e32 v24, 7, v30
	v_ffbh_u32_e32 v18, v24
	v_min_u32_e32 v52, 32, v18
	v_subrev_u32_e32 v18, 28, v52
	v_lshrrev_b32_e32 v25, 3, v19
	v_cmp_gt_u32_e32 vcc, 8, v19
	v_lshlrev_b64 v[18:19], v18, v[30:31]
	v_sub_u32_e32 v19, 29, v52
	v_and_b32_e32 v18, 7, v18
	v_cndmask_b32_e32 v19, v25, v19, vcc
	v_cndmask_b32_e32 v18, v24, v18, vcc
	v_lshlrev_b32_e32 v24, 16, v44
	v_lshlrev_b32_e32 v18, 20, v18
	v_and_b32_e32 v24, 0x80000000, v24
	v_lshl_add_u32 v19, v19, 23, v3
	v_or3_b32 v18, v24, v19, v18
.LBB2_353:                              ;   in Loop: Header=BB2_126 Depth=2
	s_or_b64 exec, exec, s[28:29]
.LBB2_354:                              ;   in Loop: Header=BB2_126 Depth=2
	s_or_b64 exec, exec, s[24:25]
.LBB2_355:                              ;   in Loop: Header=BB2_126 Depth=2
	s_or_b64 exec, exec, s[26:27]
	v_cmp_lt_i16_e32 vcc, s53, v36
	s_mov_b64 s[24:25], 0
	s_and_saveexec_b64 s[26:27], vcc
	s_xor_b64 s[26:27], exec, s[26:27]
	s_cbranch_execz .LBB2_800
; %bb.356:                              ;   in Loop: Header=BB2_126 Depth=2
	v_cmp_eq_u16_e32 vcc, s55, v36
	s_mov_b64 s[24:25], -1
	s_and_saveexec_b64 s[28:29], vcc
; %bb.357:                              ;   in Loop: Header=BB2_126 Depth=2
	s_xor_b64 s[24:25], exec, -1
; %bb.358:                              ;   in Loop: Header=BB2_126 Depth=2
	s_or_b64 exec, exec, s[28:29]
	s_and_b64 s[24:25], s[24:25], exec
	s_or_saveexec_b64 s[26:27], s[26:27]
	v_bfrev_b32_e32 v19, 1
	s_xor_b64 exec, exec, s[26:27]
	s_cbranch_execnz .LBB2_801
.LBB2_359:                              ;   in Loop: Header=BB2_126 Depth=2
	s_or_b64 exec, exec, s[26:27]
	s_and_saveexec_b64 s[26:27], s[24:25]
.LBB2_360:                              ;   in Loop: Header=BB2_126 Depth=2
	v_cndmask_b32_e64 v19, v0, v56, s[22:23]
.LBB2_361:                              ;   in Loop: Header=BB2_126 Depth=2
	s_or_b64 exec, exec, s[26:27]
	v_max_f32_e32 v0, v19, v19
	v_max_f32_e32 v18, v18, v18
	v_min_f32_e32 v19, v18, v0
.LBB2_362:                              ;   in Loop: Header=BB2_126 Depth=2
	v_and_b32_e32 v36, 0x7f800000, v19
	v_cmp_ne_u64_e32 vcc, s[72:73], v[36:37]
                                        ; implicit-def: $vgpr0
	s_and_saveexec_b64 s[22:23], vcc
	s_xor_b64 s[24:25], exec, s[22:23]
	s_cbranch_execz .LBB2_376
; %bb.363:                              ;   in Loop: Header=BB2_126 Depth=2
	v_and_b32_e32 v36, 0x7fffffff, v19
	v_cmp_gt_u64_e32 vcc, s[74:75], v[36:37]
	v_and_b32_sdwa v18, v19, s55 dst_sel:DWORD dst_unused:UNUSED_PAD src0_sel:BYTE_3 src1_sel:DWORD
                                        ; implicit-def: $vgpr0
	s_and_saveexec_b64 s[22:23], vcc
	s_xor_b64 s[26:27], exec, s[22:23]
	s_cbranch_execz .LBB2_373
; %bb.364:                              ;   in Loop: Header=BB2_126 Depth=2
	v_mov_b32_e32 v0, 0
	v_cmp_ne_u32_e32 vcc, 0, v19
	s_and_saveexec_b64 s[28:29], vcc
	s_cbranch_execz .LBB2_372
; %bb.365:                              ;   in Loop: Header=BB2_126 Depth=2
	v_bfe_u32 v0, v19, 23, 8
	v_and_b32_e32 v24, 0x7fffff, v19
	v_cmp_gt_u32_e64 s[22:23], s64, v0
	v_sub_u32_e32 v19, 0x79, v0
	v_cmp_eq_u32_e32 vcc, 0, v0
	v_cndmask_b32_e64 v19, 0, v19, s[22:23]
	v_or_b32_e32 v25, 0x800000, v24
	v_cndmask_b32_e32 v19, v19, v2, vcc
	v_cndmask_b32_e32 v36, v25, v24, vcc
	v_add_u32_e32 v24, 20, v19
	v_lshlrev_b64 v[24:25], v24, -1
	v_add_u32_e32 v30, 19, v19
	v_lshlrev_b64 v[52:53], v30, 1
	v_lshrrev_b64 v[44:45], v19, v[36:37]
	v_bfi_b32 v25, v25, 0, 0
	v_bfi_b32 v24, v24, 0, v36
	v_cmp_eq_u64_e64 s[22:23], v[24:25], v[52:53]
	v_mov_b32_e32 v46, v45
	v_mov_b32_e32 v45, v44
	s_and_saveexec_b64 s[34:35], s[22:23]
; %bb.366:                              ;   in Loop: Header=BB2_126 Depth=2
	v_bfe_u32 v24, v44, 20, 1
	v_add_co_u32_e64 v24, s[22:23], v44, v24
	v_add_co_u32_e64 v45, s[22:23], -1, v24
; %bb.367:                              ;   in Loop: Header=BB2_126 Depth=2
	s_or_b64 exec, exec, s[34:35]
	v_add_u32_e32 v0, 0xffffff81, v0
	v_cndmask_b32_e32 v0, v0, v20, vcc
	v_lshrrev_b32_e32 v24, 23, v44
	v_add3_u32 v30, v19, v0, v24
	v_add_u32_e32 v19, 6, v30
	v_and_b32_e32 v0, 0xfffff, v45
	v_add_u32_e32 v36, v0, v44
	v_cmp_ne_u32_e32 vcc, 0, v19
                                        ; implicit-def: $vgpr44_vgpr45
                                        ; implicit-def: $vgpr0
	s_and_saveexec_b64 s[22:23], vcc
	s_xor_b64 s[22:23], exec, s[22:23]
; %bb.368:                              ;   in Loop: Header=BB2_126 Depth=2
	v_cmp_lt_u64_e32 vcc, s[76:77], v[36:37]
	v_add_u32_e32 v0, 7, v30
	v_cndmask_b32_e32 v0, v19, v0, vcc
	v_cndmask_b32_e64 v19, 0, 1, vcc
	v_lshrrev_b64 v[44:45], v19, v[36:37]
; %bb.369:                              ;   in Loop: Header=BB2_126 Depth=2
	s_andn2_saveexec_b64 s[22:23], s[22:23]
; %bb.370:                              ;   in Loop: Header=BB2_126 Depth=2
	v_mov_b32_e32 v45, v37
	v_bfe_u32 v0, v36, 23, 1
	v_mov_b32_e32 v44, v36
; %bb.371:                              ;   in Loop: Header=BB2_126 Depth=2
	s_or_b64 exec, exec, s[22:23]
	v_lshrrev_b64 v[24:25], 20, v[44:45]
	v_cmp_gt_i32_e32 vcc, 16, v0
	v_cndmask_b32_e32 v25, 0, v25, vcc
	v_cndmask_b32_e32 v24, 7, v24, vcc
	v_cmp_eq_u32_e32 vcc, 0, v0
	v_min_i32_e32 v0, 15, v0
	v_cmp_eq_u64_e64 s[22:23], 0, v[24:25]
	v_lshlrev_b32_e32 v0, 3, v0
	v_and_b32_e32 v0, 0xf8, v0
	v_and_or_b32 v0, v24, 7, v0
	s_and_b64 s[22:23], vcc, s[22:23]
	v_cndmask_b32_e64 v0, v0, 0, s[22:23]
	v_or_b32_e32 v0, v0, v18
.LBB2_372:                              ;   in Loop: Header=BB2_126 Depth=2
	s_or_b64 exec, exec, s[28:29]
                                        ; implicit-def: $vgpr18
.LBB2_373:                              ;   in Loop: Header=BB2_126 Depth=2
	s_andn2_saveexec_b64 s[22:23], s[26:27]
; %bb.374:                              ;   in Loop: Header=BB2_126 Depth=2
	v_or_b32_e32 v0, 0x7e, v18
; %bb.375:                              ;   in Loop: Header=BB2_126 Depth=2
	s_or_b64 exec, exec, s[22:23]
                                        ; implicit-def: $vgpr19
.LBB2_376:                              ;   in Loop: Header=BB2_126 Depth=2
	s_andn2_saveexec_b64 s[22:23], s[24:25]
; %bb.377:                              ;   in Loop: Header=BB2_126 Depth=2
	v_or_b32_sdwa v0, v19, s53 dst_sel:DWORD dst_unused:UNUSED_PAD src0_sel:BYTE_3 src1_sel:DWORD
; %bb.378:                              ;   in Loop: Header=BB2_126 Depth=2
	s_or_b64 exec, exec, s[22:23]
	v_bfe_u32 v24, v15, 16, 3
	v_bfe_u32 v18, v15, 16, 7
	v_cmp_eq_u32_e64 s[22:23], s53, v18
	v_cmp_gt_u32_e32 vcc, 8, v18
	v_ffbh_u32_e32 v18, v24
	v_min_u32_e32 v36, 32, v18
	v_lshrrev_b32_e32 v30, 16, v15
	v_subrev_u32_e32 v18, 28, v36
	v_lshlrev_b64 v[18:19], v18, v[30:31]
	v_bfe_u32 v25, v30, 3, 4
	v_sub_u32_e32 v19, 29, v36
	v_and_b32_e32 v18, 7, v18
	v_cndmask_b32_e32 v19, v25, v19, vcc
	v_cndmask_b32_e32 v18, v24, v18, vcc
	v_lshlrev_b32_e32 v24, 8, v15
	v_lshlrev_b32_e32 v18, 20, v18
	v_and_b32_e32 v24, 0x80000000, v24
	v_lshl_add_u32 v19, v19, 23, v3
	v_lshrrev_b32_e32 v36, 16, v11
	v_or3_b32 v18, v24, v19, v18
	v_cmp_ne_u16_sdwa s[24:25], v36, v37 src0_sel:BYTE_0 src1_sel:DWORD
	s_mov_b64 s[26:27], -1
	s_and_b64 vcc, exec, s[30:31]
                                        ; implicit-def: $vgpr19
	s_cbranch_vccz .LBB2_392
; %bb.379:                              ;   in Loop: Header=BB2_126 Depth=2
	v_mov_b32_e32 v19, 0
	s_and_saveexec_b64 s[26:27], s[24:25]
	s_cbranch_execz .LBB2_385
; %bb.380:                              ;   in Loop: Header=BB2_126 Depth=2
	v_cmp_ne_u16_sdwa vcc, v36, s55 src0_sel:BYTE_0 src1_sel:DWORD
	v_bfrev_b32_e32 v19, 1
	s_and_saveexec_b64 s[28:29], vcc
	s_cbranch_execz .LBB2_384
; %bb.381:                              ;   in Loop: Header=BB2_126 Depth=2
	v_bfe_u32 v52, v11, 16, 7
	v_cmp_ne_u32_e32 vcc, s53, v52
	v_mov_b32_e32 v19, 0x7f800001
	s_and_saveexec_b64 s[34:35], vcc
	s_cbranch_execz .LBB2_383
; %bb.382:                              ;   in Loop: Header=BB2_126 Depth=2
	v_and_b32_e32 v19, 7, v36
	v_ffbh_u32_e32 v24, v19
	v_lshrrev_b32_e32 v53, 3, v52
	v_cmp_gt_u32_e32 vcc, 8, v52
	v_min_u32_e32 v52, 32, v24
	v_subrev_u32_e32 v24, 28, v52
	v_lshlrev_b64 v[24:25], v24, v[36:37]
	v_sub_u32_e32 v25, 29, v52
	v_and_b32_e32 v24, 7, v24
	v_cndmask_b32_e32 v25, v53, v25, vcc
	v_cndmask_b32_e32 v19, v19, v24, vcc
	v_lshlrev_b32_e32 v24, 24, v36
	v_lshlrev_b32_e32 v19, 20, v19
	v_and_b32_e32 v24, 0x80000000, v24
	v_lshl_add_u32 v25, v25, 23, v3
	v_or3_b32 v19, v24, v25, v19
.LBB2_383:                              ;   in Loop: Header=BB2_126 Depth=2
	s_or_b64 exec, exec, s[34:35]
.LBB2_384:                              ;   in Loop: Header=BB2_126 Depth=2
	s_or_b64 exec, exec, s[28:29]
.LBB2_385:                              ;   in Loop: Header=BB2_126 Depth=2
	s_or_b64 exec, exec, s[26:27]
	v_cmp_gt_i16_sdwa s[28:29], v30, s53 src0_sel:BYTE_0 src1_sel:DWORD
	s_mov_b64 s[26:27], 0
	s_and_saveexec_b64 vcc, s[28:29]
	s_xor_b64 s[28:29], exec, vcc
	s_cbranch_execz .LBB2_802
; %bb.386:                              ;   in Loop: Header=BB2_126 Depth=2
	v_cmp_eq_u16_sdwa s[34:35], v30, s55 src0_sel:BYTE_0 src1_sel:DWORD
	s_mov_b64 s[26:27], -1
	s_and_saveexec_b64 vcc, s[34:35]
; %bb.387:                              ;   in Loop: Header=BB2_126 Depth=2
	s_xor_b64 s[26:27], exec, -1
; %bb.388:                              ;   in Loop: Header=BB2_126 Depth=2
	s_or_b64 exec, exec, vcc
	s_and_b64 s[26:27], s[26:27], exec
	s_or_saveexec_b64 s[28:29], s[28:29]
	v_bfrev_b32_e32 v52, 1
	s_xor_b64 exec, exec, s[28:29]
	s_cbranch_execnz .LBB2_803
.LBB2_389:                              ;   in Loop: Header=BB2_126 Depth=2
	s_or_b64 exec, exec, s[28:29]
	s_and_saveexec_b64 s[28:29], s[26:27]
.LBB2_390:                              ;   in Loop: Header=BB2_126 Depth=2
	v_cndmask_b32_e64 v52, v18, v56, s[22:23]
.LBB2_391:                              ;   in Loop: Header=BB2_126 Depth=2
	s_or_b64 exec, exec, s[28:29]
	v_max_f32_e32 v24, v52, v52
	v_max_f32_e32 v19, v19, v19
	;; [unrolled: 1-line block ×3, first 2 shown]
	s_mov_b64 s[26:27], 0
.LBB2_392:                              ;   in Loop: Header=BB2_126 Depth=2
	s_and_b64 vcc, exec, s[26:27]
	s_cbranch_vccz .LBB2_406
; %bb.393:                              ;   in Loop: Header=BB2_126 Depth=2
	v_mov_b32_e32 v19, 0
	s_and_saveexec_b64 s[26:27], s[24:25]
	s_cbranch_execz .LBB2_399
; %bb.394:                              ;   in Loop: Header=BB2_126 Depth=2
	v_cmp_ne_u16_sdwa s[28:29], v36, s55 src0_sel:BYTE_0 src1_sel:DWORD
	v_bfrev_b32_e32 v19, 1
	s_and_saveexec_b64 s[24:25], s[28:29]
	s_cbranch_execz .LBB2_398
; %bb.395:                              ;   in Loop: Header=BB2_126 Depth=2
	v_bfe_u32 v52, v11, 16, 7
	v_cmp_ne_u32_e32 vcc, s53, v52
	v_mov_b32_e32 v19, 0x7f800001
	s_and_saveexec_b64 s[28:29], vcc
	s_cbranch_execz .LBB2_397
; %bb.396:                              ;   in Loop: Header=BB2_126 Depth=2
	v_and_b32_e32 v19, 7, v36
	v_ffbh_u32_e32 v24, v19
	v_lshrrev_b32_e32 v53, 3, v52
	v_cmp_gt_u32_e32 vcc, 8, v52
	v_min_u32_e32 v52, 32, v24
	v_subrev_u32_e32 v24, 28, v52
	v_lshlrev_b64 v[24:25], v24, v[36:37]
	v_sub_u32_e32 v25, 29, v52
	v_and_b32_e32 v24, 7, v24
	v_cndmask_b32_e32 v25, v53, v25, vcc
	v_cndmask_b32_e32 v19, v19, v24, vcc
	v_lshlrev_b32_e32 v24, 24, v36
	v_lshlrev_b32_e32 v19, 20, v19
	v_and_b32_e32 v24, 0x80000000, v24
	v_lshl_add_u32 v25, v25, 23, v3
	v_or3_b32 v19, v24, v25, v19
.LBB2_397:                              ;   in Loop: Header=BB2_126 Depth=2
	s_or_b64 exec, exec, s[28:29]
.LBB2_398:                              ;   in Loop: Header=BB2_126 Depth=2
	s_or_b64 exec, exec, s[24:25]
.LBB2_399:                              ;   in Loop: Header=BB2_126 Depth=2
	s_or_b64 exec, exec, s[26:27]
	v_cmp_gt_i16_sdwa s[26:27], v30, s53 src0_sel:BYTE_0 src1_sel:DWORD
	s_mov_b64 s[24:25], 0
	s_and_saveexec_b64 s[28:29], s[26:27]
	s_xor_b64 s[26:27], exec, s[28:29]
	s_cbranch_execz .LBB2_804
; %bb.400:                              ;   in Loop: Header=BB2_126 Depth=2
	v_cmp_eq_u16_sdwa vcc, v30, s55 src0_sel:BYTE_0 src1_sel:DWORD
	s_mov_b64 s[24:25], -1
	s_and_saveexec_b64 s[28:29], vcc
; %bb.401:                              ;   in Loop: Header=BB2_126 Depth=2
	s_xor_b64 s[24:25], exec, -1
; %bb.402:                              ;   in Loop: Header=BB2_126 Depth=2
	s_or_b64 exec, exec, s[28:29]
	s_and_b64 s[24:25], s[24:25], exec
                                        ; implicit-def: $vgpr30
	s_or_saveexec_b64 s[26:27], s[26:27]
	v_bfrev_b32_e32 v36, 1
	s_xor_b64 exec, exec, s[26:27]
	s_cbranch_execnz .LBB2_805
.LBB2_403:                              ;   in Loop: Header=BB2_126 Depth=2
	s_or_b64 exec, exec, s[26:27]
	s_and_saveexec_b64 s[26:27], s[24:25]
.LBB2_404:                              ;   in Loop: Header=BB2_126 Depth=2
	v_cndmask_b32_e64 v36, v18, v56, s[22:23]
.LBB2_405:                              ;   in Loop: Header=BB2_126 Depth=2
	s_or_b64 exec, exec, s[26:27]
	v_max_f32_e32 v18, v36, v36
	v_max_f32_e32 v19, v19, v19
	v_min_f32_e32 v19, v19, v18
.LBB2_406:                              ;   in Loop: Header=BB2_126 Depth=2
	v_and_b32_e32 v36, 0x7f800000, v19
	v_cmp_ne_u64_e32 vcc, s[72:73], v[36:37]
                                        ; implicit-def: $vgpr46
	s_and_saveexec_b64 s[22:23], vcc
	s_xor_b64 s[24:25], exec, s[22:23]
	s_cbranch_execz .LBB2_420
; %bb.407:                              ;   in Loop: Header=BB2_126 Depth=2
	v_and_b32_e32 v36, 0x7fffffff, v19
	v_cmp_gt_u64_e32 vcc, s[74:75], v[36:37]
	v_and_b32_sdwa v18, v19, s55 dst_sel:DWORD dst_unused:UNUSED_PAD src0_sel:BYTE_3 src1_sel:DWORD
                                        ; implicit-def: $vgpr46
	s_and_saveexec_b64 s[22:23], vcc
	s_xor_b64 s[26:27], exec, s[22:23]
	s_cbranch_execz .LBB2_417
; %bb.408:                              ;   in Loop: Header=BB2_126 Depth=2
	v_mov_b32_e32 v46, 0
	v_cmp_ne_u32_e32 vcc, 0, v19
	s_and_saveexec_b64 s[28:29], vcc
	s_cbranch_execz .LBB2_416
; %bb.409:                              ;   in Loop: Header=BB2_126 Depth=2
	v_and_b32_e32 v24, 0x7fffff, v19
	v_bfe_u32 v19, v19, 23, 8
	v_cmp_gt_u32_e64 s[22:23], s64, v19
	v_sub_u32_e32 v25, 0x79, v19
	v_cmp_eq_u32_e32 vcc, 0, v19
	v_cndmask_b32_e64 v25, 0, v25, s[22:23]
	v_or_b32_e32 v36, 0x800000, v24
	v_cndmask_b32_e32 v30, v25, v2, vcc
	v_cndmask_b32_e32 v36, v36, v24, vcc
	v_add_u32_e32 v24, 20, v30
	v_lshlrev_b64 v[24:25], v24, -1
	v_add_u32_e32 v52, 19, v30
	v_lshlrev_b64 v[52:53], v52, 1
	v_lshrrev_b64 v[44:45], v30, v[36:37]
	v_bfi_b32 v25, v25, 0, 0
	v_bfi_b32 v24, v24, 0, v36
	v_cmp_eq_u64_e64 s[22:23], v[24:25], v[52:53]
	v_mov_b32_e32 v46, v45
	v_mov_b32_e32 v45, v44
	s_and_saveexec_b64 s[34:35], s[22:23]
; %bb.410:                              ;   in Loop: Header=BB2_126 Depth=2
	v_bfe_u32 v24, v44, 20, 1
	v_add_co_u32_e64 v24, s[22:23], v44, v24
	v_add_co_u32_e64 v45, s[22:23], -1, v24
; %bb.411:                              ;   in Loop: Header=BB2_126 Depth=2
	s_or_b64 exec, exec, s[34:35]
	v_add_u32_e32 v19, 0xffffff81, v19
	v_cndmask_b32_e32 v19, v19, v20, vcc
	v_lshrrev_b32_e32 v24, 23, v44
	v_add3_u32 v52, v30, v19, v24
	v_add_u32_e32 v30, 6, v52
	v_and_b32_e32 v19, 0xfffff, v45
	v_add_u32_e32 v36, v19, v44
	v_cmp_ne_u32_e32 vcc, 0, v30
                                        ; implicit-def: $vgpr44_vgpr45
                                        ; implicit-def: $vgpr19
	s_and_saveexec_b64 s[22:23], vcc
	s_xor_b64 s[22:23], exec, s[22:23]
; %bb.412:                              ;   in Loop: Header=BB2_126 Depth=2
	v_cmp_lt_u64_e32 vcc, s[76:77], v[36:37]
	v_add_u32_e32 v19, 7, v52
	v_cndmask_b32_e64 v24, 0, 1, vcc
	v_cndmask_b32_e32 v19, v30, v19, vcc
	v_lshrrev_b64 v[44:45], v24, v[36:37]
; %bb.413:                              ;   in Loop: Header=BB2_126 Depth=2
	s_andn2_saveexec_b64 s[22:23], s[22:23]
; %bb.414:                              ;   in Loop: Header=BB2_126 Depth=2
	v_mov_b32_e32 v45, v37
	v_bfe_u32 v19, v36, 23, 1
	v_mov_b32_e32 v44, v36
; %bb.415:                              ;   in Loop: Header=BB2_126 Depth=2
	s_or_b64 exec, exec, s[22:23]
	v_lshrrev_b64 v[24:25], 20, v[44:45]
	v_cmp_gt_i32_e32 vcc, 16, v19
	v_cndmask_b32_e32 v25, 0, v25, vcc
	v_cndmask_b32_e32 v24, 7, v24, vcc
	v_cmp_eq_u32_e32 vcc, 0, v19
	v_min_i32_e32 v19, 15, v19
	v_cmp_eq_u64_e64 s[22:23], 0, v[24:25]
	v_lshlrev_b32_e32 v19, 3, v19
	v_and_b32_e32 v19, 0xf8, v19
	v_and_or_b32 v19, v24, 7, v19
	s_and_b64 s[22:23], vcc, s[22:23]
	v_cndmask_b32_e64 v19, v19, 0, s[22:23]
	v_or_b32_e32 v46, v19, v18
.LBB2_416:                              ;   in Loop: Header=BB2_126 Depth=2
	s_or_b64 exec, exec, s[28:29]
                                        ; implicit-def: $vgpr18
.LBB2_417:                              ;   in Loop: Header=BB2_126 Depth=2
	s_andn2_saveexec_b64 s[22:23], s[26:27]
; %bb.418:                              ;   in Loop: Header=BB2_126 Depth=2
	v_or_b32_e32 v46, 0x7e, v18
; %bb.419:                              ;   in Loop: Header=BB2_126 Depth=2
	s_or_b64 exec, exec, s[22:23]
                                        ; implicit-def: $vgpr19
.LBB2_420:                              ;   in Loop: Header=BB2_126 Depth=2
	s_andn2_saveexec_b64 s[22:23], s[24:25]
; %bb.421:                              ;   in Loop: Header=BB2_126 Depth=2
	v_or_b32_sdwa v46, v19, s53 dst_sel:DWORD dst_unused:UNUSED_PAD src0_sel:BYTE_3 src1_sel:DWORD
; %bb.422:                              ;   in Loop: Header=BB2_126 Depth=2
	s_or_b64 exec, exec, s[22:23]
	v_cmp_gt_u64_e64 s[22:23], s[58:59], v[14:15]
	v_bfe_u32 v14, v15, 24, 3
	v_bfe_u32 v19, v15, 24, 7
	v_cmp_eq_u32_e64 s[26:27], s53, v19
	v_cmp_gt_u32_e32 vcc, 8, v19
	v_ffbh_u32_e32 v19, v14
	v_min_u32_e32 v25, 32, v19
	v_lshrrev_b32_e32 v18, 24, v15
	v_subrev_u32_e32 v19, 28, v25
	v_bfe_u32 v24, v18, 3, 4
	v_cmp_eq_u32_e64 s[24:25], s55, v18
	v_lshlrev_b64 v[18:19], v19, v[18:19]
	v_sub_u32_e32 v19, 29, v25
	v_and_b32_e32 v18, 7, v18
	v_cndmask_b32_e32 v19, v24, v19, vcc
	v_cndmask_b32_e32 v14, v14, v18, vcc
	v_lshlrev_b32_e32 v14, 20, v14
	v_and_b32_e32 v15, 0x80000000, v15
	v_lshl_add_u32 v18, v19, 23, v3
	v_cmp_lt_u64_e64 s[28:29], s[78:79], v[10:11]
	v_lshrrev_b32_e32 v30, 24, v11
	v_or3_b32 v14, v15, v18, v14
	s_mov_b64 s[34:35], -1
	s_and_b64 vcc, exec, s[30:31]
                                        ; implicit-def: $vgpr10
	s_cbranch_vccz .LBB2_430
; %bb.423:                              ;   in Loop: Header=BB2_126 Depth=2
	v_mov_b32_e32 v10, 0
	s_and_saveexec_b64 s[34:35], s[28:29]
	s_cbranch_execz .LBB2_429
; %bb.424:                              ;   in Loop: Header=BB2_126 Depth=2
	v_cmp_ne_u32_e32 vcc, s55, v30
	v_bfrev_b32_e32 v10, 1
	s_and_saveexec_b64 s[36:37], vcc
	s_cbranch_execz .LBB2_428
; %bb.425:                              ;   in Loop: Header=BB2_126 Depth=2
	v_bfe_u32 v15, v11, 24, 7
	v_cmp_ne_u32_e32 vcc, s53, v15
	v_mov_b32_e32 v10, 0x7f800001
	s_and_saveexec_b64 s[38:39], vcc
	s_cbranch_execz .LBB2_427
; %bb.426:                              ;   in Loop: Header=BB2_126 Depth=2
	v_and_b32_e32 v10, 7, v30
	v_lshrrev_b32_e32 v24, 3, v15
	v_cmp_gt_u32_e32 vcc, 8, v15
	v_ffbh_u32_e32 v15, v10
	v_min_u32_e32 v15, 32, v15
	v_subrev_u32_e32 v18, 28, v15
	v_lshlrev_b64 v[18:19], v18, v[30:31]
	v_sub_u32_e32 v15, 29, v15
	v_and_b32_e32 v18, 7, v18
	v_cndmask_b32_e32 v15, v24, v15, vcc
	v_cndmask_b32_e32 v10, v10, v18, vcc
	v_lshlrev_b32_e32 v18, 24, v30
	v_lshlrev_b32_e32 v10, 20, v10
	v_and_b32_e32 v18, 0x80000000, v18
	v_lshl_add_u32 v15, v15, 23, v3
	v_or3_b32 v10, v18, v15, v10
.LBB2_427:                              ;   in Loop: Header=BB2_126 Depth=2
	s_or_b64 exec, exec, s[38:39]
.LBB2_428:                              ;   in Loop: Header=BB2_126 Depth=2
	s_or_b64 exec, exec, s[36:37]
.LBB2_429:                              ;   in Loop: Header=BB2_126 Depth=2
	s_or_b64 exec, exec, s[34:35]
	v_cndmask_b32_e64 v15, v14, v56, s[26:27]
	v_cndmask_b32_e64 v15, v15, v21, s[24:25]
	;; [unrolled: 1-line block ×3, first 2 shown]
	v_max_f32_e32 v15, v15, v15
	v_max_f32_e32 v10, v10, v10
	;; [unrolled: 1-line block ×3, first 2 shown]
	s_mov_b64 s[34:35], 0
.LBB2_430:                              ;   in Loop: Header=BB2_126 Depth=2
	s_and_b64 vcc, exec, s[34:35]
	s_cbranch_vccz .LBB2_438
; %bb.431:                              ;   in Loop: Header=BB2_126 Depth=2
	v_mov_b32_e32 v10, 0
	s_and_saveexec_b64 s[34:35], s[28:29]
	s_cbranch_execz .LBB2_437
; %bb.432:                              ;   in Loop: Header=BB2_126 Depth=2
	v_cmp_ne_u32_e32 vcc, s55, v30
	v_bfrev_b32_e32 v10, 1
	s_and_saveexec_b64 s[28:29], vcc
	s_cbranch_execz .LBB2_436
; %bb.433:                              ;   in Loop: Header=BB2_126 Depth=2
	v_bfe_u32 v11, v11, 24, 7
	v_cmp_ne_u32_e32 vcc, s53, v11
	v_mov_b32_e32 v10, 0x7f800001
	s_and_saveexec_b64 s[36:37], vcc
	s_cbranch_execz .LBB2_435
; %bb.434:                              ;   in Loop: Header=BB2_126 Depth=2
	v_and_b32_e32 v15, 7, v30
	v_ffbh_u32_e32 v10, v15
	v_min_u32_e32 v19, 32, v10
	v_subrev_u32_e32 v10, 28, v19
	v_lshrrev_b32_e32 v18, 3, v11
	v_cmp_gt_u32_e32 vcc, 8, v11
	v_lshlrev_b64 v[10:11], v10, v[30:31]
	v_sub_u32_e32 v11, 29, v19
	v_and_b32_e32 v10, 7, v10
	v_cndmask_b32_e32 v11, v18, v11, vcc
	v_cndmask_b32_e32 v10, v15, v10, vcc
	v_lshlrev_b32_e32 v15, 24, v30
	v_lshlrev_b32_e32 v10, 20, v10
	v_and_b32_e32 v15, 0x80000000, v15
	v_lshl_add_u32 v11, v11, 23, v3
	v_or3_b32 v10, v15, v11, v10
.LBB2_435:                              ;   in Loop: Header=BB2_126 Depth=2
	s_or_b64 exec, exec, s[36:37]
.LBB2_436:                              ;   in Loop: Header=BB2_126 Depth=2
	s_or_b64 exec, exec, s[28:29]
.LBB2_437:                              ;   in Loop: Header=BB2_126 Depth=2
	s_or_b64 exec, exec, s[34:35]
	v_cndmask_b32_e64 v11, v14, v56, s[26:27]
	v_cndmask_b32_e64 v11, v11, v21, s[24:25]
	;; [unrolled: 1-line block ×3, first 2 shown]
	v_max_f32_e32 v11, v11, v11
	v_max_f32_e32 v10, v10, v10
	v_min_f32_e32 v10, v10, v11
.LBB2_438:                              ;   in Loop: Header=BB2_126 Depth=2
	v_and_b32_e32 v36, 0x7f800000, v10
	v_cmp_ne_u64_e32 vcc, s[72:73], v[36:37]
                                        ; implicit-def: $vgpr30
	s_and_saveexec_b64 s[22:23], vcc
	s_xor_b64 s[24:25], exec, s[22:23]
	s_cbranch_execz .LBB2_452
; %bb.439:                              ;   in Loop: Header=BB2_126 Depth=2
	v_and_b32_e32 v36, 0x7fffffff, v10
	v_cmp_gt_u64_e32 vcc, s[74:75], v[36:37]
	v_and_b32_sdwa v18, v10, s55 dst_sel:DWORD dst_unused:UNUSED_PAD src0_sel:BYTE_3 src1_sel:DWORD
                                        ; implicit-def: $vgpr30
	s_and_saveexec_b64 s[22:23], vcc
	s_xor_b64 s[26:27], exec, s[22:23]
	s_cbranch_execz .LBB2_449
; %bb.440:                              ;   in Loop: Header=BB2_126 Depth=2
	v_mov_b32_e32 v30, 0
	v_cmp_ne_u32_e32 vcc, 0, v10
	s_and_saveexec_b64 s[28:29], vcc
	s_cbranch_execz .LBB2_448
; %bb.441:                              ;   in Loop: Header=BB2_126 Depth=2
	v_bfe_u32 v19, v10, 23, 8
	v_and_b32_e32 v11, 0x7fffff, v10
	v_cmp_gt_u32_e64 s[22:23], s64, v19
	v_sub_u32_e32 v10, 0x79, v19
	v_cmp_eq_u32_e32 vcc, 0, v19
	v_cndmask_b32_e64 v10, 0, v10, s[22:23]
	v_cndmask_b32_e32 v30, v10, v2, vcc
	v_or_b32_e32 v14, 0x800000, v11
	v_add_u32_e32 v10, 20, v30
	v_cndmask_b32_e32 v36, v14, v11, vcc
	v_lshlrev_b64 v[10:11], v10, -1
	v_add_u32_e32 v14, 19, v30
	v_lshlrev_b64 v[14:15], v14, 1
	v_bfi_b32 v11, v11, 0, 0
	v_bfi_b32 v10, v10, 0, v36
	v_cmp_eq_u64_e64 s[22:23], v[10:11], v[14:15]
	v_lshrrev_b64 v[10:11], v30, v[36:37]
	v_mov_b32_e32 v15, v11
	v_mov_b32_e32 v14, v10
	s_and_saveexec_b64 s[34:35], s[22:23]
; %bb.442:                              ;   in Loop: Header=BB2_126 Depth=2
	v_bfe_u32 v11, v10, 20, 1
	v_add_co_u32_e64 v11, s[22:23], v10, v11
	v_add_co_u32_e64 v14, s[22:23], -1, v11
; %bb.443:                              ;   in Loop: Header=BB2_126 Depth=2
	s_or_b64 exec, exec, s[34:35]
	v_add_u32_e32 v11, 0xffffff81, v19
	v_cndmask_b32_e32 v11, v11, v20, vcc
	v_lshrrev_b32_e32 v15, 23, v10
	v_add3_u32 v19, v30, v11, v15
	v_add_u32_e32 v15, 6, v19
	v_and_b32_e32 v11, 0xfffff, v14
	v_add_u32_e32 v36, v11, v10
	v_cmp_ne_u32_e32 vcc, 0, v15
                                        ; implicit-def: $vgpr10_vgpr11
                                        ; implicit-def: $vgpr14
	s_and_saveexec_b64 s[22:23], vcc
	s_xor_b64 s[22:23], exec, s[22:23]
; %bb.444:                              ;   in Loop: Header=BB2_126 Depth=2
	v_cmp_lt_u64_e32 vcc, s[76:77], v[36:37]
	v_add_u32_e32 v10, 7, v19
	v_cndmask_b32_e32 v14, v15, v10, vcc
	v_cndmask_b32_e64 v10, 0, 1, vcc
	v_lshrrev_b64 v[10:11], v10, v[36:37]
; %bb.445:                              ;   in Loop: Header=BB2_126 Depth=2
	s_andn2_saveexec_b64 s[22:23], s[22:23]
; %bb.446:                              ;   in Loop: Header=BB2_126 Depth=2
	v_mov_b32_e32 v10, v36
	v_bfe_u32 v14, v36, 23, 1
	v_mov_b32_e32 v11, v37
; %bb.447:                              ;   in Loop: Header=BB2_126 Depth=2
	s_or_b64 exec, exec, s[22:23]
	v_lshrrev_b64 v[10:11], 20, v[10:11]
	v_cmp_gt_i32_e32 vcc, 16, v14
	v_cndmask_b32_e32 v11, 0, v11, vcc
	v_cndmask_b32_e32 v10, 7, v10, vcc
	v_cmp_eq_u64_e64 s[22:23], 0, v[10:11]
	v_min_i32_e32 v11, 15, v14
	v_lshlrev_b32_e32 v11, 3, v11
	v_cmp_eq_u32_e32 vcc, 0, v14
	v_and_b32_e32 v11, 0xf8, v11
	v_and_or_b32 v10, v10, 7, v11
	s_and_b64 s[22:23], vcc, s[22:23]
	v_cndmask_b32_e64 v10, v10, 0, s[22:23]
	v_or_b32_e32 v30, v10, v18
.LBB2_448:                              ;   in Loop: Header=BB2_126 Depth=2
	s_or_b64 exec, exec, s[28:29]
                                        ; implicit-def: $vgpr18
.LBB2_449:                              ;   in Loop: Header=BB2_126 Depth=2
	s_andn2_saveexec_b64 s[22:23], s[26:27]
; %bb.450:                              ;   in Loop: Header=BB2_126 Depth=2
	v_or_b32_e32 v30, 0x7e, v18
; %bb.451:                              ;   in Loop: Header=BB2_126 Depth=2
	s_or_b64 exec, exec, s[22:23]
                                        ; implicit-def: $vgpr10
.LBB2_452:                              ;   in Loop: Header=BB2_126 Depth=2
	s_andn2_saveexec_b64 s[22:23], s[24:25]
; %bb.453:                              ;   in Loop: Header=BB2_126 Depth=2
	v_or_b32_sdwa v30, v10, s53 dst_sel:DWORD dst_unused:UNUSED_PAD src0_sel:BYTE_3 src1_sel:DWORD
; %bb.454:                              ;   in Loop: Header=BB2_126 Depth=2
	s_or_b64 exec, exec, s[22:23]
	v_and_b32_e32 v10, 7, v16
	v_ffbh_u32_e32 v10, v10
	v_and_b32_e32 v11, 0x7f, v16
	v_min_u32_e32 v10, 32, v10
	v_bfe_u32 v14, v16, 3, 4
	v_cmp_eq_u32_e64 s[22:23], s53, v11
	v_cmp_gt_u32_e32 vcc, 8, v11
	v_subrev_u32_e32 v11, 28, v10
	v_sub_u32_e32 v10, 29, v10
	v_cndmask_b32_e32 v14, v14, v10, vcc
	v_cndmask_b32_e32 v10, 0, v11, vcc
	v_lshlrev_b64 v[10:11], v10, v[16:17]
	v_lshlrev_b32_e32 v11, 24, v16
	v_lshlrev_b32_e32 v10, 20, v10
	v_and_b32_e32 v10, 0x700000, v10
	v_and_b32_e32 v11, 0x80000000, v11
	v_lshl_add_u32 v14, v14, 23, v3
	v_or3_b32 v10, v11, v14, v10
	v_cmp_ne_u16_sdwa s[24:25], v12, v37 src0_sel:BYTE_0 src1_sel:DWORD
	s_mov_b64 s[26:27], -1
	s_and_b64 vcc, exec, s[30:31]
                                        ; implicit-def: $vgpr11
	s_cbranch_vccz .LBB2_468
; %bb.455:                              ;   in Loop: Header=BB2_126 Depth=2
	v_mov_b32_e32 v11, 0
	s_and_saveexec_b64 s[26:27], s[24:25]
	s_cbranch_execz .LBB2_461
; %bb.456:                              ;   in Loop: Header=BB2_126 Depth=2
	v_cmp_ne_u16_sdwa vcc, v12, s55 src0_sel:BYTE_0 src1_sel:DWORD
	v_bfrev_b32_e32 v11, 1
	s_and_saveexec_b64 s[28:29], vcc
	s_cbranch_execz .LBB2_460
; %bb.457:                              ;   in Loop: Header=BB2_126 Depth=2
	v_and_b32_e32 v14, 0x7f, v12
	v_cmp_ne_u32_e32 vcc, s53, v14
	v_mov_b32_e32 v11, 0x7f800001
	s_and_saveexec_b64 s[34:35], vcc
	s_cbranch_execz .LBB2_459
; %bb.458:                              ;   in Loop: Header=BB2_126 Depth=2
	v_and_b32_e32 v11, 7, v12
	v_ffbh_u32_e32 v11, v11
	v_min_u32_e32 v11, 32, v11
	v_lshrrev_b32_e32 v15, 3, v14
	v_cmp_gt_u32_e32 vcc, 8, v14
	v_subrev_u32_e32 v14, 28, v11
	v_sub_u32_e32 v11, 29, v11
	v_cndmask_b32_e32 v14, 0, v14, vcc
	v_cndmask_b32_e32 v11, v15, v11, vcc
	v_lshlrev_b64 v[14:15], v14, v[12:13]
	v_lshlrev_b32_e32 v15, 24, v12
	v_lshlrev_b32_e32 v14, 20, v14
	v_and_b32_e32 v14, 0x700000, v14
	v_and_b32_e32 v15, 0x80000000, v15
	v_lshl_add_u32 v11, v11, 23, v3
	v_or3_b32 v11, v15, v11, v14
.LBB2_459:                              ;   in Loop: Header=BB2_126 Depth=2
	s_or_b64 exec, exec, s[34:35]
.LBB2_460:                              ;   in Loop: Header=BB2_126 Depth=2
	s_or_b64 exec, exec, s[28:29]
.LBB2_461:                              ;   in Loop: Header=BB2_126 Depth=2
	s_or_b64 exec, exec, s[26:27]
	v_cmp_gt_i16_sdwa s[28:29], v16, s53 src0_sel:BYTE_0 src1_sel:DWORD
	s_mov_b64 s[26:27], 0
	s_and_saveexec_b64 vcc, s[28:29]
	s_xor_b64 s[28:29], exec, vcc
	s_cbranch_execz .LBB2_806
; %bb.462:                              ;   in Loop: Header=BB2_126 Depth=2
	v_cmp_eq_u16_sdwa s[34:35], v16, s55 src0_sel:BYTE_0 src1_sel:DWORD
	s_mov_b64 s[26:27], -1
	s_and_saveexec_b64 vcc, s[34:35]
; %bb.463:                              ;   in Loop: Header=BB2_126 Depth=2
	s_xor_b64 s[26:27], exec, -1
; %bb.464:                              ;   in Loop: Header=BB2_126 Depth=2
	s_or_b64 exec, exec, vcc
	s_and_b64 s[26:27], s[26:27], exec
	s_or_saveexec_b64 s[28:29], s[28:29]
	v_bfrev_b32_e32 v14, 1
	s_xor_b64 exec, exec, s[28:29]
	s_cbranch_execnz .LBB2_807
.LBB2_465:                              ;   in Loop: Header=BB2_126 Depth=2
	s_or_b64 exec, exec, s[28:29]
	s_and_saveexec_b64 s[28:29], s[26:27]
.LBB2_466:                              ;   in Loop: Header=BB2_126 Depth=2
	v_cndmask_b32_e64 v14, v10, v56, s[22:23]
.LBB2_467:                              ;   in Loop: Header=BB2_126 Depth=2
	s_or_b64 exec, exec, s[28:29]
	v_max_f32_e32 v14, v14, v14
	v_max_f32_e32 v11, v11, v11
	v_max_f32_e32 v11, v11, v14
	s_mov_b64 s[26:27], 0
.LBB2_468:                              ;   in Loop: Header=BB2_126 Depth=2
	s_and_b64 vcc, exec, s[26:27]
	s_cbranch_vccz .LBB2_482
; %bb.469:                              ;   in Loop: Header=BB2_126 Depth=2
	v_mov_b32_e32 v11, 0
	s_and_saveexec_b64 s[26:27], s[24:25]
	s_cbranch_execz .LBB2_475
; %bb.470:                              ;   in Loop: Header=BB2_126 Depth=2
	v_cmp_ne_u16_sdwa s[28:29], v12, s55 src0_sel:BYTE_0 src1_sel:DWORD
	v_bfrev_b32_e32 v11, 1
	s_and_saveexec_b64 s[24:25], s[28:29]
	s_cbranch_execz .LBB2_474
; %bb.471:                              ;   in Loop: Header=BB2_126 Depth=2
	v_and_b32_e32 v14, 0x7f, v12
	v_cmp_ne_u32_e32 vcc, s53, v14
	v_mov_b32_e32 v11, 0x7f800001
	s_and_saveexec_b64 s[28:29], vcc
	s_cbranch_execz .LBB2_473
; %bb.472:                              ;   in Loop: Header=BB2_126 Depth=2
	v_and_b32_e32 v11, 7, v12
	v_ffbh_u32_e32 v11, v11
	v_min_u32_e32 v11, 32, v11
	v_lshrrev_b32_e32 v15, 3, v14
	v_cmp_gt_u32_e32 vcc, 8, v14
	v_subrev_u32_e32 v14, 28, v11
	v_sub_u32_e32 v11, 29, v11
	v_cndmask_b32_e32 v14, 0, v14, vcc
	v_cndmask_b32_e32 v11, v15, v11, vcc
	v_lshlrev_b64 v[14:15], v14, v[12:13]
	v_lshlrev_b32_e32 v15, 24, v12
	v_lshlrev_b32_e32 v14, 20, v14
	v_and_b32_e32 v14, 0x700000, v14
	v_and_b32_e32 v15, 0x80000000, v15
	v_lshl_add_u32 v11, v11, 23, v3
	v_or3_b32 v11, v15, v11, v14
.LBB2_473:                              ;   in Loop: Header=BB2_126 Depth=2
	s_or_b64 exec, exec, s[28:29]
.LBB2_474:                              ;   in Loop: Header=BB2_126 Depth=2
	s_or_b64 exec, exec, s[24:25]
.LBB2_475:                              ;   in Loop: Header=BB2_126 Depth=2
	s_or_b64 exec, exec, s[26:27]
	v_cmp_gt_i16_sdwa s[26:27], v16, s53 src0_sel:BYTE_0 src1_sel:DWORD
	s_mov_b64 s[24:25], 0
	s_and_saveexec_b64 s[28:29], s[26:27]
	s_xor_b64 s[26:27], exec, s[28:29]
	s_cbranch_execz .LBB2_808
; %bb.476:                              ;   in Loop: Header=BB2_126 Depth=2
	v_cmp_eq_u16_sdwa vcc, v16, s55 src0_sel:BYTE_0 src1_sel:DWORD
	s_mov_b64 s[24:25], -1
	s_and_saveexec_b64 s[28:29], vcc
; %bb.477:                              ;   in Loop: Header=BB2_126 Depth=2
	s_xor_b64 s[24:25], exec, -1
; %bb.478:                              ;   in Loop: Header=BB2_126 Depth=2
	s_or_b64 exec, exec, s[28:29]
	s_and_b64 s[24:25], s[24:25], exec
	s_or_saveexec_b64 s[26:27], s[26:27]
	v_bfrev_b32_e32 v14, 1
	s_xor_b64 exec, exec, s[26:27]
	s_cbranch_execnz .LBB2_809
.LBB2_479:                              ;   in Loop: Header=BB2_126 Depth=2
	s_or_b64 exec, exec, s[26:27]
	s_and_saveexec_b64 s[26:27], s[24:25]
.LBB2_480:                              ;   in Loop: Header=BB2_126 Depth=2
	v_cndmask_b32_e64 v14, v10, v56, s[22:23]
.LBB2_481:                              ;   in Loop: Header=BB2_126 Depth=2
	s_or_b64 exec, exec, s[26:27]
	v_max_f32_e32 v10, v14, v14
	v_max_f32_e32 v11, v11, v11
	v_min_f32_e32 v11, v11, v10
.LBB2_482:                              ;   in Loop: Header=BB2_126 Depth=2
	v_and_b32_e32 v36, 0x7f800000, v11
	v_cmp_ne_u64_e32 vcc, s[72:73], v[36:37]
                                        ; implicit-def: $vgpr47
	s_and_saveexec_b64 s[22:23], vcc
	s_xor_b64 s[24:25], exec, s[22:23]
	s_cbranch_execz .LBB2_496
; %bb.483:                              ;   in Loop: Header=BB2_126 Depth=2
	v_and_b32_e32 v36, 0x7fffffff, v11
	v_cmp_gt_u64_e32 vcc, s[74:75], v[36:37]
	v_and_b32_sdwa v18, v11, s55 dst_sel:DWORD dst_unused:UNUSED_PAD src0_sel:BYTE_3 src1_sel:DWORD
                                        ; implicit-def: $vgpr47
	s_and_saveexec_b64 s[22:23], vcc
	s_xor_b64 s[26:27], exec, s[22:23]
	s_cbranch_execz .LBB2_493
; %bb.484:                              ;   in Loop: Header=BB2_126 Depth=2
	v_mov_b32_e32 v47, 0
	v_cmp_ne_u32_e32 vcc, 0, v11
	s_and_saveexec_b64 s[28:29], vcc
	s_cbranch_execz .LBB2_492
; %bb.485:                              ;   in Loop: Header=BB2_126 Depth=2
	v_bfe_u32 v19, v11, 23, 8
	v_and_b32_e32 v10, 0x7fffff, v11
	v_cmp_gt_u32_e64 s[22:23], s64, v19
	v_sub_u32_e32 v11, 0x79, v19
	v_cmp_eq_u32_e32 vcc, 0, v19
	v_cndmask_b32_e64 v11, 0, v11, s[22:23]
	v_or_b32_e32 v14, 0x800000, v10
	v_cndmask_b32_e32 v52, v11, v2, vcc
	v_cndmask_b32_e32 v36, v14, v10, vcc
	v_add_u32_e32 v10, 20, v52
	v_lshlrev_b64 v[10:11], v10, -1
	v_add_u32_e32 v14, 19, v52
	v_lshlrev_b64 v[14:15], v14, 1
	v_bfi_b32 v11, v11, 0, 0
	v_bfi_b32 v10, v10, 0, v36
	v_cmp_eq_u64_e64 s[22:23], v[10:11], v[14:15]
	v_lshrrev_b64 v[10:11], v52, v[36:37]
	v_mov_b32_e32 v15, v11
	v_mov_b32_e32 v14, v10
	s_and_saveexec_b64 s[34:35], s[22:23]
; %bb.486:                              ;   in Loop: Header=BB2_126 Depth=2
	v_bfe_u32 v11, v10, 20, 1
	v_add_co_u32_e64 v11, s[22:23], v10, v11
	v_add_co_u32_e64 v14, s[22:23], -1, v11
; %bb.487:                              ;   in Loop: Header=BB2_126 Depth=2
	s_or_b64 exec, exec, s[34:35]
	v_add_u32_e32 v11, 0xffffff81, v19
	v_cndmask_b32_e32 v11, v11, v20, vcc
	v_lshrrev_b32_e32 v15, 23, v10
	v_add3_u32 v19, v52, v11, v15
	v_add_u32_e32 v15, 6, v19
	v_and_b32_e32 v11, 0xfffff, v14
	v_add_u32_e32 v36, v11, v10
	v_cmp_ne_u32_e32 vcc, 0, v15
                                        ; implicit-def: $vgpr10_vgpr11
                                        ; implicit-def: $vgpr14
	s_and_saveexec_b64 s[22:23], vcc
	s_xor_b64 s[22:23], exec, s[22:23]
; %bb.488:                              ;   in Loop: Header=BB2_126 Depth=2
	v_cmp_lt_u64_e32 vcc, s[76:77], v[36:37]
	v_add_u32_e32 v10, 7, v19
	v_cndmask_b32_e32 v14, v15, v10, vcc
	v_cndmask_b32_e64 v10, 0, 1, vcc
	v_lshrrev_b64 v[10:11], v10, v[36:37]
; %bb.489:                              ;   in Loop: Header=BB2_126 Depth=2
	s_andn2_saveexec_b64 s[22:23], s[22:23]
; %bb.490:                              ;   in Loop: Header=BB2_126 Depth=2
	v_mov_b32_e32 v10, v36
	v_bfe_u32 v14, v36, 23, 1
	v_mov_b32_e32 v11, v37
; %bb.491:                              ;   in Loop: Header=BB2_126 Depth=2
	s_or_b64 exec, exec, s[22:23]
	v_lshrrev_b64 v[10:11], 20, v[10:11]
	v_cmp_gt_i32_e32 vcc, 16, v14
	v_cndmask_b32_e32 v11, 0, v11, vcc
	v_cndmask_b32_e32 v10, 7, v10, vcc
	v_cmp_eq_u64_e64 s[22:23], 0, v[10:11]
	v_min_i32_e32 v11, 15, v14
	v_lshlrev_b32_e32 v11, 3, v11
	v_cmp_eq_u32_e32 vcc, 0, v14
	v_and_b32_e32 v11, 0xf8, v11
	v_and_or_b32 v10, v10, 7, v11
	s_and_b64 s[22:23], vcc, s[22:23]
	v_cndmask_b32_e64 v10, v10, 0, s[22:23]
	v_or_b32_e32 v47, v10, v18
.LBB2_492:                              ;   in Loop: Header=BB2_126 Depth=2
	s_or_b64 exec, exec, s[28:29]
                                        ; implicit-def: $vgpr18
.LBB2_493:                              ;   in Loop: Header=BB2_126 Depth=2
	s_andn2_saveexec_b64 s[22:23], s[26:27]
; %bb.494:                              ;   in Loop: Header=BB2_126 Depth=2
	v_or_b32_e32 v47, 0x7e, v18
; %bb.495:                              ;   in Loop: Header=BB2_126 Depth=2
	s_or_b64 exec, exec, s[22:23]
                                        ; implicit-def: $vgpr11
.LBB2_496:                              ;   in Loop: Header=BB2_126 Depth=2
	s_andn2_saveexec_b64 s[22:23], s[24:25]
; %bb.497:                              ;   in Loop: Header=BB2_126 Depth=2
	v_or_b32_sdwa v47, v11, s53 dst_sel:DWORD dst_unused:UNUSED_PAD src0_sel:BYTE_3 src1_sel:DWORD
; %bb.498:                              ;   in Loop: Header=BB2_126 Depth=2
	s_or_b64 exec, exec, s[22:23]
	v_lshrrev_b16_e32 v36, 8, v16
	v_and_b32_e32 v11, 7, v36
	v_and_b32_e32 v14, 0x7f, v36
	v_cmp_eq_u32_e64 s[22:23], s53, v14
	v_cmp_gt_u32_e32 vcc, 8, v14
	v_ffbh_u32_e32 v14, v11
	v_min_u32_e32 v19, 32, v14
	v_subrev_u32_e32 v14, 28, v19
	v_lshlrev_b64 v[14:15], v14, v[36:37]
	v_bfe_u32 v18, v36, 3, 4
	v_sub_u32_e32 v15, 29, v19
	v_and_b32_e32 v14, 7, v14
	v_cndmask_b32_e32 v15, v18, v15, vcc
	v_cndmask_b32_e32 v11, v11, v14, vcc
	v_lshlrev_b32_e32 v14, 24, v36
	v_lshrrev_b16_e32 v10, 8, v12
	v_lshlrev_b32_e32 v11, 20, v11
	v_and_b32_e32 v14, 0x80000000, v14
	v_lshl_add_u32 v15, v15, 23, v3
	v_or3_b32 v11, v14, v15, v11
	v_cmp_ne_u16_e64 s[24:25], 0, v10
	s_mov_b64 s[26:27], -1
	s_and_b64 vcc, exec, s[30:31]
                                        ; implicit-def: $vgpr14
	s_cbranch_vccz .LBB2_512
; %bb.499:                              ;   in Loop: Header=BB2_126 Depth=2
	v_mov_b32_e32 v14, 0
	s_and_saveexec_b64 s[26:27], s[24:25]
	s_cbranch_execz .LBB2_505
; %bb.500:                              ;   in Loop: Header=BB2_126 Depth=2
	v_cmp_ne_u16_e32 vcc, s55, v10
	v_bfrev_b32_e32 v14, 1
	s_and_saveexec_b64 s[28:29], vcc
	s_cbranch_execz .LBB2_504
; %bb.501:                              ;   in Loop: Header=BB2_126 Depth=2
	v_and_b32_e32 v15, 0x7f, v10
	v_cmp_ne_u32_e32 vcc, s53, v15
	v_mov_b32_e32 v14, 0x7f800001
	s_and_saveexec_b64 s[34:35], vcc
	s_cbranch_execz .LBB2_503
; %bb.502:                              ;   in Loop: Header=BB2_126 Depth=2
	v_and_b32_e32 v18, 7, v10
	v_ffbh_u32_e32 v14, v18
	v_min_u32_e32 v24, 32, v14
	v_subrev_u32_e32 v14, 28, v24
	v_lshrrev_b32_e32 v19, 3, v15
	v_cmp_gt_u32_e32 vcc, 8, v15
	v_lshlrev_b64 v[14:15], v14, v[10:11]
	v_sub_u32_e32 v15, 29, v24
	v_and_b32_e32 v14, 7, v14
	v_cndmask_b32_e32 v15, v19, v15, vcc
	v_cndmask_b32_e32 v14, v18, v14, vcc
	v_lshlrev_b32_e32 v18, 16, v12
	v_lshlrev_b32_e32 v14, 20, v14
	v_and_b32_e32 v18, 0x80000000, v18
	v_lshl_add_u32 v15, v15, 23, v3
	v_or3_b32 v14, v18, v15, v14
.LBB2_503:                              ;   in Loop: Header=BB2_126 Depth=2
	s_or_b64 exec, exec, s[34:35]
.LBB2_504:                              ;   in Loop: Header=BB2_126 Depth=2
	s_or_b64 exec, exec, s[28:29]
.LBB2_505:                              ;   in Loop: Header=BB2_126 Depth=2
	s_or_b64 exec, exec, s[26:27]
	v_cmp_lt_i16_e32 vcc, s53, v36
	s_mov_b64 s[26:27], 0
	s_and_saveexec_b64 s[28:29], vcc
	s_xor_b64 s[28:29], exec, s[28:29]
	s_cbranch_execz .LBB2_810
; %bb.506:                              ;   in Loop: Header=BB2_126 Depth=2
	v_cmp_eq_u16_e32 vcc, s55, v36
	s_mov_b64 s[26:27], -1
	s_and_saveexec_b64 s[34:35], vcc
; %bb.507:                              ;   in Loop: Header=BB2_126 Depth=2
	s_xor_b64 s[26:27], exec, -1
; %bb.508:                              ;   in Loop: Header=BB2_126 Depth=2
	s_or_b64 exec, exec, s[34:35]
	s_and_b64 s[26:27], s[26:27], exec
	s_or_saveexec_b64 s[28:29], s[28:29]
	v_bfrev_b32_e32 v15, 1
	s_xor_b64 exec, exec, s[28:29]
	s_cbranch_execnz .LBB2_811
.LBB2_509:                              ;   in Loop: Header=BB2_126 Depth=2
	s_or_b64 exec, exec, s[28:29]
	s_and_saveexec_b64 s[28:29], s[26:27]
.LBB2_510:                              ;   in Loop: Header=BB2_126 Depth=2
	v_cndmask_b32_e64 v15, v11, v56, s[22:23]
.LBB2_511:                              ;   in Loop: Header=BB2_126 Depth=2
	s_or_b64 exec, exec, s[28:29]
	v_max_f32_e32 v15, v15, v15
	v_max_f32_e32 v14, v14, v14
	;; [unrolled: 1-line block ×3, first 2 shown]
	s_mov_b64 s[26:27], 0
.LBB2_512:                              ;   in Loop: Header=BB2_126 Depth=2
	s_and_b64 vcc, exec, s[26:27]
	s_cbranch_vccz .LBB2_526
; %bb.513:                              ;   in Loop: Header=BB2_126 Depth=2
	v_mov_b32_e32 v14, 0
	s_and_saveexec_b64 s[26:27], s[24:25]
	s_cbranch_execz .LBB2_519
; %bb.514:                              ;   in Loop: Header=BB2_126 Depth=2
	v_cmp_ne_u16_e32 vcc, s55, v10
	v_bfrev_b32_e32 v14, 1
	s_and_saveexec_b64 s[24:25], vcc
	s_cbranch_execz .LBB2_518
; %bb.515:                              ;   in Loop: Header=BB2_126 Depth=2
	v_and_b32_e32 v15, 0x7f, v10
	v_cmp_ne_u32_e32 vcc, s53, v15
	v_mov_b32_e32 v14, 0x7f800001
	s_and_saveexec_b64 s[28:29], vcc
	s_cbranch_execz .LBB2_517
; %bb.516:                              ;   in Loop: Header=BB2_126 Depth=2
	v_and_b32_e32 v18, 7, v10
	v_ffbh_u32_e32 v14, v18
	v_min_u32_e32 v24, 32, v14
	v_subrev_u32_e32 v14, 28, v24
	v_lshrrev_b32_e32 v19, 3, v15
	v_cmp_gt_u32_e32 vcc, 8, v15
	v_lshlrev_b64 v[14:15], v14, v[10:11]
	v_sub_u32_e32 v10, 29, v24
	v_and_b32_e32 v14, 7, v14
	v_cndmask_b32_e32 v10, v19, v10, vcc
	v_cndmask_b32_e32 v14, v18, v14, vcc
	v_lshlrev_b32_e32 v15, 16, v12
	v_lshlrev_b32_e32 v14, 20, v14
	v_and_b32_e32 v15, 0x80000000, v15
	v_lshl_add_u32 v10, v10, 23, v3
	v_or3_b32 v14, v15, v10, v14
.LBB2_517:                              ;   in Loop: Header=BB2_126 Depth=2
	s_or_b64 exec, exec, s[28:29]
.LBB2_518:                              ;   in Loop: Header=BB2_126 Depth=2
	s_or_b64 exec, exec, s[24:25]
.LBB2_519:                              ;   in Loop: Header=BB2_126 Depth=2
	s_or_b64 exec, exec, s[26:27]
	v_cmp_lt_i16_e32 vcc, s53, v36
	s_mov_b64 s[24:25], 0
	s_and_saveexec_b64 s[26:27], vcc
	s_xor_b64 s[26:27], exec, s[26:27]
	s_cbranch_execz .LBB2_812
; %bb.520:                              ;   in Loop: Header=BB2_126 Depth=2
	v_cmp_eq_u16_e32 vcc, s55, v36
	s_mov_b64 s[24:25], -1
	s_and_saveexec_b64 s[28:29], vcc
; %bb.521:                              ;   in Loop: Header=BB2_126 Depth=2
	s_xor_b64 s[24:25], exec, -1
; %bb.522:                              ;   in Loop: Header=BB2_126 Depth=2
	s_or_b64 exec, exec, s[28:29]
	s_and_b64 s[24:25], s[24:25], exec
	s_or_saveexec_b64 s[26:27], s[26:27]
	v_bfrev_b32_e32 v10, 1
	s_xor_b64 exec, exec, s[26:27]
	s_cbranch_execnz .LBB2_813
.LBB2_523:                              ;   in Loop: Header=BB2_126 Depth=2
	s_or_b64 exec, exec, s[26:27]
	s_and_saveexec_b64 s[26:27], s[24:25]
.LBB2_524:                              ;   in Loop: Header=BB2_126 Depth=2
	v_cndmask_b32_e64 v10, v11, v56, s[22:23]
.LBB2_525:                              ;   in Loop: Header=BB2_126 Depth=2
	s_or_b64 exec, exec, s[26:27]
	v_max_f32_e32 v10, v10, v10
	v_max_f32_e32 v11, v14, v14
	v_min_f32_e32 v14, v11, v10
.LBB2_526:                              ;   in Loop: Header=BB2_126 Depth=2
	v_and_b32_e32 v36, 0x7f800000, v14
	v_cmp_ne_u64_e32 vcc, s[72:73], v[36:37]
                                        ; implicit-def: $vgpr18
	s_and_saveexec_b64 s[22:23], vcc
	s_xor_b64 s[24:25], exec, s[22:23]
	s_cbranch_execz .LBB2_540
; %bb.527:                              ;   in Loop: Header=BB2_126 Depth=2
	v_and_b32_e32 v36, 0x7fffffff, v14
	v_cmp_gt_u64_e32 vcc, s[74:75], v[36:37]
	v_and_b32_sdwa v19, v14, s55 dst_sel:DWORD dst_unused:UNUSED_PAD src0_sel:BYTE_3 src1_sel:DWORD
                                        ; implicit-def: $vgpr18
	s_and_saveexec_b64 s[22:23], vcc
	s_xor_b64 s[26:27], exec, s[22:23]
	s_cbranch_execz .LBB2_537
; %bb.528:                              ;   in Loop: Header=BB2_126 Depth=2
	v_mov_b32_e32 v18, 0
	v_cmp_ne_u32_e32 vcc, 0, v14
	s_and_saveexec_b64 s[28:29], vcc
	s_cbranch_execz .LBB2_536
; %bb.529:                              ;   in Loop: Header=BB2_126 Depth=2
	v_bfe_u32 v18, v14, 23, 8
	v_cmp_gt_u32_e64 s[22:23], s64, v18
	v_sub_u32_e32 v11, 0x79, v18
	v_and_b32_e32 v10, 0x7fffff, v14
	v_cmp_eq_u32_e32 vcc, 0, v18
	v_cndmask_b32_e64 v11, 0, v11, s[22:23]
	v_or_b32_e32 v14, 0x800000, v10
	v_cndmask_b32_e32 v52, v11, v2, vcc
	v_cndmask_b32_e32 v36, v14, v10, vcc
	v_add_u32_e32 v10, 20, v52
	v_lshlrev_b64 v[10:11], v10, -1
	v_add_u32_e32 v14, 19, v52
	v_lshlrev_b64 v[14:15], v14, 1
	v_bfi_b32 v11, v11, 0, 0
	v_bfi_b32 v10, v10, 0, v36
	v_cmp_eq_u64_e64 s[22:23], v[10:11], v[14:15]
	v_lshrrev_b64 v[10:11], v52, v[36:37]
	v_mov_b32_e32 v15, v11
	v_mov_b32_e32 v14, v10
	s_and_saveexec_b64 s[34:35], s[22:23]
; %bb.530:                              ;   in Loop: Header=BB2_126 Depth=2
	v_bfe_u32 v11, v10, 20, 1
	v_add_co_u32_e64 v11, s[22:23], v10, v11
	v_add_co_u32_e64 v14, s[22:23], -1, v11
; %bb.531:                              ;   in Loop: Header=BB2_126 Depth=2
	s_or_b64 exec, exec, s[34:35]
	v_add_u32_e32 v11, 0xffffff81, v18
	v_cndmask_b32_e32 v11, v11, v20, vcc
	v_lshrrev_b32_e32 v15, 23, v10
	v_add3_u32 v18, v52, v11, v15
	v_add_u32_e32 v15, 6, v18
	v_and_b32_e32 v11, 0xfffff, v14
	v_add_u32_e32 v36, v11, v10
	v_cmp_ne_u32_e32 vcc, 0, v15
                                        ; implicit-def: $vgpr10_vgpr11
                                        ; implicit-def: $vgpr14
	s_and_saveexec_b64 s[22:23], vcc
	s_xor_b64 s[22:23], exec, s[22:23]
; %bb.532:                              ;   in Loop: Header=BB2_126 Depth=2
	v_cmp_lt_u64_e32 vcc, s[76:77], v[36:37]
	v_add_u32_e32 v10, 7, v18
	v_cndmask_b32_e32 v14, v15, v10, vcc
	v_cndmask_b32_e64 v10, 0, 1, vcc
	v_lshrrev_b64 v[10:11], v10, v[36:37]
; %bb.533:                              ;   in Loop: Header=BB2_126 Depth=2
	s_andn2_saveexec_b64 s[22:23], s[22:23]
; %bb.534:                              ;   in Loop: Header=BB2_126 Depth=2
	v_mov_b32_e32 v10, v36
	v_bfe_u32 v14, v36, 23, 1
	v_mov_b32_e32 v11, v37
; %bb.535:                              ;   in Loop: Header=BB2_126 Depth=2
	s_or_b64 exec, exec, s[22:23]
	v_lshrrev_b64 v[10:11], 20, v[10:11]
	v_cmp_gt_i32_e32 vcc, 16, v14
	v_cndmask_b32_e32 v11, 0, v11, vcc
	v_cndmask_b32_e32 v10, 7, v10, vcc
	v_cmp_eq_u64_e64 s[22:23], 0, v[10:11]
	v_min_i32_e32 v11, 15, v14
	v_lshlrev_b32_e32 v11, 3, v11
	v_cmp_eq_u32_e32 vcc, 0, v14
	v_and_b32_e32 v11, 0xf8, v11
	v_and_or_b32 v10, v10, 7, v11
	s_and_b64 s[22:23], vcc, s[22:23]
	v_cndmask_b32_e64 v10, v10, 0, s[22:23]
	v_or_b32_e32 v18, v10, v19
.LBB2_536:                              ;   in Loop: Header=BB2_126 Depth=2
	s_or_b64 exec, exec, s[28:29]
                                        ; implicit-def: $vgpr19
.LBB2_537:                              ;   in Loop: Header=BB2_126 Depth=2
	s_andn2_saveexec_b64 s[22:23], s[26:27]
; %bb.538:                              ;   in Loop: Header=BB2_126 Depth=2
	v_or_b32_e32 v18, 0x7e, v19
; %bb.539:                              ;   in Loop: Header=BB2_126 Depth=2
	s_or_b64 exec, exec, s[22:23]
                                        ; implicit-def: $vgpr14
.LBB2_540:                              ;   in Loop: Header=BB2_126 Depth=2
	s_andn2_saveexec_b64 s[22:23], s[24:25]
; %bb.541:                              ;   in Loop: Header=BB2_126 Depth=2
	v_or_b32_sdwa v18, v14, s53 dst_sel:DWORD dst_unused:UNUSED_PAD src0_sel:BYTE_3 src1_sel:DWORD
; %bb.542:                              ;   in Loop: Header=BB2_126 Depth=2
	s_or_b64 exec, exec, s[22:23]
	v_bfe_u32 v11, v16, 16, 3
	v_bfe_u32 v14, v16, 16, 7
	v_cmp_eq_u32_e64 s[22:23], s53, v14
	v_cmp_gt_u32_e32 vcc, 8, v14
	v_ffbh_u32_e32 v14, v11
	v_min_u32_e32 v24, 32, v14
	v_lshrrev_b32_e32 v10, 16, v16
	v_subrev_u32_e32 v14, 28, v24
	v_lshlrev_b64 v[14:15], v14, v[10:11]
	v_bfe_u32 v19, v10, 3, 4
	v_sub_u32_e32 v15, 29, v24
	v_and_b32_e32 v14, 7, v14
	v_cndmask_b32_e32 v15, v19, v15, vcc
	v_cndmask_b32_e32 v11, v11, v14, vcc
	v_lshlrev_b32_e32 v14, 8, v16
	v_lshlrev_b32_e32 v11, 20, v11
	v_and_b32_e32 v14, 0x80000000, v14
	v_lshl_add_u32 v15, v15, 23, v3
	v_or3_b32 v14, v14, v15, v11
	v_lshrrev_b32_e32 v11, 16, v12
	v_cmp_ne_u16_sdwa s[24:25], v11, v37 src0_sel:BYTE_0 src1_sel:DWORD
	s_mov_b64 s[26:27], -1
	s_and_b64 vcc, exec, s[30:31]
                                        ; implicit-def: $vgpr15
	s_cbranch_vccz .LBB2_556
; %bb.543:                              ;   in Loop: Header=BB2_126 Depth=2
	v_mov_b32_e32 v15, 0
	s_and_saveexec_b64 s[26:27], s[24:25]
	s_cbranch_execz .LBB2_549
; %bb.544:                              ;   in Loop: Header=BB2_126 Depth=2
	v_cmp_ne_u16_sdwa vcc, v11, s55 src0_sel:BYTE_0 src1_sel:DWORD
	v_bfrev_b32_e32 v15, 1
	s_and_saveexec_b64 s[28:29], vcc
	s_cbranch_execz .LBB2_548
; %bb.545:                              ;   in Loop: Header=BB2_126 Depth=2
	v_bfe_u32 v19, v12, 16, 7
	v_cmp_ne_u32_e32 vcc, s53, v19
	v_mov_b32_e32 v15, 0x7f800001
	s_and_saveexec_b64 s[34:35], vcc
	s_cbranch_execz .LBB2_547
; %bb.546:                              ;   in Loop: Header=BB2_126 Depth=2
	v_and_b32_e32 v15, 7, v11
	v_lshrrev_b32_e32 v36, 3, v19
	v_cmp_gt_u32_e32 vcc, 8, v19
	v_ffbh_u32_e32 v19, v15
	v_min_u32_e32 v19, 32, v19
	v_subrev_u32_e32 v24, 28, v19
	v_lshlrev_b64 v[24:25], v24, v[11:12]
	v_sub_u32_e32 v19, 29, v19
	v_and_b32_e32 v24, 7, v24
	v_cndmask_b32_e32 v19, v36, v19, vcc
	v_cndmask_b32_e32 v15, v15, v24, vcc
	v_lshlrev_b32_e32 v24, 24, v11
	v_lshlrev_b32_e32 v15, 20, v15
	v_and_b32_e32 v24, 0x80000000, v24
	v_lshl_add_u32 v19, v19, 23, v3
	v_or3_b32 v15, v24, v19, v15
.LBB2_547:                              ;   in Loop: Header=BB2_126 Depth=2
	s_or_b64 exec, exec, s[34:35]
.LBB2_548:                              ;   in Loop: Header=BB2_126 Depth=2
	s_or_b64 exec, exec, s[28:29]
.LBB2_549:                              ;   in Loop: Header=BB2_126 Depth=2
	s_or_b64 exec, exec, s[26:27]
	v_cmp_gt_i16_sdwa s[28:29], v10, s53 src0_sel:BYTE_0 src1_sel:DWORD
	s_mov_b64 s[26:27], 0
	s_and_saveexec_b64 vcc, s[28:29]
	s_xor_b64 s[28:29], exec, vcc
	s_cbranch_execz .LBB2_814
; %bb.550:                              ;   in Loop: Header=BB2_126 Depth=2
	v_cmp_eq_u16_sdwa s[34:35], v10, s55 src0_sel:BYTE_0 src1_sel:DWORD
	s_mov_b64 s[26:27], -1
	s_and_saveexec_b64 vcc, s[34:35]
; %bb.551:                              ;   in Loop: Header=BB2_126 Depth=2
	s_xor_b64 s[26:27], exec, -1
; %bb.552:                              ;   in Loop: Header=BB2_126 Depth=2
	s_or_b64 exec, exec, vcc
	s_and_b64 s[26:27], s[26:27], exec
	s_or_saveexec_b64 s[28:29], s[28:29]
	v_bfrev_b32_e32 v19, 1
	s_xor_b64 exec, exec, s[28:29]
	s_cbranch_execnz .LBB2_815
.LBB2_553:                              ;   in Loop: Header=BB2_126 Depth=2
	s_or_b64 exec, exec, s[28:29]
	s_and_saveexec_b64 s[28:29], s[26:27]
.LBB2_554:                              ;   in Loop: Header=BB2_126 Depth=2
	v_cndmask_b32_e64 v19, v14, v56, s[22:23]
.LBB2_555:                              ;   in Loop: Header=BB2_126 Depth=2
	s_or_b64 exec, exec, s[28:29]
	v_max_f32_e32 v19, v19, v19
	v_max_f32_e32 v15, v15, v15
	;; [unrolled: 1-line block ×3, first 2 shown]
	s_mov_b64 s[26:27], 0
.LBB2_556:                              ;   in Loop: Header=BB2_126 Depth=2
	s_and_b64 vcc, exec, s[26:27]
	s_cbranch_vccz .LBB2_570
; %bb.557:                              ;   in Loop: Header=BB2_126 Depth=2
	v_mov_b32_e32 v15, 0
	s_and_saveexec_b64 s[26:27], s[24:25]
	s_cbranch_execz .LBB2_563
; %bb.558:                              ;   in Loop: Header=BB2_126 Depth=2
	v_cmp_ne_u16_sdwa s[28:29], v11, s55 src0_sel:BYTE_0 src1_sel:DWORD
	v_bfrev_b32_e32 v15, 1
	s_and_saveexec_b64 s[24:25], s[28:29]
	s_cbranch_execz .LBB2_562
; %bb.559:                              ;   in Loop: Header=BB2_126 Depth=2
	v_bfe_u32 v19, v12, 16, 7
	v_cmp_ne_u32_e32 vcc, s53, v19
	v_mov_b32_e32 v15, 0x7f800001
	s_and_saveexec_b64 s[28:29], vcc
	s_cbranch_execz .LBB2_561
; %bb.560:                              ;   in Loop: Header=BB2_126 Depth=2
	v_and_b32_e32 v15, 7, v11
	v_lshrrev_b32_e32 v36, 3, v19
	v_cmp_gt_u32_e32 vcc, 8, v19
	v_ffbh_u32_e32 v19, v15
	v_min_u32_e32 v19, 32, v19
	v_subrev_u32_e32 v24, 28, v19
	v_lshlrev_b64 v[24:25], v24, v[11:12]
	v_sub_u32_e32 v19, 29, v19
	v_and_b32_e32 v24, 7, v24
	v_cndmask_b32_e32 v19, v36, v19, vcc
	v_cndmask_b32_e32 v15, v15, v24, vcc
	v_lshlrev_b32_e32 v11, 24, v11
	v_lshlrev_b32_e32 v15, 20, v15
	v_and_b32_e32 v11, 0x80000000, v11
	v_lshl_add_u32 v19, v19, 23, v3
	v_or3_b32 v15, v11, v19, v15
.LBB2_561:                              ;   in Loop: Header=BB2_126 Depth=2
	s_or_b64 exec, exec, s[28:29]
.LBB2_562:                              ;   in Loop: Header=BB2_126 Depth=2
	s_or_b64 exec, exec, s[24:25]
.LBB2_563:                              ;   in Loop: Header=BB2_126 Depth=2
	s_or_b64 exec, exec, s[26:27]
	v_cmp_gt_i16_sdwa s[26:27], v10, s53 src0_sel:BYTE_0 src1_sel:DWORD
	s_mov_b64 s[24:25], 0
	s_and_saveexec_b64 s[28:29], s[26:27]
	s_xor_b64 s[26:27], exec, s[28:29]
	s_cbranch_execz .LBB2_816
; %bb.564:                              ;   in Loop: Header=BB2_126 Depth=2
	v_cmp_eq_u16_sdwa vcc, v10, s55 src0_sel:BYTE_0 src1_sel:DWORD
	s_mov_b64 s[24:25], -1
	s_and_saveexec_b64 s[28:29], vcc
; %bb.565:                              ;   in Loop: Header=BB2_126 Depth=2
	s_xor_b64 s[24:25], exec, -1
; %bb.566:                              ;   in Loop: Header=BB2_126 Depth=2
	s_or_b64 exec, exec, s[28:29]
	s_and_b64 s[24:25], s[24:25], exec
                                        ; implicit-def: $vgpr10
	s_or_saveexec_b64 s[26:27], s[26:27]
	v_bfrev_b32_e32 v11, 1
	s_xor_b64 exec, exec, s[26:27]
	s_cbranch_execnz .LBB2_817
.LBB2_567:                              ;   in Loop: Header=BB2_126 Depth=2
	s_or_b64 exec, exec, s[26:27]
	s_and_saveexec_b64 s[26:27], s[24:25]
.LBB2_568:                              ;   in Loop: Header=BB2_126 Depth=2
	v_cndmask_b32_e64 v11, v14, v56, s[22:23]
.LBB2_569:                              ;   in Loop: Header=BB2_126 Depth=2
	s_or_b64 exec, exec, s[26:27]
	v_max_f32_e32 v10, v11, v11
	v_max_f32_e32 v11, v15, v15
	v_min_f32_e32 v15, v11, v10
.LBB2_570:                              ;   in Loop: Header=BB2_126 Depth=2
	v_and_b32_e32 v36, 0x7f800000, v15
	v_cmp_ne_u64_e32 vcc, s[72:73], v[36:37]
                                        ; implicit-def: $vgpr19
	s_and_saveexec_b64 s[22:23], vcc
	s_xor_b64 s[24:25], exec, s[22:23]
	s_cbranch_execz .LBB2_584
; %bb.571:                              ;   in Loop: Header=BB2_126 Depth=2
	v_and_b32_e32 v36, 0x7fffffff, v15
	v_cmp_gt_u64_e32 vcc, s[74:75], v[36:37]
	v_and_b32_sdwa v44, v15, s55 dst_sel:DWORD dst_unused:UNUSED_PAD src0_sel:BYTE_3 src1_sel:DWORD
                                        ; implicit-def: $vgpr19
	s_and_saveexec_b64 s[22:23], vcc
	s_xor_b64 s[26:27], exec, s[22:23]
	s_cbranch_execz .LBB2_581
; %bb.572:                              ;   in Loop: Header=BB2_126 Depth=2
	v_mov_b32_e32 v19, 0
	v_cmp_ne_u32_e32 vcc, 0, v15
	s_and_saveexec_b64 s[28:29], vcc
	s_cbranch_execz .LBB2_580
; %bb.573:                              ;   in Loop: Header=BB2_126 Depth=2
	v_bfe_u32 v19, v15, 23, 8
	v_cmp_gt_u32_e64 s[22:23], s64, v19
	v_sub_u32_e32 v11, 0x79, v19
	v_and_b32_e32 v10, 0x7fffff, v15
	v_cmp_eq_u32_e32 vcc, 0, v19
	v_cndmask_b32_e64 v11, 0, v11, s[22:23]
	v_or_b32_e32 v14, 0x800000, v10
	v_cndmask_b32_e32 v52, v11, v2, vcc
	v_cndmask_b32_e32 v36, v14, v10, vcc
	v_add_u32_e32 v10, 20, v52
	v_lshlrev_b64 v[10:11], v10, -1
	v_add_u32_e32 v14, 19, v52
	v_lshlrev_b64 v[14:15], v14, 1
	v_bfi_b32 v11, v11, 0, 0
	v_bfi_b32 v10, v10, 0, v36
	v_cmp_eq_u64_e64 s[22:23], v[10:11], v[14:15]
	v_lshrrev_b64 v[10:11], v52, v[36:37]
	v_mov_b32_e32 v15, v11
	v_mov_b32_e32 v14, v10
	s_and_saveexec_b64 s[34:35], s[22:23]
; %bb.574:                              ;   in Loop: Header=BB2_126 Depth=2
	v_bfe_u32 v11, v10, 20, 1
	v_add_co_u32_e64 v11, s[22:23], v10, v11
	v_add_co_u32_e64 v14, s[22:23], -1, v11
; %bb.575:                              ;   in Loop: Header=BB2_126 Depth=2
	s_or_b64 exec, exec, s[34:35]
	v_add_u32_e32 v11, 0xffffff81, v19
	v_cndmask_b32_e32 v11, v11, v20, vcc
	v_lshrrev_b32_e32 v15, 23, v10
	v_add3_u32 v19, v52, v11, v15
	v_add_u32_e32 v15, 6, v19
	v_and_b32_e32 v11, 0xfffff, v14
	v_add_u32_e32 v36, v11, v10
	v_cmp_ne_u32_e32 vcc, 0, v15
                                        ; implicit-def: $vgpr10_vgpr11
                                        ; implicit-def: $vgpr14
	s_and_saveexec_b64 s[22:23], vcc
	s_xor_b64 s[22:23], exec, s[22:23]
; %bb.576:                              ;   in Loop: Header=BB2_126 Depth=2
	v_cmp_lt_u64_e32 vcc, s[76:77], v[36:37]
	v_add_u32_e32 v10, 7, v19
	v_cndmask_b32_e32 v14, v15, v10, vcc
	v_cndmask_b32_e64 v10, 0, 1, vcc
	v_lshrrev_b64 v[10:11], v10, v[36:37]
; %bb.577:                              ;   in Loop: Header=BB2_126 Depth=2
	s_andn2_saveexec_b64 s[22:23], s[22:23]
; %bb.578:                              ;   in Loop: Header=BB2_126 Depth=2
	v_mov_b32_e32 v10, v36
	v_bfe_u32 v14, v36, 23, 1
	v_mov_b32_e32 v11, v37
; %bb.579:                              ;   in Loop: Header=BB2_126 Depth=2
	s_or_b64 exec, exec, s[22:23]
	v_lshrrev_b64 v[10:11], 20, v[10:11]
	v_cmp_gt_i32_e32 vcc, 16, v14
	v_cndmask_b32_e32 v11, 0, v11, vcc
	v_cndmask_b32_e32 v10, 7, v10, vcc
	v_cmp_eq_u64_e64 s[22:23], 0, v[10:11]
	v_min_i32_e32 v11, 15, v14
	v_lshlrev_b32_e32 v11, 3, v11
	v_cmp_eq_u32_e32 vcc, 0, v14
	v_and_b32_e32 v11, 0xf8, v11
	v_and_or_b32 v10, v10, 7, v11
	s_and_b64 s[22:23], vcc, s[22:23]
	v_cndmask_b32_e64 v10, v10, 0, s[22:23]
	v_or_b32_e32 v19, v10, v44
.LBB2_580:                              ;   in Loop: Header=BB2_126 Depth=2
	s_or_b64 exec, exec, s[28:29]
                                        ; implicit-def: $vgpr44
.LBB2_581:                              ;   in Loop: Header=BB2_126 Depth=2
	s_andn2_saveexec_b64 s[22:23], s[26:27]
; %bb.582:                              ;   in Loop: Header=BB2_126 Depth=2
	v_or_b32_e32 v19, 0x7e, v44
; %bb.583:                              ;   in Loop: Header=BB2_126 Depth=2
	s_or_b64 exec, exec, s[22:23]
                                        ; implicit-def: $vgpr15
.LBB2_584:                              ;   in Loop: Header=BB2_126 Depth=2
	s_andn2_saveexec_b64 s[22:23], s[24:25]
; %bb.585:                              ;   in Loop: Header=BB2_126 Depth=2
	v_or_b32_sdwa v19, v15, s53 dst_sel:DWORD dst_unused:UNUSED_PAD src0_sel:BYTE_3 src1_sel:DWORD
; %bb.586:                              ;   in Loop: Header=BB2_126 Depth=2
	s_or_b64 exec, exec, s[22:23]
	v_bfe_u32 v24, v16, 24, 3
	v_bfe_u32 v14, v16, 24, 7
	v_cmp_eq_u32_e64 s[26:27], s53, v14
	v_cmp_gt_u32_e32 vcc, 8, v14
	v_ffbh_u32_e32 v14, v24
	v_min_u32_e32 v36, 32, v14
	v_lshrrev_b32_e32 v11, 24, v16
	v_subrev_u32_e32 v14, 28, v36
	v_lshlrev_b64 v[14:15], v14, v[11:12]
	v_bfe_u32 v25, v11, 3, 4
	v_cmp_eq_u32_e64 s[24:25], s55, v11
	v_sub_u32_e32 v11, 29, v36
	v_and_b32_e32 v14, 7, v14
	v_cndmask_b32_e32 v11, v25, v11, vcc
	v_cndmask_b32_e32 v14, v24, v14, vcc
	v_lshlrev_b32_e32 v14, 20, v14
	v_and_b32_e32 v15, 0x80000000, v16
	v_lshl_add_u32 v11, v11, 23, v3
	v_lshrrev_b32_e32 v10, 24, v12
	v_cmp_gt_u32_e64 s[22:23], s59, v16
	v_or3_b32 v11, v15, v11, v14
	v_cmp_lt_u32_e64 s[28:29], s79, v12
	s_mov_b64 s[34:35], -1
	s_and_b64 vcc, exec, s[30:31]
                                        ; implicit-def: $vgpr14
	s_cbranch_vccz .LBB2_594
; %bb.587:                              ;   in Loop: Header=BB2_126 Depth=2
	v_mov_b32_e32 v14, 0
	s_and_saveexec_b64 s[34:35], s[28:29]
	s_cbranch_execz .LBB2_593
; %bb.588:                              ;   in Loop: Header=BB2_126 Depth=2
	v_cmp_ne_u32_e32 vcc, s55, v10
	v_bfrev_b32_e32 v14, 1
	s_and_saveexec_b64 s[36:37], vcc
	s_cbranch_execz .LBB2_592
; %bb.589:                              ;   in Loop: Header=BB2_126 Depth=2
	v_bfe_u32 v15, v12, 24, 7
	v_cmp_ne_u32_e32 vcc, s53, v15
	v_mov_b32_e32 v14, 0x7f800001
	s_and_saveexec_b64 s[38:39], vcc
	s_cbranch_execz .LBB2_591
; %bb.590:                              ;   in Loop: Header=BB2_126 Depth=2
	v_and_b32_e32 v24, 7, v10
	v_ffbh_u32_e32 v14, v24
	v_min_u32_e32 v36, 32, v14
	v_subrev_u32_e32 v14, 28, v36
	v_lshrrev_b32_e32 v25, 3, v15
	v_cmp_gt_u32_e32 vcc, 8, v15
	v_lshlrev_b64 v[14:15], v14, v[10:11]
	v_sub_u32_e32 v15, 29, v36
	v_and_b32_e32 v14, 7, v14
	v_cndmask_b32_e32 v15, v25, v15, vcc
	v_cndmask_b32_e32 v14, v24, v14, vcc
	v_lshlrev_b32_e32 v24, 24, v10
	v_lshlrev_b32_e32 v14, 20, v14
	v_and_b32_e32 v24, 0x80000000, v24
	v_lshl_add_u32 v15, v15, 23, v3
	v_or3_b32 v14, v24, v15, v14
.LBB2_591:                              ;   in Loop: Header=BB2_126 Depth=2
	s_or_b64 exec, exec, s[38:39]
.LBB2_592:                              ;   in Loop: Header=BB2_126 Depth=2
	s_or_b64 exec, exec, s[36:37]
.LBB2_593:                              ;   in Loop: Header=BB2_126 Depth=2
	s_or_b64 exec, exec, s[34:35]
	v_cndmask_b32_e64 v15, v11, v56, s[26:27]
	v_cndmask_b32_e64 v15, v15, v21, s[24:25]
	;; [unrolled: 1-line block ×3, first 2 shown]
	v_max_f32_e32 v15, v15, v15
	v_max_f32_e32 v14, v14, v14
	;; [unrolled: 1-line block ×3, first 2 shown]
	s_mov_b64 s[34:35], 0
.LBB2_594:                              ;   in Loop: Header=BB2_126 Depth=2
	s_and_b64 vcc, exec, s[34:35]
	s_cbranch_vccz .LBB2_602
; %bb.595:                              ;   in Loop: Header=BB2_126 Depth=2
	v_mov_b32_e32 v14, 0
	s_and_saveexec_b64 s[34:35], s[28:29]
	s_cbranch_execz .LBB2_601
; %bb.596:                              ;   in Loop: Header=BB2_126 Depth=2
	v_cmp_ne_u32_e32 vcc, s55, v10
	v_bfrev_b32_e32 v14, 1
	s_and_saveexec_b64 s[28:29], vcc
	s_cbranch_execz .LBB2_600
; %bb.597:                              ;   in Loop: Header=BB2_126 Depth=2
	v_bfe_u32 v15, v12, 24, 7
	v_cmp_ne_u32_e32 vcc, s53, v15
	v_mov_b32_e32 v14, 0x7f800001
	s_and_saveexec_b64 s[36:37], vcc
	s_cbranch_execz .LBB2_599
; %bb.598:                              ;   in Loop: Header=BB2_126 Depth=2
	v_and_b32_e32 v24, 7, v10
	v_ffbh_u32_e32 v14, v24
	v_min_u32_e32 v36, 32, v14
	v_subrev_u32_e32 v14, 28, v36
	v_lshrrev_b32_e32 v25, 3, v15
	v_cmp_gt_u32_e32 vcc, 8, v15
	v_lshlrev_b64 v[14:15], v14, v[10:11]
	v_sub_u32_e32 v15, 29, v36
	v_and_b32_e32 v14, 7, v14
	v_cndmask_b32_e32 v15, v25, v15, vcc
	v_cndmask_b32_e32 v14, v24, v14, vcc
	v_lshlrev_b32_e32 v10, 24, v10
	v_lshlrev_b32_e32 v14, 20, v14
	v_and_b32_e32 v10, 0x80000000, v10
	v_lshl_add_u32 v15, v15, 23, v3
	v_or3_b32 v14, v10, v15, v14
.LBB2_599:                              ;   in Loop: Header=BB2_126 Depth=2
	s_or_b64 exec, exec, s[36:37]
.LBB2_600:                              ;   in Loop: Header=BB2_126 Depth=2
	s_or_b64 exec, exec, s[28:29]
.LBB2_601:                              ;   in Loop: Header=BB2_126 Depth=2
	s_or_b64 exec, exec, s[34:35]
	v_cndmask_b32_e64 v10, v11, v56, s[26:27]
	v_cndmask_b32_e64 v10, v10, v21, s[24:25]
	;; [unrolled: 1-line block ×3, first 2 shown]
	v_max_f32_e32 v10, v10, v10
	v_max_f32_e32 v11, v14, v14
	v_min_f32_e32 v14, v11, v10
.LBB2_602:                              ;   in Loop: Header=BB2_126 Depth=2
	v_and_b32_e32 v36, 0x7f800000, v14
	v_cmp_ne_u64_e32 vcc, s[72:73], v[36:37]
                                        ; implicit-def: $vgpr59
	s_and_saveexec_b64 s[22:23], vcc
	s_xor_b64 s[24:25], exec, s[22:23]
	s_cbranch_execz .LBB2_616
; %bb.603:                              ;   in Loop: Header=BB2_126 Depth=2
	v_and_b32_e32 v36, 0x7fffffff, v14
	v_cmp_gt_u64_e32 vcc, s[74:75], v[36:37]
	v_and_b32_sdwa v44, v14, s55 dst_sel:DWORD dst_unused:UNUSED_PAD src0_sel:BYTE_3 src1_sel:DWORD
                                        ; implicit-def: $vgpr59
	s_and_saveexec_b64 s[22:23], vcc
	s_xor_b64 s[26:27], exec, s[22:23]
	s_cbranch_execz .LBB2_613
; %bb.604:                              ;   in Loop: Header=BB2_126 Depth=2
	v_mov_b32_e32 v59, 0
	v_cmp_ne_u32_e32 vcc, 0, v14
	s_and_saveexec_b64 s[28:29], vcc
	s_cbranch_execz .LBB2_612
; %bb.605:                              ;   in Loop: Header=BB2_126 Depth=2
	v_bfe_u32 v52, v14, 23, 8
	v_cmp_gt_u32_e64 s[22:23], s64, v52
	v_sub_u32_e32 v11, 0x79, v52
	v_and_b32_e32 v10, 0x7fffff, v14
	v_cmp_eq_u32_e32 vcc, 0, v52
	v_cndmask_b32_e64 v11, 0, v11, s[22:23]
	v_or_b32_e32 v14, 0x800000, v10
	v_cndmask_b32_e32 v53, v11, v2, vcc
	v_cndmask_b32_e32 v36, v14, v10, vcc
	v_add_u32_e32 v10, 20, v53
	v_lshlrev_b64 v[10:11], v10, -1
	v_add_u32_e32 v14, 19, v53
	v_lshlrev_b64 v[14:15], v14, 1
	v_bfi_b32 v11, v11, 0, 0
	v_bfi_b32 v10, v10, 0, v36
	v_cmp_eq_u64_e64 s[22:23], v[10:11], v[14:15]
	v_lshrrev_b64 v[10:11], v53, v[36:37]
	v_mov_b32_e32 v15, v11
	v_mov_b32_e32 v14, v10
	s_and_saveexec_b64 s[34:35], s[22:23]
; %bb.606:                              ;   in Loop: Header=BB2_126 Depth=2
	v_bfe_u32 v11, v10, 20, 1
	v_add_co_u32_e64 v11, s[22:23], v10, v11
	v_add_co_u32_e64 v14, s[22:23], -1, v11
; %bb.607:                              ;   in Loop: Header=BB2_126 Depth=2
	s_or_b64 exec, exec, s[34:35]
	v_add_u32_e32 v11, 0xffffff81, v52
	v_cndmask_b32_e32 v11, v11, v20, vcc
	v_lshrrev_b32_e32 v15, 23, v10
	v_add3_u32 v52, v53, v11, v15
	v_add_u32_e32 v15, 6, v52
	v_and_b32_e32 v11, 0xfffff, v14
	v_add_u32_e32 v36, v11, v10
	v_cmp_ne_u32_e32 vcc, 0, v15
                                        ; implicit-def: $vgpr10_vgpr11
                                        ; implicit-def: $vgpr14
	s_and_saveexec_b64 s[22:23], vcc
	s_xor_b64 s[22:23], exec, s[22:23]
; %bb.608:                              ;   in Loop: Header=BB2_126 Depth=2
	v_cmp_lt_u64_e32 vcc, s[76:77], v[36:37]
	v_add_u32_e32 v10, 7, v52
	v_cndmask_b32_e32 v14, v15, v10, vcc
	v_cndmask_b32_e64 v10, 0, 1, vcc
	v_lshrrev_b64 v[10:11], v10, v[36:37]
; %bb.609:                              ;   in Loop: Header=BB2_126 Depth=2
	s_andn2_saveexec_b64 s[22:23], s[22:23]
; %bb.610:                              ;   in Loop: Header=BB2_126 Depth=2
	v_mov_b32_e32 v10, v36
	v_bfe_u32 v14, v36, 23, 1
	v_mov_b32_e32 v11, v37
; %bb.611:                              ;   in Loop: Header=BB2_126 Depth=2
	s_or_b64 exec, exec, s[22:23]
	v_lshrrev_b64 v[10:11], 20, v[10:11]
	v_cmp_gt_i32_e32 vcc, 16, v14
	v_cndmask_b32_e32 v11, 0, v11, vcc
	v_cndmask_b32_e32 v10, 7, v10, vcc
	v_cmp_eq_u64_e64 s[22:23], 0, v[10:11]
	v_min_i32_e32 v11, 15, v14
	v_lshlrev_b32_e32 v11, 3, v11
	v_cmp_eq_u32_e32 vcc, 0, v14
	v_and_b32_e32 v11, 0xf8, v11
	v_and_or_b32 v10, v10, 7, v11
	s_and_b64 s[22:23], vcc, s[22:23]
	v_cndmask_b32_e64 v10, v10, 0, s[22:23]
	v_or_b32_e32 v59, v10, v44
.LBB2_612:                              ;   in Loop: Header=BB2_126 Depth=2
	s_or_b64 exec, exec, s[28:29]
                                        ; implicit-def: $vgpr44
.LBB2_613:                              ;   in Loop: Header=BB2_126 Depth=2
	s_andn2_saveexec_b64 s[22:23], s[26:27]
; %bb.614:                              ;   in Loop: Header=BB2_126 Depth=2
	v_or_b32_e32 v59, 0x7e, v44
; %bb.615:                              ;   in Loop: Header=BB2_126 Depth=2
	s_or_b64 exec, exec, s[22:23]
                                        ; implicit-def: $vgpr14
.LBB2_616:                              ;   in Loop: Header=BB2_126 Depth=2
	s_andn2_saveexec_b64 s[22:23], s[24:25]
; %bb.617:                              ;   in Loop: Header=BB2_126 Depth=2
	v_or_b32_sdwa v59, v14, s53 dst_sel:DWORD dst_unused:UNUSED_PAD src0_sel:BYTE_3 src1_sel:DWORD
; %bb.618:                              ;   in Loop: Header=BB2_126 Depth=2
	s_or_b64 exec, exec, s[22:23]
	v_and_b32_e32 v14, 7, v17
	v_ffbh_u32_e32 v14, v14
	v_and_b32_e32 v15, 0x7f, v17
	v_min_u32_e32 v14, 32, v14
	v_bfe_u32 v24, v17, 3, 4
	v_cmp_eq_u32_e64 s[22:23], s53, v15
	v_cmp_gt_u32_e32 vcc, 8, v15
	v_subrev_u32_e32 v15, 28, v14
	v_sub_u32_e32 v14, 29, v14
	v_mov_b32_e32 v10, v17
	v_mov_b32_e32 v11, v37
	v_cndmask_b32_e32 v24, v24, v14, vcc
	v_cndmask_b32_e32 v14, 0, v15, vcc
	v_lshlrev_b64 v[14:15], v14, v[10:11]
	v_lshl_add_u32 v15, v24, 23, v3
	v_lshlrev_b32_e32 v11, 20, v14
	v_lshlrev_b32_e32 v14, 24, v17
	v_and_b32_e32 v11, 0x700000, v11
	v_and_b32_e32 v14, 0x80000000, v14
	v_mov_b32_e32 v36, v13
	v_or3_b32 v11, v14, v15, v11
	v_cmp_ne_u16_sdwa s[24:25], v13, v37 src0_sel:BYTE_0 src1_sel:DWORD
	s_mov_b64 s[26:27], -1
	s_and_b64 vcc, exec, s[30:31]
                                        ; implicit-def: $vgpr14
	s_cbranch_vccz .LBB2_632
; %bb.619:                              ;   in Loop: Header=BB2_126 Depth=2
	v_mov_b32_e32 v14, 0
	s_and_saveexec_b64 s[26:27], s[24:25]
	s_cbranch_execz .LBB2_625
; %bb.620:                              ;   in Loop: Header=BB2_126 Depth=2
	v_cmp_ne_u16_sdwa vcc, v13, s55 src0_sel:BYTE_0 src1_sel:DWORD
	v_bfrev_b32_e32 v14, 1
	s_and_saveexec_b64 s[28:29], vcc
	s_cbranch_execz .LBB2_624
; %bb.621:                              ;   in Loop: Header=BB2_126 Depth=2
	v_and_b32_e32 v15, 0x7f, v13
	v_cmp_ne_u32_e32 vcc, s53, v15
	v_mov_b32_e32 v14, 0x7f800001
	s_and_saveexec_b64 s[34:35], vcc
	s_cbranch_execz .LBB2_623
; %bb.622:                              ;   in Loop: Header=BB2_126 Depth=2
	v_and_b32_e32 v14, 7, v13
	v_ffbh_u32_e32 v14, v14
	v_min_u32_e32 v14, 32, v14
	v_lshrrev_b32_e32 v24, 3, v15
	v_cmp_gt_u32_e32 vcc, 8, v15
	v_subrev_u32_e32 v15, 28, v14
	v_sub_u32_e32 v14, 29, v14
	v_cndmask_b32_e32 v24, v24, v14, vcc
	v_cndmask_b32_e32 v14, 0, v15, vcc
	v_lshlrev_b64 v[14:15], v14, v[36:37]
	v_lshlrev_b32_e32 v15, 24, v36
	v_lshlrev_b32_e32 v14, 20, v14
	v_and_b32_e32 v14, 0x700000, v14
	v_and_b32_e32 v15, 0x80000000, v15
	v_lshl_add_u32 v24, v24, 23, v3
	v_or3_b32 v14, v15, v24, v14
.LBB2_623:                              ;   in Loop: Header=BB2_126 Depth=2
	s_or_b64 exec, exec, s[34:35]
.LBB2_624:                              ;   in Loop: Header=BB2_126 Depth=2
	s_or_b64 exec, exec, s[28:29]
.LBB2_625:                              ;   in Loop: Header=BB2_126 Depth=2
	s_or_b64 exec, exec, s[26:27]
	v_cmp_gt_i16_sdwa s[28:29], v17, s53 src0_sel:BYTE_0 src1_sel:DWORD
	s_mov_b64 s[26:27], 0
	s_and_saveexec_b64 vcc, s[28:29]
	s_xor_b64 s[28:29], exec, vcc
	s_cbranch_execz .LBB2_818
; %bb.626:                              ;   in Loop: Header=BB2_126 Depth=2
	v_cmp_eq_u16_sdwa s[34:35], v17, s55 src0_sel:BYTE_0 src1_sel:DWORD
	s_mov_b64 s[26:27], -1
	s_and_saveexec_b64 vcc, s[34:35]
; %bb.627:                              ;   in Loop: Header=BB2_126 Depth=2
	s_xor_b64 s[26:27], exec, -1
; %bb.628:                              ;   in Loop: Header=BB2_126 Depth=2
	s_or_b64 exec, exec, vcc
	s_and_b64 s[26:27], s[26:27], exec
	s_or_saveexec_b64 s[28:29], s[28:29]
	v_bfrev_b32_e32 v15, 1
	s_xor_b64 exec, exec, s[28:29]
	s_cbranch_execnz .LBB2_819
.LBB2_629:                              ;   in Loop: Header=BB2_126 Depth=2
	s_or_b64 exec, exec, s[28:29]
	s_and_saveexec_b64 s[28:29], s[26:27]
.LBB2_630:                              ;   in Loop: Header=BB2_126 Depth=2
	v_cndmask_b32_e64 v15, v11, v56, s[22:23]
.LBB2_631:                              ;   in Loop: Header=BB2_126 Depth=2
	s_or_b64 exec, exec, s[28:29]
	v_max_f32_e32 v15, v15, v15
	v_max_f32_e32 v14, v14, v14
	;; [unrolled: 1-line block ×3, first 2 shown]
	s_mov_b64 s[26:27], 0
.LBB2_632:                              ;   in Loop: Header=BB2_126 Depth=2
	s_and_b64 vcc, exec, s[26:27]
	s_cbranch_vccz .LBB2_646
; %bb.633:                              ;   in Loop: Header=BB2_126 Depth=2
	v_mov_b32_e32 v14, 0
	s_and_saveexec_b64 s[26:27], s[24:25]
	s_cbranch_execz .LBB2_639
; %bb.634:                              ;   in Loop: Header=BB2_126 Depth=2
	v_cmp_ne_u16_sdwa s[28:29], v13, s55 src0_sel:BYTE_0 src1_sel:DWORD
	v_bfrev_b32_e32 v14, 1
	s_and_saveexec_b64 s[24:25], s[28:29]
	s_cbranch_execz .LBB2_638
; %bb.635:                              ;   in Loop: Header=BB2_126 Depth=2
	v_and_b32_e32 v15, 0x7f, v13
	v_cmp_ne_u32_e32 vcc, s53, v15
	v_mov_b32_e32 v14, 0x7f800001
	s_and_saveexec_b64 s[28:29], vcc
	s_cbranch_execz .LBB2_637
; %bb.636:                              ;   in Loop: Header=BB2_126 Depth=2
	v_and_b32_e32 v14, 7, v13
	v_ffbh_u32_e32 v14, v14
	v_min_u32_e32 v14, 32, v14
	v_lshrrev_b32_e32 v24, 3, v15
	v_cmp_gt_u32_e32 vcc, 8, v15
	v_subrev_u32_e32 v15, 28, v14
	v_sub_u32_e32 v14, 29, v14
	v_cndmask_b32_e32 v24, v24, v14, vcc
	v_cndmask_b32_e32 v14, 0, v15, vcc
	v_lshlrev_b64 v[14:15], v14, v[36:37]
	v_lshlrev_b32_e32 v15, 24, v36
	v_lshlrev_b32_e32 v14, 20, v14
	v_and_b32_e32 v14, 0x700000, v14
	v_and_b32_e32 v15, 0x80000000, v15
	v_lshl_add_u32 v24, v24, 23, v3
	v_or3_b32 v14, v15, v24, v14
.LBB2_637:                              ;   in Loop: Header=BB2_126 Depth=2
	s_or_b64 exec, exec, s[28:29]
.LBB2_638:                              ;   in Loop: Header=BB2_126 Depth=2
	s_or_b64 exec, exec, s[24:25]
.LBB2_639:                              ;   in Loop: Header=BB2_126 Depth=2
	s_or_b64 exec, exec, s[26:27]
	v_cmp_gt_i16_sdwa s[26:27], v17, s53 src0_sel:BYTE_0 src1_sel:DWORD
	s_mov_b64 s[24:25], 0
	s_and_saveexec_b64 s[28:29], s[26:27]
	s_xor_b64 s[26:27], exec, s[28:29]
	s_cbranch_execz .LBB2_820
; %bb.640:                              ;   in Loop: Header=BB2_126 Depth=2
	v_cmp_eq_u16_sdwa vcc, v17, s55 src0_sel:BYTE_0 src1_sel:DWORD
	s_mov_b64 s[24:25], -1
	s_and_saveexec_b64 s[28:29], vcc
; %bb.641:                              ;   in Loop: Header=BB2_126 Depth=2
	s_xor_b64 s[24:25], exec, -1
; %bb.642:                              ;   in Loop: Header=BB2_126 Depth=2
	s_or_b64 exec, exec, s[28:29]
	s_and_b64 s[24:25], s[24:25], exec
	s_or_saveexec_b64 s[26:27], s[26:27]
	v_bfrev_b32_e32 v15, 1
	s_xor_b64 exec, exec, s[26:27]
	s_cbranch_execnz .LBB2_821
.LBB2_643:                              ;   in Loop: Header=BB2_126 Depth=2
	s_or_b64 exec, exec, s[26:27]
	s_and_saveexec_b64 s[26:27], s[24:25]
.LBB2_644:                              ;   in Loop: Header=BB2_126 Depth=2
	v_cndmask_b32_e64 v15, v11, v56, s[22:23]
.LBB2_645:                              ;   in Loop: Header=BB2_126 Depth=2
	s_or_b64 exec, exec, s[26:27]
	v_max_f32_e32 v11, v15, v15
	v_max_f32_e32 v14, v14, v14
	v_min_f32_e32 v14, v14, v11
.LBB2_646:                              ;   in Loop: Header=BB2_126 Depth=2
	v_and_b32_e32 v24, 0x7f800000, v14
	v_mov_b32_e32 v25, v37
	v_cmp_ne_u64_e32 vcc, s[72:73], v[24:25]
                                        ; implicit-def: $vgpr44
	s_and_saveexec_b64 s[22:23], vcc
	s_xor_b64 s[24:25], exec, s[22:23]
	s_cbranch_execz .LBB2_660
; %bb.647:                              ;   in Loop: Header=BB2_126 Depth=2
	v_and_b32_e32 v24, 0x7fffffff, v14
	v_mov_b32_e32 v25, v37
	v_cmp_gt_u64_e32 vcc, s[74:75], v[24:25]
	v_and_b32_sdwa v11, v14, s55 dst_sel:DWORD dst_unused:UNUSED_PAD src0_sel:BYTE_3 src1_sel:DWORD
                                        ; implicit-def: $vgpr44
	s_and_saveexec_b64 s[22:23], vcc
	s_xor_b64 s[26:27], exec, s[22:23]
	s_cbranch_execz .LBB2_657
; %bb.648:                              ;   in Loop: Header=BB2_126 Depth=2
	v_mov_b32_e32 v44, 0
	v_cmp_ne_u32_e32 vcc, 0, v14
	s_and_saveexec_b64 s[28:29], vcc
	s_cbranch_execz .LBB2_656
; %bb.649:                              ;   in Loop: Header=BB2_126 Depth=2
	v_bfe_u32 v52, v14, 23, 8
	v_and_b32_e32 v15, 0x7fffff, v14
	v_cmp_gt_u32_e64 s[22:23], s64, v52
	v_sub_u32_e32 v14, 0x79, v52
	v_cmp_eq_u32_e32 vcc, 0, v52
	v_cndmask_b32_e64 v14, 0, v14, s[22:23]
	v_or_b32_e32 v24, 0x800000, v15
	v_cndmask_b32_e32 v53, v14, v2, vcc
	v_cndmask_b32_e32 v14, v24, v15, vcc
	v_add_u32_e32 v24, 20, v53
	v_lshlrev_b64 v[24:25], v24, -1
	v_mov_b32_e32 v15, v37
	v_add_u32_e32 v44, 19, v53
	v_bfi_b32 v24, v24, 0, v14
	v_lshlrev_b64 v[44:45], v44, 1
	v_lshrrev_b64 v[14:15], v53, v[14:15]
	v_bfi_b32 v25, v25, 0, 0
	v_cmp_eq_u64_e64 s[22:23], v[24:25], v[44:45]
	v_mov_b32_e32 v45, v15
	v_mov_b32_e32 v44, v14
	s_and_saveexec_b64 s[34:35], s[22:23]
; %bb.650:                              ;   in Loop: Header=BB2_126 Depth=2
	v_bfe_u32 v15, v14, 20, 1
	v_add_co_u32_e64 v15, s[22:23], v14, v15
	v_add_co_u32_e64 v44, s[22:23], -1, v15
; %bb.651:                              ;   in Loop: Header=BB2_126 Depth=2
	s_or_b64 exec, exec, s[34:35]
	v_add_u32_e32 v15, 0xffffff81, v52
	v_cndmask_b32_e32 v15, v15, v20, vcc
	v_lshrrev_b32_e32 v24, 23, v14
	v_add3_u32 v45, v53, v15, v24
	v_add_u32_e32 v53, 6, v45
	v_and_b32_e32 v15, 0xfffff, v44
	v_add_u32_e32 v14, v15, v14
	v_mov_b32_e32 v15, v37
	v_cmp_ne_u32_e32 vcc, 0, v53
                                        ; implicit-def: $vgpr52
	s_and_saveexec_b64 s[22:23], vcc
	s_xor_b64 s[22:23], exec, s[22:23]
; %bb.652:                              ;   in Loop: Header=BB2_126 Depth=2
	v_cmp_lt_u64_e32 vcc, s[76:77], v[14:15]
	v_add_u32_e32 v24, 7, v45
	v_cndmask_b32_e32 v52, v53, v24, vcc
	v_cndmask_b32_e64 v24, 0, 1, vcc
	v_lshrrev_b64 v[14:15], v24, v[14:15]
; %bb.653:                              ;   in Loop: Header=BB2_126 Depth=2
	s_andn2_saveexec_b64 s[22:23], s[22:23]
; %bb.654:                              ;   in Loop: Header=BB2_126 Depth=2
	v_bfe_u32 v52, v14, 23, 1
; %bb.655:                              ;   in Loop: Header=BB2_126 Depth=2
	s_or_b64 exec, exec, s[22:23]
	v_lshrrev_b64 v[14:15], 20, v[14:15]
	v_cmp_gt_i32_e32 vcc, 16, v52
	v_cndmask_b32_e32 v15, 0, v15, vcc
	v_cndmask_b32_e32 v14, 7, v14, vcc
	v_cmp_eq_u64_e64 s[22:23], 0, v[14:15]
	v_min_i32_e32 v15, 15, v52
	v_lshlrev_b32_e32 v15, 3, v15
	v_cmp_eq_u32_e32 vcc, 0, v52
	v_and_b32_e32 v15, 0xf8, v15
	v_and_or_b32 v14, v14, 7, v15
	s_and_b64 s[22:23], vcc, s[22:23]
	v_cndmask_b32_e64 v14, v14, 0, s[22:23]
	v_or_b32_e32 v44, v14, v11
.LBB2_656:                              ;   in Loop: Header=BB2_126 Depth=2
	s_or_b64 exec, exec, s[28:29]
                                        ; implicit-def: $vgpr11
.LBB2_657:                              ;   in Loop: Header=BB2_126 Depth=2
	s_andn2_saveexec_b64 s[22:23], s[26:27]
; %bb.658:                              ;   in Loop: Header=BB2_126 Depth=2
	v_or_b32_e32 v44, 0x7e, v11
; %bb.659:                              ;   in Loop: Header=BB2_126 Depth=2
	s_or_b64 exec, exec, s[22:23]
                                        ; implicit-def: $vgpr14
.LBB2_660:                              ;   in Loop: Header=BB2_126 Depth=2
	s_andn2_saveexec_b64 s[22:23], s[24:25]
; %bb.661:                              ;   in Loop: Header=BB2_126 Depth=2
	v_or_b32_sdwa v44, v14, s53 dst_sel:DWORD dst_unused:UNUSED_PAD src0_sel:BYTE_3 src1_sel:DWORD
; %bb.662:                              ;   in Loop: Header=BB2_126 Depth=2
	s_or_b64 exec, exec, s[22:23]
	v_lshrrev_b16_e32 v10, 8, v10
	v_and_b32_e32 v15, 7, v10
	v_and_b32_e32 v24, 0x7f, v10
	v_cmp_eq_u32_e64 s[22:23], s53, v24
	v_cmp_gt_u32_e32 vcc, 8, v24
	v_ffbh_u32_e32 v24, v15
	v_min_u32_e32 v53, 32, v24
	v_mov_b32_e32 v11, v37
	v_subrev_u32_e32 v24, 28, v53
	v_lshlrev_b64 v[24:25], v24, v[10:11]
	v_bfe_u32 v52, v10, 3, 4
	v_sub_u32_e32 v11, 29, v53
	v_and_b32_e32 v24, 7, v24
	v_cndmask_b32_e32 v11, v52, v11, vcc
	v_cndmask_b32_e32 v15, v15, v24, vcc
	v_lshlrev_b32_e32 v24, 24, v10
	v_lshrrev_b16_e32 v14, 8, v36
	v_lshlrev_b32_e32 v15, 20, v15
	v_and_b32_e32 v24, 0x80000000, v24
	v_lshl_add_u32 v11, v11, 23, v3
	v_or3_b32 v11, v24, v11, v15
	v_cmp_ne_u16_e64 s[24:25], 0, v14
	s_mov_b64 s[26:27], -1
	s_and_b64 vcc, exec, s[30:31]
                                        ; implicit-def: $vgpr15
	s_cbranch_vccz .LBB2_676
; %bb.663:                              ;   in Loop: Header=BB2_126 Depth=2
	v_mov_b32_e32 v15, 0
	s_and_saveexec_b64 s[26:27], s[24:25]
	s_cbranch_execz .LBB2_669
; %bb.664:                              ;   in Loop: Header=BB2_126 Depth=2
	v_cmp_ne_u16_e32 vcc, s55, v14
	v_bfrev_b32_e32 v15, 1
	s_and_saveexec_b64 s[28:29], vcc
	s_cbranch_execz .LBB2_668
; %bb.665:                              ;   in Loop: Header=BB2_126 Depth=2
	v_and_b32_e32 v52, 0x7f, v14
	v_cmp_ne_u32_e32 vcc, s53, v52
	v_mov_b32_e32 v15, 0x7f800001
	s_and_saveexec_b64 s[34:35], vcc
	s_cbranch_execz .LBB2_667
; %bb.666:                              ;   in Loop: Header=BB2_126 Depth=2
	v_and_b32_e32 v15, 7, v14
	v_ffbh_u32_e32 v24, v15
	v_lshrrev_b32_e32 v53, 3, v52
	v_cmp_gt_u32_e32 vcc, 8, v52
	v_min_u32_e32 v52, 32, v24
	v_subrev_u32_e32 v24, 28, v52
	v_lshlrev_b64 v[24:25], v24, v[14:15]
	v_sub_u32_e32 v25, 29, v52
	v_and_b32_e32 v24, 7, v24
	v_cndmask_b32_e32 v25, v53, v25, vcc
	v_cndmask_b32_e32 v15, v15, v24, vcc
	v_lshlrev_b32_e32 v24, 16, v36
	v_lshlrev_b32_e32 v15, 20, v15
	v_and_b32_e32 v24, 0x80000000, v24
	v_lshl_add_u32 v25, v25, 23, v3
	v_or3_b32 v15, v24, v25, v15
.LBB2_667:                              ;   in Loop: Header=BB2_126 Depth=2
	s_or_b64 exec, exec, s[34:35]
.LBB2_668:                              ;   in Loop: Header=BB2_126 Depth=2
	s_or_b64 exec, exec, s[28:29]
.LBB2_669:                              ;   in Loop: Header=BB2_126 Depth=2
	s_or_b64 exec, exec, s[26:27]
	v_cmp_lt_i16_e32 vcc, s53, v10
	s_mov_b64 s[26:27], 0
	s_and_saveexec_b64 s[28:29], vcc
	s_xor_b64 s[28:29], exec, s[28:29]
	s_cbranch_execz .LBB2_822
; %bb.670:                              ;   in Loop: Header=BB2_126 Depth=2
	v_cmp_eq_u16_e32 vcc, s55, v10
	s_mov_b64 s[26:27], -1
	s_and_saveexec_b64 s[34:35], vcc
; %bb.671:                              ;   in Loop: Header=BB2_126 Depth=2
	s_xor_b64 s[26:27], exec, -1
; %bb.672:                              ;   in Loop: Header=BB2_126 Depth=2
	s_or_b64 exec, exec, s[34:35]
	s_and_b64 s[26:27], s[26:27], exec
	s_or_saveexec_b64 s[28:29], s[28:29]
	v_bfrev_b32_e32 v52, 1
	s_xor_b64 exec, exec, s[28:29]
	s_cbranch_execnz .LBB2_823
.LBB2_673:                              ;   in Loop: Header=BB2_126 Depth=2
	s_or_b64 exec, exec, s[28:29]
	s_and_saveexec_b64 s[28:29], s[26:27]
.LBB2_674:                              ;   in Loop: Header=BB2_126 Depth=2
	v_cndmask_b32_e64 v52, v11, v56, s[22:23]
.LBB2_675:                              ;   in Loop: Header=BB2_126 Depth=2
	s_or_b64 exec, exec, s[28:29]
	v_max_f32_e32 v24, v52, v52
	v_max_f32_e32 v15, v15, v15
	;; [unrolled: 1-line block ×3, first 2 shown]
	s_mov_b64 s[26:27], 0
.LBB2_676:                              ;   in Loop: Header=BB2_126 Depth=2
	s_and_b64 vcc, exec, s[26:27]
	s_cbranch_vccz .LBB2_690
; %bb.677:                              ;   in Loop: Header=BB2_126 Depth=2
	v_mov_b32_e32 v15, 0
	s_and_saveexec_b64 s[26:27], s[24:25]
	s_cbranch_execz .LBB2_683
; %bb.678:                              ;   in Loop: Header=BB2_126 Depth=2
	v_cmp_ne_u16_e32 vcc, s55, v14
	v_bfrev_b32_e32 v15, 1
	s_and_saveexec_b64 s[24:25], vcc
	s_cbranch_execz .LBB2_682
; %bb.679:                              ;   in Loop: Header=BB2_126 Depth=2
	v_and_b32_e32 v52, 0x7f, v14
	v_cmp_ne_u32_e32 vcc, s53, v52
	v_mov_b32_e32 v15, 0x7f800001
	s_and_saveexec_b64 s[28:29], vcc
	s_cbranch_execz .LBB2_681
; %bb.680:                              ;   in Loop: Header=BB2_126 Depth=2
	v_and_b32_e32 v24, 7, v14
	v_ffbh_u32_e32 v15, v24
	v_lshrrev_b32_e32 v25, 3, v52
	v_cmp_gt_u32_e32 vcc, 8, v52
	v_min_u32_e32 v52, 32, v15
	v_subrev_u32_e32 v15, 28, v52
	v_lshlrev_b64 v[14:15], v15, v[14:15]
	v_sub_u32_e32 v15, 29, v52
	v_and_b32_e32 v14, 7, v14
	v_cndmask_b32_e32 v15, v25, v15, vcc
	v_cndmask_b32_e32 v14, v24, v14, vcc
	v_lshlrev_b32_e32 v24, 16, v36
	v_lshlrev_b32_e32 v14, 20, v14
	v_and_b32_e32 v24, 0x80000000, v24
	v_lshl_add_u32 v15, v15, 23, v3
	v_or3_b32 v15, v24, v15, v14
.LBB2_681:                              ;   in Loop: Header=BB2_126 Depth=2
	s_or_b64 exec, exec, s[28:29]
.LBB2_682:                              ;   in Loop: Header=BB2_126 Depth=2
	s_or_b64 exec, exec, s[24:25]
.LBB2_683:                              ;   in Loop: Header=BB2_126 Depth=2
	s_or_b64 exec, exec, s[26:27]
	v_cmp_lt_i16_e32 vcc, s53, v10
	s_mov_b64 s[24:25], 0
	s_and_saveexec_b64 s[26:27], vcc
	s_xor_b64 s[26:27], exec, s[26:27]
	s_cbranch_execz .LBB2_824
; %bb.684:                              ;   in Loop: Header=BB2_126 Depth=2
	v_cmp_eq_u16_e32 vcc, s55, v10
	s_mov_b64 s[24:25], -1
	s_and_saveexec_b64 s[28:29], vcc
; %bb.685:                              ;   in Loop: Header=BB2_126 Depth=2
	s_xor_b64 s[24:25], exec, -1
; %bb.686:                              ;   in Loop: Header=BB2_126 Depth=2
	s_or_b64 exec, exec, s[28:29]
	s_and_b64 s[24:25], s[24:25], exec
                                        ; implicit-def: $vgpr10
	s_or_saveexec_b64 s[26:27], s[26:27]
	v_bfrev_b32_e32 v14, 1
	s_xor_b64 exec, exec, s[26:27]
	s_cbranch_execnz .LBB2_825
.LBB2_687:                              ;   in Loop: Header=BB2_126 Depth=2
	s_or_b64 exec, exec, s[26:27]
	s_and_saveexec_b64 s[26:27], s[24:25]
.LBB2_688:                              ;   in Loop: Header=BB2_126 Depth=2
	v_cndmask_b32_e64 v14, v11, v56, s[22:23]
.LBB2_689:                              ;   in Loop: Header=BB2_126 Depth=2
	s_or_b64 exec, exec, s[26:27]
	v_max_f32_e32 v10, v14, v14
	v_max_f32_e32 v11, v15, v15
	v_min_f32_e32 v15, v11, v10
.LBB2_690:                              ;   in Loop: Header=BB2_126 Depth=2
	v_and_b32_e32 v36, 0x7f800000, v15
	v_cmp_ne_u64_e32 vcc, s[72:73], v[36:37]
                                        ; implicit-def: $vgpr45
	s_and_saveexec_b64 s[22:23], vcc
	s_xor_b64 s[24:25], exec, s[22:23]
	s_cbranch_execz .LBB2_704
; %bb.691:                              ;   in Loop: Header=BB2_126 Depth=2
	v_and_b32_e32 v36, 0x7fffffff, v15
	v_cmp_gt_u64_e32 vcc, s[74:75], v[36:37]
	v_and_b32_sdwa v52, v15, s55 dst_sel:DWORD dst_unused:UNUSED_PAD src0_sel:BYTE_3 src1_sel:DWORD
                                        ; implicit-def: $vgpr45
	s_and_saveexec_b64 s[22:23], vcc
	s_xor_b64 s[26:27], exec, s[22:23]
	s_cbranch_execz .LBB2_701
; %bb.692:                              ;   in Loop: Header=BB2_126 Depth=2
	v_mov_b32_e32 v45, 0
	v_cmp_ne_u32_e32 vcc, 0, v15
	s_and_saveexec_b64 s[28:29], vcc
	s_cbranch_execz .LBB2_700
; %bb.693:                              ;   in Loop: Header=BB2_126 Depth=2
	v_bfe_u32 v53, v15, 23, 8
	v_cmp_gt_u32_e64 s[22:23], s64, v53
	v_sub_u32_e32 v11, 0x79, v53
	v_and_b32_e32 v10, 0x7fffff, v15
	v_cmp_eq_u32_e32 vcc, 0, v53
	v_cndmask_b32_e64 v11, 0, v11, s[22:23]
	v_or_b32_e32 v14, 0x800000, v10
	v_cndmask_b32_e32 v45, v11, v2, vcc
	v_cndmask_b32_e32 v36, v14, v10, vcc
	v_add_u32_e32 v10, 20, v45
	v_lshlrev_b64 v[10:11], v10, -1
	v_add_u32_e32 v14, 19, v45
	v_lshlrev_b64 v[14:15], v14, 1
	v_bfi_b32 v11, v11, 0, 0
	v_bfi_b32 v10, v10, 0, v36
	v_cmp_eq_u64_e64 s[22:23], v[10:11], v[14:15]
	v_lshrrev_b64 v[10:11], v45, v[36:37]
	v_mov_b32_e32 v15, v11
	v_mov_b32_e32 v14, v10
	s_and_saveexec_b64 s[34:35], s[22:23]
; %bb.694:                              ;   in Loop: Header=BB2_126 Depth=2
	v_bfe_u32 v11, v10, 20, 1
	v_add_co_u32_e64 v11, s[22:23], v10, v11
	v_add_co_u32_e64 v14, s[22:23], -1, v11
; %bb.695:                              ;   in Loop: Header=BB2_126 Depth=2
	s_or_b64 exec, exec, s[34:35]
	v_add_u32_e32 v11, 0xffffff81, v53
	v_cndmask_b32_e32 v11, v11, v20, vcc
	v_lshrrev_b32_e32 v15, 23, v10
	v_add3_u32 v53, v45, v11, v15
	v_add_u32_e32 v15, 6, v53
	v_and_b32_e32 v11, 0xfffff, v14
	v_add_u32_e32 v36, v11, v10
	v_cmp_ne_u32_e32 vcc, 0, v15
                                        ; implicit-def: $vgpr10_vgpr11
                                        ; implicit-def: $vgpr14
	s_and_saveexec_b64 s[22:23], vcc
	s_xor_b64 s[22:23], exec, s[22:23]
; %bb.696:                              ;   in Loop: Header=BB2_126 Depth=2
	v_cmp_lt_u64_e32 vcc, s[76:77], v[36:37]
	v_add_u32_e32 v10, 7, v53
	v_cndmask_b32_e32 v14, v15, v10, vcc
	v_cndmask_b32_e64 v10, 0, 1, vcc
	v_lshrrev_b64 v[10:11], v10, v[36:37]
; %bb.697:                              ;   in Loop: Header=BB2_126 Depth=2
	s_andn2_saveexec_b64 s[22:23], s[22:23]
; %bb.698:                              ;   in Loop: Header=BB2_126 Depth=2
	v_mov_b32_e32 v10, v36
	v_bfe_u32 v14, v36, 23, 1
	v_mov_b32_e32 v11, v37
; %bb.699:                              ;   in Loop: Header=BB2_126 Depth=2
	s_or_b64 exec, exec, s[22:23]
	v_lshrrev_b64 v[10:11], 20, v[10:11]
	v_cmp_gt_i32_e32 vcc, 16, v14
	v_cndmask_b32_e32 v11, 0, v11, vcc
	v_cndmask_b32_e32 v10, 7, v10, vcc
	v_cmp_eq_u64_e64 s[22:23], 0, v[10:11]
	v_min_i32_e32 v11, 15, v14
	v_lshlrev_b32_e32 v11, 3, v11
	v_cmp_eq_u32_e32 vcc, 0, v14
	v_and_b32_e32 v11, 0xf8, v11
	v_and_or_b32 v10, v10, 7, v11
	s_and_b64 s[22:23], vcc, s[22:23]
	v_cndmask_b32_e64 v10, v10, 0, s[22:23]
	v_or_b32_e32 v45, v10, v52
.LBB2_700:                              ;   in Loop: Header=BB2_126 Depth=2
	s_or_b64 exec, exec, s[28:29]
                                        ; implicit-def: $vgpr52
.LBB2_701:                              ;   in Loop: Header=BB2_126 Depth=2
	s_andn2_saveexec_b64 s[22:23], s[26:27]
; %bb.702:                              ;   in Loop: Header=BB2_126 Depth=2
	v_or_b32_e32 v45, 0x7e, v52
; %bb.703:                              ;   in Loop: Header=BB2_126 Depth=2
	s_or_b64 exec, exec, s[22:23]
                                        ; implicit-def: $vgpr15
.LBB2_704:                              ;   in Loop: Header=BB2_126 Depth=2
	s_andn2_saveexec_b64 s[22:23], s[24:25]
; %bb.705:                              ;   in Loop: Header=BB2_126 Depth=2
	v_or_b32_sdwa v45, v15, s53 dst_sel:DWORD dst_unused:UNUSED_PAD src0_sel:BYTE_3 src1_sel:DWORD
; %bb.706:                              ;   in Loop: Header=BB2_126 Depth=2
	s_or_b64 exec, exec, s[22:23]
	v_bfe_u32 v11, v17, 16, 3
	v_bfe_u32 v14, v17, 16, 7
	v_cmp_eq_u32_e64 s[22:23], s53, v14
	v_cmp_gt_u32_e32 vcc, 8, v14
	v_ffbh_u32_e32 v14, v11
	v_min_u32_e32 v25, 32, v14
	v_lshrrev_b32_e32 v10, 16, v17
	v_subrev_u32_e32 v14, 28, v25
	v_lshlrev_b64 v[14:15], v14, v[10:11]
	v_bfe_u32 v24, v10, 3, 4
	v_sub_u32_e32 v15, 29, v25
	v_and_b32_e32 v14, 7, v14
	v_cndmask_b32_e32 v15, v24, v15, vcc
	v_cndmask_b32_e32 v11, v11, v14, vcc
	v_lshlrev_b32_e32 v14, 8, v17
	v_lshlrev_b32_e32 v11, 20, v11
	v_and_b32_e32 v14, 0x80000000, v14
	v_lshl_add_u32 v15, v15, 23, v3
	v_or3_b32 v14, v14, v15, v11
	v_lshrrev_b32_e32 v11, 16, v13
	v_cmp_ne_u16_sdwa s[24:25], v11, v37 src0_sel:BYTE_0 src1_sel:DWORD
	s_mov_b64 s[26:27], -1
	s_and_b64 vcc, exec, s[30:31]
                                        ; implicit-def: $vgpr15
	s_cbranch_vccz .LBB2_720
; %bb.707:                              ;   in Loop: Header=BB2_126 Depth=2
	v_mov_b32_e32 v15, 0
	s_and_saveexec_b64 s[26:27], s[24:25]
	s_cbranch_execz .LBB2_713
; %bb.708:                              ;   in Loop: Header=BB2_126 Depth=2
	v_cmp_ne_u16_sdwa vcc, v11, s55 src0_sel:BYTE_0 src1_sel:DWORD
	v_bfrev_b32_e32 v15, 1
	s_and_saveexec_b64 s[28:29], vcc
	s_cbranch_execz .LBB2_712
; %bb.709:                              ;   in Loop: Header=BB2_126 Depth=2
	v_bfe_u32 v36, v13, 16, 7
	v_cmp_ne_u32_e32 vcc, s53, v36
	v_mov_b32_e32 v15, 0x7f800001
	s_and_saveexec_b64 s[34:35], vcc
	s_cbranch_execz .LBB2_711
; %bb.710:                              ;   in Loop: Header=BB2_126 Depth=2
	v_and_b32_e32 v15, 7, v11
	v_ffbh_u32_e32 v24, v15
	v_lshrrev_b32_e32 v52, 3, v36
	v_cmp_gt_u32_e32 vcc, 8, v36
	v_min_u32_e32 v36, 32, v24
	v_subrev_u32_e32 v24, 28, v36
	v_lshlrev_b64 v[24:25], v24, v[11:12]
	v_sub_u32_e32 v25, 29, v36
	v_and_b32_e32 v24, 7, v24
	v_cndmask_b32_e32 v25, v52, v25, vcc
	v_cndmask_b32_e32 v15, v15, v24, vcc
	v_lshlrev_b32_e32 v24, 24, v11
	v_lshlrev_b32_e32 v15, 20, v15
	v_and_b32_e32 v24, 0x80000000, v24
	v_lshl_add_u32 v25, v25, 23, v3
	v_or3_b32 v15, v24, v25, v15
.LBB2_711:                              ;   in Loop: Header=BB2_126 Depth=2
	s_or_b64 exec, exec, s[34:35]
.LBB2_712:                              ;   in Loop: Header=BB2_126 Depth=2
	s_or_b64 exec, exec, s[28:29]
.LBB2_713:                              ;   in Loop: Header=BB2_126 Depth=2
	s_or_b64 exec, exec, s[26:27]
	v_cmp_gt_i16_sdwa s[28:29], v10, s53 src0_sel:BYTE_0 src1_sel:DWORD
	s_mov_b64 s[26:27], 0
	s_and_saveexec_b64 vcc, s[28:29]
	s_xor_b64 s[28:29], exec, vcc
	s_cbranch_execz .LBB2_826
; %bb.714:                              ;   in Loop: Header=BB2_126 Depth=2
	v_cmp_eq_u16_sdwa s[34:35], v10, s55 src0_sel:BYTE_0 src1_sel:DWORD
	s_mov_b64 s[26:27], -1
	s_and_saveexec_b64 vcc, s[34:35]
; %bb.715:                              ;   in Loop: Header=BB2_126 Depth=2
	s_xor_b64 s[26:27], exec, -1
; %bb.716:                              ;   in Loop: Header=BB2_126 Depth=2
	s_or_b64 exec, exec, vcc
	s_and_b64 s[26:27], s[26:27], exec
	s_or_saveexec_b64 s[28:29], s[28:29]
	v_bfrev_b32_e32 v36, 1
	s_xor_b64 exec, exec, s[28:29]
	s_cbranch_execnz .LBB2_827
.LBB2_717:                              ;   in Loop: Header=BB2_126 Depth=2
	s_or_b64 exec, exec, s[28:29]
	s_and_saveexec_b64 s[28:29], s[26:27]
.LBB2_718:                              ;   in Loop: Header=BB2_126 Depth=2
	v_cndmask_b32_e64 v36, v14, v56, s[22:23]
.LBB2_719:                              ;   in Loop: Header=BB2_126 Depth=2
	s_or_b64 exec, exec, s[28:29]
	v_max_f32_e32 v24, v36, v36
	v_max_f32_e32 v15, v15, v15
	;; [unrolled: 1-line block ×3, first 2 shown]
	s_mov_b64 s[26:27], 0
.LBB2_720:                              ;   in Loop: Header=BB2_126 Depth=2
	s_and_b64 vcc, exec, s[26:27]
	s_cbranch_vccz .LBB2_734
; %bb.721:                              ;   in Loop: Header=BB2_126 Depth=2
	v_mov_b32_e32 v15, 0
	s_and_saveexec_b64 s[26:27], s[24:25]
	s_cbranch_execz .LBB2_727
; %bb.722:                              ;   in Loop: Header=BB2_126 Depth=2
	v_cmp_ne_u16_sdwa s[28:29], v11, s55 src0_sel:BYTE_0 src1_sel:DWORD
	v_bfrev_b32_e32 v15, 1
	s_and_saveexec_b64 s[24:25], s[28:29]
	s_cbranch_execz .LBB2_726
; %bb.723:                              ;   in Loop: Header=BB2_126 Depth=2
	v_bfe_u32 v36, v13, 16, 7
	v_cmp_ne_u32_e32 vcc, s53, v36
	v_mov_b32_e32 v15, 0x7f800001
	s_and_saveexec_b64 s[28:29], vcc
	s_cbranch_execz .LBB2_725
; %bb.724:                              ;   in Loop: Header=BB2_126 Depth=2
	v_and_b32_e32 v15, 7, v11
	v_ffbh_u32_e32 v24, v15
	v_lshrrev_b32_e32 v52, 3, v36
	v_cmp_gt_u32_e32 vcc, 8, v36
	v_min_u32_e32 v36, 32, v24
	v_subrev_u32_e32 v24, 28, v36
	v_lshlrev_b64 v[24:25], v24, v[11:12]
	v_sub_u32_e32 v25, 29, v36
	v_and_b32_e32 v24, 7, v24
	v_cndmask_b32_e32 v25, v52, v25, vcc
	v_cndmask_b32_e32 v15, v15, v24, vcc
	v_lshlrev_b32_e32 v11, 24, v11
	v_lshlrev_b32_e32 v15, 20, v15
	v_and_b32_e32 v11, 0x80000000, v11
	v_lshl_add_u32 v24, v25, 23, v3
	v_or3_b32 v15, v11, v24, v15
.LBB2_725:                              ;   in Loop: Header=BB2_126 Depth=2
	s_or_b64 exec, exec, s[28:29]
.LBB2_726:                              ;   in Loop: Header=BB2_126 Depth=2
	s_or_b64 exec, exec, s[24:25]
.LBB2_727:                              ;   in Loop: Header=BB2_126 Depth=2
	s_or_b64 exec, exec, s[26:27]
	v_cmp_gt_i16_sdwa s[26:27], v10, s53 src0_sel:BYTE_0 src1_sel:DWORD
	s_mov_b64 s[24:25], 0
	s_and_saveexec_b64 s[28:29], s[26:27]
	s_xor_b64 s[26:27], exec, s[28:29]
	s_cbranch_execz .LBB2_828
; %bb.728:                              ;   in Loop: Header=BB2_126 Depth=2
	v_cmp_eq_u16_sdwa vcc, v10, s55 src0_sel:BYTE_0 src1_sel:DWORD
	s_mov_b64 s[24:25], -1
	s_and_saveexec_b64 s[28:29], vcc
; %bb.729:                              ;   in Loop: Header=BB2_126 Depth=2
	s_xor_b64 s[24:25], exec, -1
; %bb.730:                              ;   in Loop: Header=BB2_126 Depth=2
	s_or_b64 exec, exec, s[28:29]
	s_and_b64 s[24:25], s[24:25], exec
                                        ; implicit-def: $vgpr10
	s_or_saveexec_b64 s[26:27], s[26:27]
	v_bfrev_b32_e32 v11, 1
	s_xor_b64 exec, exec, s[26:27]
	s_cbranch_execnz .LBB2_829
.LBB2_731:                              ;   in Loop: Header=BB2_126 Depth=2
	s_or_b64 exec, exec, s[26:27]
	s_and_saveexec_b64 s[26:27], s[24:25]
.LBB2_732:                              ;   in Loop: Header=BB2_126 Depth=2
	v_cndmask_b32_e64 v11, v14, v56, s[22:23]
.LBB2_733:                              ;   in Loop: Header=BB2_126 Depth=2
	s_or_b64 exec, exec, s[26:27]
	v_max_f32_e32 v10, v11, v11
	v_max_f32_e32 v11, v15, v15
	v_min_f32_e32 v15, v11, v10
.LBB2_734:                              ;   in Loop: Header=BB2_126 Depth=2
	v_and_b32_e32 v36, 0x7f800000, v15
	v_cmp_ne_u64_e32 vcc, s[72:73], v[36:37]
                                        ; implicit-def: $vgpr14
	s_and_saveexec_b64 s[22:23], vcc
	s_xor_b64 s[24:25], exec, s[22:23]
	s_cbranch_execz .LBB2_748
; %bb.735:                              ;   in Loop: Header=BB2_126 Depth=2
	v_and_b32_e32 v36, 0x7fffffff, v15
	v_cmp_gt_u64_e32 vcc, s[74:75], v[36:37]
	v_and_b32_sdwa v52, v15, s55 dst_sel:DWORD dst_unused:UNUSED_PAD src0_sel:BYTE_3 src1_sel:DWORD
                                        ; implicit-def: $vgpr14
	s_and_saveexec_b64 s[22:23], vcc
	s_xor_b64 s[26:27], exec, s[22:23]
	s_cbranch_execz .LBB2_745
; %bb.736:                              ;   in Loop: Header=BB2_126 Depth=2
	v_mov_b32_e32 v14, 0
	v_cmp_ne_u32_e32 vcc, 0, v15
	s_and_saveexec_b64 s[28:29], vcc
	s_cbranch_execz .LBB2_744
; %bb.737:                              ;   in Loop: Header=BB2_126 Depth=2
	v_bfe_u32 v53, v15, 23, 8
	v_cmp_gt_u32_e64 s[22:23], s64, v53
	v_sub_u32_e32 v11, 0x79, v53
	v_and_b32_e32 v10, 0x7fffff, v15
	v_cmp_eq_u32_e32 vcc, 0, v53
	v_cndmask_b32_e64 v11, 0, v11, s[22:23]
	v_or_b32_e32 v14, 0x800000, v10
	v_cndmask_b32_e32 v60, v11, v2, vcc
	v_cndmask_b32_e32 v36, v14, v10, vcc
	v_add_u32_e32 v10, 20, v60
	v_lshlrev_b64 v[10:11], v10, -1
	v_add_u32_e32 v14, 19, v60
	v_lshlrev_b64 v[14:15], v14, 1
	v_bfi_b32 v11, v11, 0, 0
	v_bfi_b32 v10, v10, 0, v36
	v_cmp_eq_u64_e64 s[22:23], v[10:11], v[14:15]
	v_lshrrev_b64 v[10:11], v60, v[36:37]
	v_mov_b32_e32 v15, v11
	v_mov_b32_e32 v14, v10
	s_and_saveexec_b64 s[34:35], s[22:23]
; %bb.738:                              ;   in Loop: Header=BB2_126 Depth=2
	v_bfe_u32 v11, v10, 20, 1
	v_add_co_u32_e64 v11, s[22:23], v10, v11
	v_add_co_u32_e64 v14, s[22:23], -1, v11
; %bb.739:                              ;   in Loop: Header=BB2_126 Depth=2
	s_or_b64 exec, exec, s[34:35]
	v_add_u32_e32 v11, 0xffffff81, v53
	v_cndmask_b32_e32 v11, v11, v20, vcc
	v_lshrrev_b32_e32 v15, 23, v10
	v_add3_u32 v53, v60, v11, v15
	v_add_u32_e32 v15, 6, v53
	v_and_b32_e32 v11, 0xfffff, v14
	v_add_u32_e32 v36, v11, v10
	v_cmp_ne_u32_e32 vcc, 0, v15
                                        ; implicit-def: $vgpr10_vgpr11
                                        ; implicit-def: $vgpr14
	s_and_saveexec_b64 s[22:23], vcc
	s_xor_b64 s[22:23], exec, s[22:23]
; %bb.740:                              ;   in Loop: Header=BB2_126 Depth=2
	v_cmp_lt_u64_e32 vcc, s[76:77], v[36:37]
	v_add_u32_e32 v10, 7, v53
	v_cndmask_b32_e32 v14, v15, v10, vcc
	v_cndmask_b32_e64 v10, 0, 1, vcc
	v_lshrrev_b64 v[10:11], v10, v[36:37]
; %bb.741:                              ;   in Loop: Header=BB2_126 Depth=2
	s_andn2_saveexec_b64 s[22:23], s[22:23]
; %bb.742:                              ;   in Loop: Header=BB2_126 Depth=2
	v_mov_b32_e32 v10, v36
	v_bfe_u32 v14, v36, 23, 1
	v_mov_b32_e32 v11, v37
; %bb.743:                              ;   in Loop: Header=BB2_126 Depth=2
	s_or_b64 exec, exec, s[22:23]
	v_lshrrev_b64 v[10:11], 20, v[10:11]
	v_cmp_gt_i32_e32 vcc, 16, v14
	v_cndmask_b32_e32 v11, 0, v11, vcc
	v_cndmask_b32_e32 v10, 7, v10, vcc
	v_cmp_eq_u64_e64 s[22:23], 0, v[10:11]
	v_min_i32_e32 v11, 15, v14
	v_lshlrev_b32_e32 v11, 3, v11
	v_cmp_eq_u32_e32 vcc, 0, v14
	v_and_b32_e32 v11, 0xf8, v11
	v_and_or_b32 v10, v10, 7, v11
	s_and_b64 s[22:23], vcc, s[22:23]
	v_cndmask_b32_e64 v10, v10, 0, s[22:23]
	v_or_b32_e32 v14, v10, v52
.LBB2_744:                              ;   in Loop: Header=BB2_126 Depth=2
	s_or_b64 exec, exec, s[28:29]
                                        ; implicit-def: $vgpr52
.LBB2_745:                              ;   in Loop: Header=BB2_126 Depth=2
	s_andn2_saveexec_b64 s[22:23], s[26:27]
; %bb.746:                              ;   in Loop: Header=BB2_126 Depth=2
	v_or_b32_e32 v14, 0x7e, v52
; %bb.747:                              ;   in Loop: Header=BB2_126 Depth=2
	s_or_b64 exec, exec, s[22:23]
                                        ; implicit-def: $vgpr15
.LBB2_748:                              ;   in Loop: Header=BB2_126 Depth=2
	s_andn2_saveexec_b64 s[22:23], s[24:25]
; %bb.749:                              ;   in Loop: Header=BB2_126 Depth=2
	v_or_b32_sdwa v14, v15, s53 dst_sel:DWORD dst_unused:UNUSED_PAD src0_sel:BYTE_3 src1_sel:DWORD
; %bb.750:                              ;   in Loop: Header=BB2_126 Depth=2
	s_or_b64 exec, exec, s[22:23]
	v_bfe_u32 v24, v17, 24, 3
	v_bfe_u32 v15, v17, 24, 7
	v_cmp_eq_u32_e64 s[26:27], s53, v15
	v_cmp_gt_u32_e32 vcc, 8, v15
	v_ffbh_u32_e32 v15, v24
	v_min_u32_e32 v36, 32, v15
	v_lshrrev_b32_e32 v11, 24, v17
	v_subrev_u32_e32 v15, 28, v36
	v_cmp_gt_u64_e64 s[22:23], s[58:59], v[16:17]
	v_lshlrev_b64 v[15:16], v15, v[11:12]
	v_bfe_u32 v25, v11, 3, 4
	v_cmp_eq_u32_e64 s[24:25], s55, v11
	v_sub_u32_e32 v11, 29, v36
	v_and_b32_e32 v15, 7, v15
	v_cndmask_b32_e32 v11, v25, v11, vcc
	v_cndmask_b32_e32 v15, v24, v15, vcc
	v_lshlrev_b32_e32 v15, 20, v15
	v_and_b32_e32 v16, 0x80000000, v17
	v_lshl_add_u32 v11, v11, 23, v3
	v_cmp_lt_u64_e64 s[28:29], s[78:79], v[12:13]
	v_lshrrev_b32_e32 v10, 24, v13
	v_or3_b32 v11, v16, v11, v15
	s_mov_b64 s[34:35], -1
	s_and_b64 vcc, exec, s[30:31]
                                        ; implicit-def: $vgpr12
	s_cbranch_vccz .LBB2_758
; %bb.751:                              ;   in Loop: Header=BB2_126 Depth=2
	v_mov_b32_e32 v12, 0
	s_and_saveexec_b64 s[34:35], s[28:29]
	s_cbranch_execz .LBB2_757
; %bb.752:                              ;   in Loop: Header=BB2_126 Depth=2
	v_cmp_ne_u32_e32 vcc, s55, v10
	v_bfrev_b32_e32 v12, 1
	s_and_saveexec_b64 s[36:37], vcc
	s_cbranch_execz .LBB2_756
; %bb.753:                              ;   in Loop: Header=BB2_126 Depth=2
	v_bfe_u32 v15, v13, 24, 7
	v_cmp_ne_u32_e32 vcc, s53, v15
	v_mov_b32_e32 v12, 0x7f800001
	s_and_saveexec_b64 s[38:39], vcc
	s_cbranch_execz .LBB2_755
; %bb.754:                              ;   in Loop: Header=BB2_126 Depth=2
	v_and_b32_e32 v12, 7, v10
	v_lshrrev_b32_e32 v17, 3, v15
	v_cmp_gt_u32_e32 vcc, 8, v15
	v_ffbh_u32_e32 v15, v12
	v_min_u32_e32 v24, 32, v15
	v_subrev_u32_e32 v15, 28, v24
	v_lshlrev_b64 v[15:16], v15, v[10:11]
	v_sub_u32_e32 v16, 29, v24
	v_and_b32_e32 v15, 7, v15
	v_cndmask_b32_e32 v16, v17, v16, vcc
	v_cndmask_b32_e32 v12, v12, v15, vcc
	v_lshlrev_b32_e32 v15, 24, v10
	v_lshlrev_b32_e32 v12, 20, v12
	v_and_b32_e32 v15, 0x80000000, v15
	v_lshl_add_u32 v16, v16, 23, v3
	v_or3_b32 v12, v15, v16, v12
.LBB2_755:                              ;   in Loop: Header=BB2_126 Depth=2
	s_or_b64 exec, exec, s[38:39]
.LBB2_756:                              ;   in Loop: Header=BB2_126 Depth=2
	s_or_b64 exec, exec, s[36:37]
.LBB2_757:                              ;   in Loop: Header=BB2_126 Depth=2
	s_or_b64 exec, exec, s[34:35]
	v_cndmask_b32_e64 v15, v11, v56, s[26:27]
	v_cndmask_b32_e64 v15, v15, v21, s[24:25]
	;; [unrolled: 1-line block ×3, first 2 shown]
	v_max_f32_e32 v15, v15, v15
	v_max_f32_e32 v12, v12, v12
	;; [unrolled: 1-line block ×3, first 2 shown]
	s_mov_b64 s[34:35], 0
.LBB2_758:                              ;   in Loop: Header=BB2_126 Depth=2
	s_and_b64 vcc, exec, s[34:35]
	s_cbranch_vccz .LBB2_766
; %bb.759:                              ;   in Loop: Header=BB2_126 Depth=2
	v_mov_b32_e32 v12, 0
	s_and_saveexec_b64 s[34:35], s[28:29]
	s_cbranch_execz .LBB2_765
; %bb.760:                              ;   in Loop: Header=BB2_126 Depth=2
	v_cmp_ne_u32_e32 vcc, s55, v10
	v_bfrev_b32_e32 v12, 1
	s_and_saveexec_b64 s[28:29], vcc
	s_cbranch_execz .LBB2_764
; %bb.761:                              ;   in Loop: Header=BB2_126 Depth=2
	v_bfe_u32 v13, v13, 24, 7
	v_cmp_ne_u32_e32 vcc, s53, v13
	v_mov_b32_e32 v12, 0x7f800001
	s_and_saveexec_b64 s[36:37], vcc
	s_cbranch_execz .LBB2_763
; %bb.762:                              ;   in Loop: Header=BB2_126 Depth=2
	v_and_b32_e32 v15, 7, v10
	v_ffbh_u32_e32 v12, v15
	v_min_u32_e32 v17, 32, v12
	v_subrev_u32_e32 v12, 28, v17
	v_lshrrev_b32_e32 v16, 3, v13
	v_cmp_gt_u32_e32 vcc, 8, v13
	v_lshlrev_b64 v[12:13], v12, v[10:11]
	v_sub_u32_e32 v13, 29, v17
	v_and_b32_e32 v12, 7, v12
	v_cndmask_b32_e32 v13, v16, v13, vcc
	v_cndmask_b32_e32 v12, v15, v12, vcc
	v_lshlrev_b32_e32 v10, 24, v10
	v_lshlrev_b32_e32 v12, 20, v12
	v_and_b32_e32 v10, 0x80000000, v10
	v_lshl_add_u32 v13, v13, 23, v3
	v_or3_b32 v12, v10, v13, v12
.LBB2_763:                              ;   in Loop: Header=BB2_126 Depth=2
	s_or_b64 exec, exec, s[36:37]
.LBB2_764:                              ;   in Loop: Header=BB2_126 Depth=2
	s_or_b64 exec, exec, s[28:29]
.LBB2_765:                              ;   in Loop: Header=BB2_126 Depth=2
	s_or_b64 exec, exec, s[34:35]
	v_cndmask_b32_e64 v10, v11, v56, s[26:27]
	v_cndmask_b32_e64 v10, v10, v21, s[24:25]
	;; [unrolled: 1-line block ×3, first 2 shown]
	v_max_f32_e32 v10, v10, v10
	v_max_f32_e32 v11, v12, v12
	v_min_f32_e32 v12, v11, v10
.LBB2_766:                              ;   in Loop: Header=BB2_126 Depth=2
	v_and_b32_e32 v36, 0x7f800000, v12
	v_cmp_ne_u64_e32 vcc, s[72:73], v[36:37]
                                        ; implicit-def: $vgpr10
	s_and_saveexec_b64 s[22:23], vcc
	s_xor_b64 s[24:25], exec, s[22:23]
	s_cbranch_execz .LBB2_780
; %bb.767:                              ;   in Loop: Header=BB2_126 Depth=2
	v_and_b32_e32 v36, 0x7fffffff, v12
	v_cmp_gt_u64_e32 vcc, s[74:75], v[36:37]
	v_and_b32_sdwa v13, v12, s55 dst_sel:DWORD dst_unused:UNUSED_PAD src0_sel:BYTE_3 src1_sel:DWORD
                                        ; implicit-def: $vgpr10
	s_and_saveexec_b64 s[22:23], vcc
	s_xor_b64 s[26:27], exec, s[22:23]
	s_cbranch_execz .LBB2_777
; %bb.768:                              ;   in Loop: Header=BB2_126 Depth=2
	v_mov_b32_e32 v10, 0
	v_cmp_ne_u32_e32 vcc, 0, v12
	s_and_saveexec_b64 s[28:29], vcc
	s_cbranch_execz .LBB2_776
; %bb.769:                              ;   in Loop: Header=BB2_126 Depth=2
	v_bfe_u32 v15, v12, 23, 8
	v_cmp_gt_u32_e64 s[22:23], s64, v15
	v_sub_u32_e32 v11, 0x79, v15
	v_and_b32_e32 v10, 0x7fffff, v12
	v_cmp_eq_u32_e32 vcc, 0, v15
	v_cndmask_b32_e64 v11, 0, v11, s[22:23]
	v_or_b32_e32 v12, 0x800000, v10
	v_cndmask_b32_e32 v16, v11, v2, vcc
	v_cndmask_b32_e32 v36, v12, v10, vcc
	v_add_u32_e32 v10, 20, v16
	v_lshlrev_b64 v[10:11], v10, -1
	v_add_u32_e32 v12, 19, v16
	v_lshlrev_b64 v[24:25], v12, 1
	v_bfi_b32 v11, v11, 0, 0
	v_bfi_b32 v10, v10, 0, v36
	v_cmp_eq_u64_e64 s[22:23], v[10:11], v[24:25]
	v_lshrrev_b64 v[10:11], v16, v[36:37]
	v_mov_b32_e32 v12, v11
	v_mov_b32_e32 v11, v10
	s_and_saveexec_b64 s[34:35], s[22:23]
; %bb.770:                              ;   in Loop: Header=BB2_126 Depth=2
	v_bfe_u32 v11, v10, 20, 1
	v_add_co_u32_e64 v11, s[22:23], v10, v11
	v_add_co_u32_e64 v11, s[22:23], -1, v11
; %bb.771:                              ;   in Loop: Header=BB2_126 Depth=2
	s_or_b64 exec, exec, s[34:35]
	v_add_u32_e32 v12, 0xffffff81, v15
	v_cndmask_b32_e32 v12, v12, v20, vcc
	v_lshrrev_b32_e32 v15, 23, v10
	v_add3_u32 v16, v16, v12, v15
	v_add_u32_e32 v15, 6, v16
	v_and_b32_e32 v11, 0xfffff, v11
	v_add_u32_e32 v36, v11, v10
	v_cmp_ne_u32_e32 vcc, 0, v15
                                        ; implicit-def: $vgpr10_vgpr11
                                        ; implicit-def: $vgpr12
	s_and_saveexec_b64 s[22:23], vcc
	s_xor_b64 s[22:23], exec, s[22:23]
; %bb.772:                              ;   in Loop: Header=BB2_126 Depth=2
	v_cmp_lt_u64_e32 vcc, s[76:77], v[36:37]
	v_add_u32_e32 v10, 7, v16
	v_cndmask_b32_e32 v12, v15, v10, vcc
	v_cndmask_b32_e64 v10, 0, 1, vcc
	v_lshrrev_b64 v[10:11], v10, v[36:37]
; %bb.773:                              ;   in Loop: Header=BB2_126 Depth=2
	s_andn2_saveexec_b64 s[22:23], s[22:23]
; %bb.774:                              ;   in Loop: Header=BB2_126 Depth=2
	v_mov_b32_e32 v10, v36
	v_bfe_u32 v12, v36, 23, 1
	v_mov_b32_e32 v11, v37
; %bb.775:                              ;   in Loop: Header=BB2_126 Depth=2
	s_or_b64 exec, exec, s[22:23]
	v_lshrrev_b64 v[10:11], 20, v[10:11]
	v_cmp_gt_i32_e32 vcc, 16, v12
	v_cndmask_b32_e32 v11, 0, v11, vcc
	v_cndmask_b32_e32 v10, 7, v10, vcc
	v_cmp_eq_u64_e64 s[22:23], 0, v[10:11]
	v_min_i32_e32 v11, 15, v12
	v_lshlrev_b32_e32 v11, 3, v11
	v_cmp_eq_u32_e32 vcc, 0, v12
	v_and_b32_e32 v11, 0xf8, v11
	v_and_or_b32 v10, v10, 7, v11
	s_and_b64 s[22:23], vcc, s[22:23]
	v_cndmask_b32_e64 v10, v10, 0, s[22:23]
	v_or_b32_e32 v10, v10, v13
.LBB2_776:                              ;   in Loop: Header=BB2_126 Depth=2
	s_or_b64 exec, exec, s[28:29]
                                        ; implicit-def: $vgpr13
.LBB2_777:                              ;   in Loop: Header=BB2_126 Depth=2
	s_andn2_saveexec_b64 s[22:23], s[26:27]
; %bb.778:                              ;   in Loop: Header=BB2_126 Depth=2
	v_or_b32_e32 v10, 0x7e, v13
; %bb.779:                              ;   in Loop: Header=BB2_126 Depth=2
	s_or_b64 exec, exec, s[22:23]
                                        ; implicit-def: $vgpr12
.LBB2_780:                              ;   in Loop: Header=BB2_126 Depth=2
	s_andn2_saveexec_b64 s[22:23], s[24:25]
	s_cbranch_execz .LBB2_125
; %bb.781:                              ;   in Loop: Header=BB2_126 Depth=2
	v_or_b32_sdwa v10, v12, s53 dst_sel:DWORD dst_unused:UNUSED_PAD src0_sel:BYTE_3 src1_sel:DWORD
	s_branch .LBB2_125
.LBB2_782:                              ;   in Loop: Header=BB2_126 Depth=2
	s_or_saveexec_b64 s[28:29], s[28:29]
	v_bfrev_b32_e32 v18, 1
	s_xor_b64 exec, exec, s[28:29]
	s_cbranch_execz .LBB2_137
.LBB2_783:                              ;   in Loop: Header=BB2_126 Depth=2
	v_cmp_ne_u16_sdwa vcc, v14, v37 src0_sel:BYTE_0 src1_sel:DWORD
	s_andn2_b64 s[26:27], s[26:27], exec
	s_and_b64 vcc, vcc, exec
	v_mov_b32_e32 v18, 0
	s_or_b64 s[26:27], s[26:27], vcc
	s_or_b64 exec, exec, s[28:29]
	s_and_saveexec_b64 s[28:29], s[26:27]
	s_cbranch_execnz .LBB2_138
	s_branch .LBB2_139
.LBB2_784:                              ;   in Loop: Header=BB2_126 Depth=2
	s_or_saveexec_b64 s[26:27], s[26:27]
	v_bfrev_b32_e32 v18, 1
	s_xor_b64 exec, exec, s[26:27]
	s_cbranch_execz .LBB2_151
.LBB2_785:                              ;   in Loop: Header=BB2_126 Depth=2
	v_cmp_ne_u16_sdwa s[28:29], v14, v37 src0_sel:BYTE_0 src1_sel:DWORD
	s_andn2_b64 s[24:25], s[24:25], exec
	s_and_b64 s[28:29], s[28:29], exec
	v_mov_b32_e32 v18, 0
	s_or_b64 s[24:25], s[24:25], s[28:29]
	s_or_b64 exec, exec, s[26:27]
	s_and_saveexec_b64 s[26:27], s[24:25]
	s_cbranch_execnz .LBB2_152
	s_branch .LBB2_153
.LBB2_786:                              ;   in Loop: Header=BB2_126 Depth=2
	s_or_saveexec_b64 s[28:29], s[28:29]
	v_bfrev_b32_e32 v19, 1
	s_xor_b64 exec, exec, s[28:29]
	s_cbranch_execz .LBB2_181
.LBB2_787:                              ;   in Loop: Header=BB2_126 Depth=2
	v_cmp_ne_u16_e32 vcc, 0, v36
	s_andn2_b64 s[26:27], s[26:27], exec
	s_and_b64 vcc, vcc, exec
	v_mov_b32_e32 v19, 0
	s_or_b64 s[26:27], s[26:27], vcc
	s_or_b64 exec, exec, s[28:29]
	s_and_saveexec_b64 s[28:29], s[26:27]
	s_cbranch_execnz .LBB2_182
	s_branch .LBB2_183
.LBB2_788:                              ;   in Loop: Header=BB2_126 Depth=2
	s_or_saveexec_b64 s[26:27], s[26:27]
	v_bfrev_b32_e32 v19, 1
	s_xor_b64 exec, exec, s[26:27]
	s_cbranch_execz .LBB2_195
.LBB2_789:                              ;   in Loop: Header=BB2_126 Depth=2
	v_cmp_ne_u16_e32 vcc, 0, v36
	s_andn2_b64 s[24:25], s[24:25], exec
	s_and_b64 s[28:29], vcc, exec
	v_mov_b32_e32 v19, 0
	s_or_b64 s[24:25], s[24:25], s[28:29]
	s_or_b64 exec, exec, s[26:27]
	s_and_saveexec_b64 s[26:27], s[24:25]
	s_cbranch_execnz .LBB2_196
	s_branch .LBB2_197
.LBB2_790:                              ;   in Loop: Header=BB2_126 Depth=2
	s_or_saveexec_b64 s[28:29], s[28:29]
	v_bfrev_b32_e32 v19, 1
	s_xor_b64 exec, exec, s[28:29]
	s_cbranch_execz .LBB2_225
.LBB2_791:                              ;   in Loop: Header=BB2_126 Depth=2
	v_cmp_ne_u16_sdwa vcc, v30, v37 src0_sel:BYTE_0 src1_sel:DWORD
	s_andn2_b64 s[26:27], s[26:27], exec
	s_and_b64 vcc, vcc, exec
	v_mov_b32_e32 v19, 0
	s_or_b64 s[26:27], s[26:27], vcc
	s_or_b64 exec, exec, s[28:29]
	s_and_saveexec_b64 s[28:29], s[26:27]
	s_cbranch_execnz .LBB2_226
	s_branch .LBB2_227
.LBB2_792:                              ;   in Loop: Header=BB2_126 Depth=2
	s_or_saveexec_b64 s[26:27], s[26:27]
	v_bfrev_b32_e32 v19, 1
	s_xor_b64 exec, exec, s[26:27]
	s_cbranch_execz .LBB2_239
.LBB2_793:                              ;   in Loop: Header=BB2_126 Depth=2
	v_cmp_ne_u16_sdwa s[28:29], v30, v37 src0_sel:BYTE_0 src1_sel:DWORD
	s_andn2_b64 s[24:25], s[24:25], exec
	s_and_b64 s[28:29], s[28:29], exec
	v_mov_b32_e32 v19, 0
	s_or_b64 s[24:25], s[24:25], s[28:29]
	s_or_b64 exec, exec, s[26:27]
	s_and_saveexec_b64 s[26:27], s[24:25]
	s_cbranch_execnz .LBB2_240
	s_branch .LBB2_241
.LBB2_794:                              ;   in Loop: Header=BB2_126 Depth=2
	s_or_saveexec_b64 s[28:29], s[28:29]
	v_bfrev_b32_e32 v19, 1
	s_xor_b64 exec, exec, s[28:29]
	s_cbranch_execz .LBB2_301
.LBB2_795:                              ;   in Loop: Header=BB2_126 Depth=2
	v_cmp_ne_u16_sdwa vcc, v15, v37 src0_sel:BYTE_0 src1_sel:DWORD
	s_andn2_b64 s[26:27], s[26:27], exec
	s_and_b64 vcc, vcc, exec
	v_mov_b32_e32 v19, 0
	s_or_b64 s[26:27], s[26:27], vcc
	s_or_b64 exec, exec, s[28:29]
	s_and_saveexec_b64 s[28:29], s[26:27]
	s_cbranch_execnz .LBB2_302
	s_branch .LBB2_303
.LBB2_796:                              ;   in Loop: Header=BB2_126 Depth=2
	s_or_saveexec_b64 s[26:27], s[26:27]
	v_bfrev_b32_e32 v19, 1
	s_xor_b64 exec, exec, s[26:27]
	s_cbranch_execz .LBB2_315
.LBB2_797:                              ;   in Loop: Header=BB2_126 Depth=2
	v_cmp_ne_u16_sdwa s[28:29], v15, v37 src0_sel:BYTE_0 src1_sel:DWORD
	s_andn2_b64 s[24:25], s[24:25], exec
	s_and_b64 s[28:29], s[28:29], exec
	v_mov_b32_e32 v19, 0
	s_or_b64 s[24:25], s[24:25], s[28:29]
	s_or_b64 exec, exec, s[26:27]
	s_and_saveexec_b64 s[26:27], s[24:25]
	s_cbranch_execnz .LBB2_316
	s_branch .LBB2_317
.LBB2_798:                              ;   in Loop: Header=BB2_126 Depth=2
	s_or_saveexec_b64 s[28:29], s[28:29]
	v_bfrev_b32_e32 v19, 1
	s_xor_b64 exec, exec, s[28:29]
	s_cbranch_execz .LBB2_345
.LBB2_799:                              ;   in Loop: Header=BB2_126 Depth=2
	v_cmp_ne_u16_e32 vcc, 0, v36
	s_andn2_b64 s[26:27], s[26:27], exec
	s_and_b64 vcc, vcc, exec
	v_mov_b32_e32 v19, 0
	s_or_b64 s[26:27], s[26:27], vcc
	s_or_b64 exec, exec, s[28:29]
	s_and_saveexec_b64 s[28:29], s[26:27]
	s_cbranch_execnz .LBB2_346
	s_branch .LBB2_347
.LBB2_800:                              ;   in Loop: Header=BB2_126 Depth=2
	s_or_saveexec_b64 s[26:27], s[26:27]
	v_bfrev_b32_e32 v19, 1
	s_xor_b64 exec, exec, s[26:27]
	s_cbranch_execz .LBB2_359
.LBB2_801:                              ;   in Loop: Header=BB2_126 Depth=2
	v_cmp_ne_u16_e32 vcc, 0, v36
	s_andn2_b64 s[24:25], s[24:25], exec
	s_and_b64 s[28:29], vcc, exec
	v_mov_b32_e32 v19, 0
	s_or_b64 s[24:25], s[24:25], s[28:29]
	s_or_b64 exec, exec, s[26:27]
	s_and_saveexec_b64 s[26:27], s[24:25]
	s_cbranch_execnz .LBB2_360
	s_branch .LBB2_361
.LBB2_802:                              ;   in Loop: Header=BB2_126 Depth=2
	s_or_saveexec_b64 s[28:29], s[28:29]
	v_bfrev_b32_e32 v52, 1
	s_xor_b64 exec, exec, s[28:29]
	s_cbranch_execz .LBB2_389
.LBB2_803:                              ;   in Loop: Header=BB2_126 Depth=2
	v_cmp_ne_u16_sdwa vcc, v30, v37 src0_sel:BYTE_0 src1_sel:DWORD
	s_andn2_b64 s[26:27], s[26:27], exec
	s_and_b64 vcc, vcc, exec
	v_mov_b32_e32 v52, 0
	s_or_b64 s[26:27], s[26:27], vcc
	s_or_b64 exec, exec, s[28:29]
	s_and_saveexec_b64 s[28:29], s[26:27]
	s_cbranch_execnz .LBB2_390
	s_branch .LBB2_391
.LBB2_804:                              ;   in Loop: Header=BB2_126 Depth=2
	s_or_saveexec_b64 s[26:27], s[26:27]
	v_bfrev_b32_e32 v36, 1
	s_xor_b64 exec, exec, s[26:27]
	s_cbranch_execz .LBB2_403
.LBB2_805:                              ;   in Loop: Header=BB2_126 Depth=2
	v_cmp_ne_u16_sdwa s[28:29], v30, v37 src0_sel:BYTE_0 src1_sel:DWORD
	s_andn2_b64 s[24:25], s[24:25], exec
	s_and_b64 s[28:29], s[28:29], exec
	v_mov_b32_e32 v36, 0
	s_or_b64 s[24:25], s[24:25], s[28:29]
	s_or_b64 exec, exec, s[26:27]
	s_and_saveexec_b64 s[26:27], s[24:25]
	s_cbranch_execnz .LBB2_404
	s_branch .LBB2_405
.LBB2_806:                              ;   in Loop: Header=BB2_126 Depth=2
	s_or_saveexec_b64 s[28:29], s[28:29]
	v_bfrev_b32_e32 v14, 1
	s_xor_b64 exec, exec, s[28:29]
	s_cbranch_execz .LBB2_465
.LBB2_807:                              ;   in Loop: Header=BB2_126 Depth=2
	v_cmp_ne_u16_sdwa vcc, v16, v37 src0_sel:BYTE_0 src1_sel:DWORD
	s_andn2_b64 s[26:27], s[26:27], exec
	s_and_b64 vcc, vcc, exec
	v_mov_b32_e32 v14, 0
	s_or_b64 s[26:27], s[26:27], vcc
	s_or_b64 exec, exec, s[28:29]
	s_and_saveexec_b64 s[28:29], s[26:27]
	s_cbranch_execnz .LBB2_466
	s_branch .LBB2_467
.LBB2_808:                              ;   in Loop: Header=BB2_126 Depth=2
	s_or_saveexec_b64 s[26:27], s[26:27]
	v_bfrev_b32_e32 v14, 1
	s_xor_b64 exec, exec, s[26:27]
	s_cbranch_execz .LBB2_479
.LBB2_809:                              ;   in Loop: Header=BB2_126 Depth=2
	v_cmp_ne_u16_sdwa s[28:29], v16, v37 src0_sel:BYTE_0 src1_sel:DWORD
	s_andn2_b64 s[24:25], s[24:25], exec
	s_and_b64 s[28:29], s[28:29], exec
	v_mov_b32_e32 v14, 0
	s_or_b64 s[24:25], s[24:25], s[28:29]
	s_or_b64 exec, exec, s[26:27]
	s_and_saveexec_b64 s[26:27], s[24:25]
	s_cbranch_execnz .LBB2_480
	s_branch .LBB2_481
.LBB2_810:                              ;   in Loop: Header=BB2_126 Depth=2
	s_or_saveexec_b64 s[28:29], s[28:29]
	v_bfrev_b32_e32 v15, 1
	s_xor_b64 exec, exec, s[28:29]
	s_cbranch_execz .LBB2_509
.LBB2_811:                              ;   in Loop: Header=BB2_126 Depth=2
	v_cmp_ne_u16_e32 vcc, 0, v36
	s_andn2_b64 s[26:27], s[26:27], exec
	s_and_b64 vcc, vcc, exec
	v_mov_b32_e32 v15, 0
	s_or_b64 s[26:27], s[26:27], vcc
	s_or_b64 exec, exec, s[28:29]
	s_and_saveexec_b64 s[28:29], s[26:27]
	s_cbranch_execnz .LBB2_510
	s_branch .LBB2_511
.LBB2_812:                              ;   in Loop: Header=BB2_126 Depth=2
	s_or_saveexec_b64 s[26:27], s[26:27]
	v_bfrev_b32_e32 v10, 1
	s_xor_b64 exec, exec, s[26:27]
	s_cbranch_execz .LBB2_523
.LBB2_813:                              ;   in Loop: Header=BB2_126 Depth=2
	v_cmp_ne_u16_e32 vcc, 0, v36
	s_andn2_b64 s[24:25], s[24:25], exec
	s_and_b64 s[28:29], vcc, exec
	v_mov_b32_e32 v10, 0
	s_or_b64 s[24:25], s[24:25], s[28:29]
	s_or_b64 exec, exec, s[26:27]
	s_and_saveexec_b64 s[26:27], s[24:25]
	s_cbranch_execnz .LBB2_524
	s_branch .LBB2_525
.LBB2_814:                              ;   in Loop: Header=BB2_126 Depth=2
	s_or_saveexec_b64 s[28:29], s[28:29]
	v_bfrev_b32_e32 v19, 1
	s_xor_b64 exec, exec, s[28:29]
	s_cbranch_execz .LBB2_553
.LBB2_815:                              ;   in Loop: Header=BB2_126 Depth=2
	v_cmp_ne_u16_sdwa vcc, v10, v37 src0_sel:BYTE_0 src1_sel:DWORD
	s_andn2_b64 s[26:27], s[26:27], exec
	s_and_b64 vcc, vcc, exec
	v_mov_b32_e32 v19, 0
	s_or_b64 s[26:27], s[26:27], vcc
	s_or_b64 exec, exec, s[28:29]
	s_and_saveexec_b64 s[28:29], s[26:27]
	s_cbranch_execnz .LBB2_554
	s_branch .LBB2_555
.LBB2_816:                              ;   in Loop: Header=BB2_126 Depth=2
	s_or_saveexec_b64 s[26:27], s[26:27]
	v_bfrev_b32_e32 v11, 1
	s_xor_b64 exec, exec, s[26:27]
	s_cbranch_execz .LBB2_567
.LBB2_817:                              ;   in Loop: Header=BB2_126 Depth=2
	v_cmp_ne_u16_sdwa s[28:29], v10, v37 src0_sel:BYTE_0 src1_sel:DWORD
	s_andn2_b64 s[24:25], s[24:25], exec
	s_and_b64 s[28:29], s[28:29], exec
	v_mov_b32_e32 v11, 0
	s_or_b64 s[24:25], s[24:25], s[28:29]
	s_or_b64 exec, exec, s[26:27]
	s_and_saveexec_b64 s[26:27], s[24:25]
	s_cbranch_execnz .LBB2_568
	s_branch .LBB2_569
.LBB2_818:                              ;   in Loop: Header=BB2_126 Depth=2
	s_or_saveexec_b64 s[28:29], s[28:29]
	v_bfrev_b32_e32 v15, 1
	s_xor_b64 exec, exec, s[28:29]
	s_cbranch_execz .LBB2_629
.LBB2_819:                              ;   in Loop: Header=BB2_126 Depth=2
	v_cmp_ne_u16_sdwa vcc, v17, v37 src0_sel:BYTE_0 src1_sel:DWORD
	s_andn2_b64 s[26:27], s[26:27], exec
	s_and_b64 vcc, vcc, exec
	v_mov_b32_e32 v15, 0
	s_or_b64 s[26:27], s[26:27], vcc
	s_or_b64 exec, exec, s[28:29]
	s_and_saveexec_b64 s[28:29], s[26:27]
	s_cbranch_execnz .LBB2_630
	s_branch .LBB2_631
.LBB2_820:                              ;   in Loop: Header=BB2_126 Depth=2
	s_or_saveexec_b64 s[26:27], s[26:27]
	v_bfrev_b32_e32 v15, 1
	s_xor_b64 exec, exec, s[26:27]
	s_cbranch_execz .LBB2_643
.LBB2_821:                              ;   in Loop: Header=BB2_126 Depth=2
	v_cmp_ne_u16_sdwa s[28:29], v17, v37 src0_sel:BYTE_0 src1_sel:DWORD
	s_andn2_b64 s[24:25], s[24:25], exec
	s_and_b64 s[28:29], s[28:29], exec
	v_mov_b32_e32 v15, 0
	s_or_b64 s[24:25], s[24:25], s[28:29]
	s_or_b64 exec, exec, s[26:27]
	s_and_saveexec_b64 s[26:27], s[24:25]
	s_cbranch_execnz .LBB2_644
	s_branch .LBB2_645
.LBB2_822:                              ;   in Loop: Header=BB2_126 Depth=2
	s_or_saveexec_b64 s[28:29], s[28:29]
	v_bfrev_b32_e32 v52, 1
	s_xor_b64 exec, exec, s[28:29]
	s_cbranch_execz .LBB2_673
.LBB2_823:                              ;   in Loop: Header=BB2_126 Depth=2
	v_cmp_ne_u16_e32 vcc, 0, v10
	s_andn2_b64 s[26:27], s[26:27], exec
	s_and_b64 vcc, vcc, exec
	v_mov_b32_e32 v52, 0
	s_or_b64 s[26:27], s[26:27], vcc
	s_or_b64 exec, exec, s[28:29]
	s_and_saveexec_b64 s[28:29], s[26:27]
	s_cbranch_execnz .LBB2_674
	s_branch .LBB2_675
.LBB2_824:                              ;   in Loop: Header=BB2_126 Depth=2
	s_or_saveexec_b64 s[26:27], s[26:27]
	v_bfrev_b32_e32 v14, 1
	s_xor_b64 exec, exec, s[26:27]
	s_cbranch_execz .LBB2_687
.LBB2_825:                              ;   in Loop: Header=BB2_126 Depth=2
	v_cmp_ne_u16_e32 vcc, 0, v10
	s_andn2_b64 s[24:25], s[24:25], exec
	s_and_b64 s[28:29], vcc, exec
	v_mov_b32_e32 v14, 0
	s_or_b64 s[24:25], s[24:25], s[28:29]
	s_or_b64 exec, exec, s[26:27]
	s_and_saveexec_b64 s[26:27], s[24:25]
	s_cbranch_execnz .LBB2_688
	s_branch .LBB2_689
.LBB2_826:                              ;   in Loop: Header=BB2_126 Depth=2
	s_or_saveexec_b64 s[28:29], s[28:29]
	v_bfrev_b32_e32 v36, 1
	s_xor_b64 exec, exec, s[28:29]
	s_cbranch_execz .LBB2_717
.LBB2_827:                              ;   in Loop: Header=BB2_126 Depth=2
	v_cmp_ne_u16_sdwa vcc, v10, v37 src0_sel:BYTE_0 src1_sel:DWORD
	s_andn2_b64 s[26:27], s[26:27], exec
	s_and_b64 vcc, vcc, exec
	v_mov_b32_e32 v36, 0
	s_or_b64 s[26:27], s[26:27], vcc
	s_or_b64 exec, exec, s[28:29]
	s_and_saveexec_b64 s[28:29], s[26:27]
	s_cbranch_execnz .LBB2_718
	s_branch .LBB2_719
.LBB2_828:                              ;   in Loop: Header=BB2_126 Depth=2
	s_or_saveexec_b64 s[26:27], s[26:27]
	v_bfrev_b32_e32 v11, 1
	s_xor_b64 exec, exec, s[26:27]
	s_cbranch_execz .LBB2_731
.LBB2_829:                              ;   in Loop: Header=BB2_126 Depth=2
	v_cmp_ne_u16_sdwa s[28:29], v10, v37 src0_sel:BYTE_0 src1_sel:DWORD
	s_andn2_b64 s[24:25], s[24:25], exec
	s_and_b64 s[28:29], s[28:29], exec
	v_mov_b32_e32 v11, 0
	s_or_b64 s[24:25], s[24:25], s[28:29]
	s_or_b64 exec, exec, s[26:27]
	s_and_saveexec_b64 s[26:27], s[24:25]
	s_cbranch_execnz .LBB2_732
	s_branch .LBB2_733
.LBB2_830:                              ;   in Loop: Header=BB2_49 Depth=1
	s_or_b64 exec, exec, s[94:95]
	buffer_load_dword v35, off, s[0:3], s33 offset:104 ; 4-byte Folded Reload
	buffer_load_dword v52, off, s[0:3], s33 offset:108 ; 4-byte Folded Reload
	buffer_load_dword v40, off, s[0:3], s33 offset:96 ; 4-byte Folded Reload
	buffer_load_dword v16, off, s[0:3], s33 offset:144 ; 4-byte Folded Reload
	buffer_load_dword v17, off, s[0:3], s33 offset:148 ; 4-byte Folded Reload
	buffer_load_dword v18, off, s[0:3], s33 offset:152 ; 4-byte Folded Reload
	buffer_load_dword v19, off, s[0:3], s33 offset:156 ; 4-byte Folded Reload
	buffer_load_dword v10, off, s[0:3], s33 offset:160 ; 4-byte Folded Reload
	v_mov_b32_e32 v53, 1
	v_mov_b32_e32 v54, 0xc8
	;; [unrolled: 1-line block ×3, first 2 shown]
.LBB2_831:                              ;   in Loop: Header=BB2_49 Depth=1
	s_or_b64 exec, exec, s[92:93]
	s_waitcnt vmcnt(5)
	v_and_b32_e32 v0, 15, v40
	s_waitcnt vmcnt(0)
	v_cndmask_b32_e64 v11, v10, v0, s[20:21]
	v_mov_b32_e32 v12, 0
	v_cmp_ne_u32_e32 vcc, 0, v11
	s_mov_b64 s[22:23], 0
                                        ; implicit-def: $vgpr0
	s_and_saveexec_b64 s[28:29], vcc
	s_cbranch_execz .LBB2_1541
; %bb.832:                              ;   in Loop: Header=BB2_49 Depth=1
	buffer_load_dword v1, off, s[0:3], s33 offset:164 ; 4-byte Folded Reload
	v_and_b32_e32 v0, 0x3f0, v40
	v_cndmask_b32_e64 v0, 0, v0, s[20:21]
	v_cmp_lt_i32_e32 vcc, 0, v31
	v_and_or_b32 v12, v40, s65, v0
	v_cndmask_b32_e32 v0, 0, v59, vcc
	v_sub_u32_e32 v0, v0, v31
	s_waitcnt vmcnt(0)
	v_lshl_or_b32 v0, v0, 6, v1
	v_ashrrev_i32_e32 v1, 31, v0
	v_lshrrev_b32_e32 v1, 26, v1
	v_add_u32_e32 v1, v0, v1
	v_ashrrev_i32_e32 v10, 6, v1
	v_and_b32_e32 v1, 0xffffffc0, v1
	v_sub_u32_e32 v13, v0, v1
	v_lshlrev_b32_e32 v0, 4, v13
	v_lshl_add_u32 v0, v10, 10, v0
	v_sub_u32_e32 v1, v11, v0
	v_sub_u32_e32 v31, 0, v10
	v_cmp_lt_i32_e32 vcc, 15, v1
	s_and_saveexec_b64 s[92:93], vcc
	s_cbranch_execz .LBB2_1540
; %bb.833:                              ;   in Loop: Header=BB2_49 Depth=1
	v_add_u32_e32 v0, v0, v12
	buffer_store_dword v13, off, s[0:3], s33 offset:172 ; 4-byte Folded Spill
	buffer_store_dword v11, off, s[0:3], s33 offset:168 ; 4-byte Folded Spill
	;; [unrolled: 1-line block ×4, first 2 shown]
	s_trap 2
	ds_read_b64 v[10:11], v0
	v_add_co_u32_e32 v54, vcc, v0, v18
	buffer_store_dword v18, off, s[0:3], s33 offset:152 ; 4-byte Folded Spill
	s_nop 0
	buffer_store_dword v19, off, s[0:3], s33 offset:156 ; 4-byte Folded Spill
	v_ashrrev_i32_e32 v12, 31, v0
	s_bitcmp1_b32 s48, 0
	s_mov_b64 s[94:95], 0
	s_cselect_b64 s[30:31], -1, 0
	v_addc_co_u32_e32 v55, vcc, v12, v19, vcc
	s_waitcnt lgkmcnt(0)
	v_add_co_u32_e32 v40, vcc, v10, v0
	v_addc_co_u32_e32 v41, vcc, v11, v12, vcc
	v_add_co_u32_e32 v42, vcc, v0, v16
	buffer_store_dword v16, off, s[0:3], s33 offset:144 ; 4-byte Folded Spill
	s_nop 0
	buffer_store_dword v17, off, s[0:3], s33 offset:148 ; 4-byte Folded Spill
	v_addc_co_u32_e32 v43, vcc, v12, v17, vcc
	s_branch .LBB2_835
.LBB2_834:                              ;   in Loop: Header=BB2_835 Depth=2
	s_or_b64 exec, exec, s[20:21]
	v_lshlrev_b32_e32 v15, 24, v59
	buffer_load_dword v59, off, s[0:3], s33 offset:68 ; 4-byte Folded Reload
	v_lshl_or_b32 v0, v0, 8, v47
	v_lshlrev_b32_e32 v11, 16, v46
	v_lshlrev_b32_e32 v12, 24, v30
	v_or3_b32 v12, v0, v11, v12
	v_lshl_or_b32 v0, v35, 8, v34
	v_lshlrev_b32_e32 v11, 16, v50
	v_lshlrev_b32_e32 v13, 24, v51
	v_add_co_u32_e32 v54, vcc, v54, v61
	v_or3_b32 v11, v0, v11, v13
	v_lshl_or_b32 v0, v18, 8, v58
	v_lshlrev_b32_e32 v13, 16, v19
	v_addc_co_u32_e32 v55, vcc, 0, v55, vcc
	v_or3_b32 v13, v0, v13, v15
	v_lshlrev_b32_e32 v0, 24, v10
	v_lshlrev_b32_e32 v10, 16, v14
	v_lshl_or_b32 v14, v45, 8, v44
	v_add_co_u32_e32 v40, vcc, v40, v61
	v_or3_b32 v14, v14, v10, v0
	v_addc_co_u32_e32 v41, vcc, 0, v41, vcc
	global_store_dwordx4 v[42:43], v[11:14], off glc slc
	v_add_co_u32_e32 v42, vcc, v42, v61
	v_addc_co_u32_e32 v43, vcc, 0, v43, vcc
	v_sub_u32_e32 v1, v1, v61
	v_cmp_gt_i32_e32 vcc, 16, v1
	s_or_b64 s[94:95], vcc, s[94:95]
	s_waitcnt vmcnt(1)
	v_sub_u32_e32 v31, v31, v59
	s_andn2_b64 exec, exec, s[94:95]
	s_cbranch_execz .LBB2_1539
.LBB2_835:                              ;   Parent Loop BB2_49 Depth=1
                                        ; =>  This Inner Loop Header: Depth=2
	global_load_dwordx4 v[10:13], v[54:55], off glc slc
	global_load_dwordx4 v[14:17], v[40:41], off glc slc
	s_mov_b64 s[24:25], -1
	s_waitcnt vmcnt(1)
	v_cmp_ne_u16_sdwa s[22:23], v10, v37 src0_sel:BYTE_0 src1_sel:DWORD
	s_waitcnt vmcnt(0)
	v_and_b32_e32 v0, 7, v14
	v_ffbh_u32_e32 v0, v0
	v_and_b32_e32 v18, 0x7f, v14
	v_min_u32_e32 v0, 32, v0
	v_cmp_eq_u32_e64 s[20:21], s53, v18
	v_cmp_gt_u32_e32 vcc, 8, v18
	v_subrev_u32_e32 v18, 28, v0
	v_bfe_u32 v19, v14, 3, 4
	v_sub_u32_e32 v0, 29, v0
	v_cndmask_b32_e32 v18, 0, v18, vcc
	v_cndmask_b32_e32 v0, v19, v0, vcc
	v_lshlrev_b64 v[18:19], v18, v[14:15]
	v_lshlrev_b32_e32 v19, 24, v14
	v_lshlrev_b32_e32 v18, 20, v18
	v_and_b32_e32 v18, 0x700000, v18
	v_and_b32_e32 v19, 0x80000000, v19
	v_lshl_add_u32 v0, v0, 23, v3
	v_or3_b32 v0, v19, v0, v18
	s_and_b64 vcc, exec, s[30:31]
                                        ; implicit-def: $vgpr18
	s_cbranch_vccz .LBB2_849
; %bb.836:                              ;   in Loop: Header=BB2_835 Depth=2
	v_mov_b32_e32 v18, 0
	s_and_saveexec_b64 s[24:25], s[22:23]
	s_cbranch_execz .LBB2_842
; %bb.837:                              ;   in Loop: Header=BB2_835 Depth=2
	v_cmp_ne_u16_sdwa vcc, v10, s55 src0_sel:BYTE_0 src1_sel:DWORD
	v_bfrev_b32_e32 v18, 1
	s_and_saveexec_b64 s[26:27], vcc
	s_cbranch_execz .LBB2_841
; %bb.838:                              ;   in Loop: Header=BB2_835 Depth=2
	v_and_b32_e32 v19, 0x7f, v10
	v_cmp_ne_u32_e32 vcc, s53, v19
	v_mov_b32_e32 v18, 0x7f800001
	s_and_saveexec_b64 s[34:35], vcc
	s_cbranch_execz .LBB2_840
; %bb.839:                              ;   in Loop: Header=BB2_835 Depth=2
	v_and_b32_e32 v18, 7, v10
	v_ffbh_u32_e32 v18, v18
	v_min_u32_e32 v18, 32, v18
	v_lshrrev_b32_e32 v24, 3, v19
	v_cmp_gt_u32_e32 vcc, 8, v19
	v_subrev_u32_e32 v19, 28, v18
	v_sub_u32_e32 v18, 29, v18
	v_cndmask_b32_e32 v24, v24, v18, vcc
	v_cndmask_b32_e32 v18, 0, v19, vcc
	v_lshlrev_b64 v[18:19], v18, v[10:11]
	v_lshlrev_b32_e32 v19, 24, v10
	v_lshlrev_b32_e32 v18, 20, v18
	v_and_b32_e32 v18, 0x700000, v18
	v_and_b32_e32 v19, 0x80000000, v19
	v_lshl_add_u32 v24, v24, 23, v3
	v_or3_b32 v18, v19, v24, v18
.LBB2_840:                              ;   in Loop: Header=BB2_835 Depth=2
	s_or_b64 exec, exec, s[34:35]
.LBB2_841:                              ;   in Loop: Header=BB2_835 Depth=2
	s_or_b64 exec, exec, s[26:27]
.LBB2_842:                              ;   in Loop: Header=BB2_835 Depth=2
	s_or_b64 exec, exec, s[24:25]
	v_cmp_gt_i16_sdwa s[26:27], v14, s53 src0_sel:BYTE_0 src1_sel:DWORD
	s_mov_b64 s[24:25], 0
	s_and_saveexec_b64 vcc, s[26:27]
	s_xor_b64 s[26:27], exec, vcc
	s_cbranch_execz .LBB2_1491
; %bb.843:                              ;   in Loop: Header=BB2_835 Depth=2
	v_cmp_eq_u16_sdwa s[34:35], v14, s55 src0_sel:BYTE_0 src1_sel:DWORD
	s_mov_b64 s[24:25], -1
	s_and_saveexec_b64 vcc, s[34:35]
; %bb.844:                              ;   in Loop: Header=BB2_835 Depth=2
	s_xor_b64 s[24:25], exec, -1
; %bb.845:                              ;   in Loop: Header=BB2_835 Depth=2
	s_or_b64 exec, exec, vcc
	s_and_b64 s[24:25], s[24:25], exec
	s_or_saveexec_b64 s[26:27], s[26:27]
	v_bfrev_b32_e32 v19, 1
	s_xor_b64 exec, exec, s[26:27]
	s_cbranch_execnz .LBB2_1492
.LBB2_846:                              ;   in Loop: Header=BB2_835 Depth=2
	s_or_b64 exec, exec, s[26:27]
	s_and_saveexec_b64 s[26:27], s[24:25]
.LBB2_847:                              ;   in Loop: Header=BB2_835 Depth=2
	v_cndmask_b32_e64 v19, v0, v56, s[20:21]
.LBB2_848:                              ;   in Loop: Header=BB2_835 Depth=2
	s_or_b64 exec, exec, s[26:27]
	v_max_f32_e32 v19, v19, v19
	v_max_f32_e32 v18, v18, v18
	;; [unrolled: 1-line block ×3, first 2 shown]
	s_mov_b64 s[24:25], 0
.LBB2_849:                              ;   in Loop: Header=BB2_835 Depth=2
	s_and_b64 vcc, exec, s[24:25]
	s_cbranch_vccz .LBB2_863
; %bb.850:                              ;   in Loop: Header=BB2_835 Depth=2
	v_mov_b32_e32 v18, 0
	s_and_saveexec_b64 s[24:25], s[22:23]
	s_cbranch_execz .LBB2_856
; %bb.851:                              ;   in Loop: Header=BB2_835 Depth=2
	v_cmp_ne_u16_sdwa s[26:27], v10, s55 src0_sel:BYTE_0 src1_sel:DWORD
	v_bfrev_b32_e32 v18, 1
	s_and_saveexec_b64 s[22:23], s[26:27]
	s_cbranch_execz .LBB2_855
; %bb.852:                              ;   in Loop: Header=BB2_835 Depth=2
	v_and_b32_e32 v19, 0x7f, v10
	v_cmp_ne_u32_e32 vcc, s53, v19
	v_mov_b32_e32 v18, 0x7f800001
	s_and_saveexec_b64 s[26:27], vcc
	s_cbranch_execz .LBB2_854
; %bb.853:                              ;   in Loop: Header=BB2_835 Depth=2
	v_and_b32_e32 v18, 7, v10
	v_ffbh_u32_e32 v18, v18
	v_min_u32_e32 v18, 32, v18
	v_lshrrev_b32_e32 v24, 3, v19
	v_cmp_gt_u32_e32 vcc, 8, v19
	v_subrev_u32_e32 v19, 28, v18
	v_sub_u32_e32 v18, 29, v18
	v_cndmask_b32_e32 v24, v24, v18, vcc
	v_cndmask_b32_e32 v18, 0, v19, vcc
	v_lshlrev_b64 v[18:19], v18, v[10:11]
	v_lshlrev_b32_e32 v19, 24, v10
	v_lshlrev_b32_e32 v18, 20, v18
	v_and_b32_e32 v18, 0x700000, v18
	v_and_b32_e32 v19, 0x80000000, v19
	v_lshl_add_u32 v24, v24, 23, v3
	v_or3_b32 v18, v19, v24, v18
.LBB2_854:                              ;   in Loop: Header=BB2_835 Depth=2
	s_or_b64 exec, exec, s[26:27]
.LBB2_855:                              ;   in Loop: Header=BB2_835 Depth=2
	s_or_b64 exec, exec, s[22:23]
.LBB2_856:                              ;   in Loop: Header=BB2_835 Depth=2
	s_or_b64 exec, exec, s[24:25]
	v_cmp_gt_i16_sdwa s[24:25], v14, s53 src0_sel:BYTE_0 src1_sel:DWORD
	s_mov_b64 s[22:23], 0
	s_and_saveexec_b64 s[26:27], s[24:25]
	s_xor_b64 s[24:25], exec, s[26:27]
	s_cbranch_execz .LBB2_1493
; %bb.857:                              ;   in Loop: Header=BB2_835 Depth=2
	v_cmp_eq_u16_sdwa vcc, v14, s55 src0_sel:BYTE_0 src1_sel:DWORD
	s_mov_b64 s[22:23], -1
	s_and_saveexec_b64 s[26:27], vcc
; %bb.858:                              ;   in Loop: Header=BB2_835 Depth=2
	s_xor_b64 s[22:23], exec, -1
; %bb.859:                              ;   in Loop: Header=BB2_835 Depth=2
	s_or_b64 exec, exec, s[26:27]
	s_and_b64 s[22:23], s[22:23], exec
	s_or_saveexec_b64 s[24:25], s[24:25]
	v_bfrev_b32_e32 v19, 1
	s_xor_b64 exec, exec, s[24:25]
	s_cbranch_execnz .LBB2_1494
.LBB2_860:                              ;   in Loop: Header=BB2_835 Depth=2
	s_or_b64 exec, exec, s[24:25]
	s_and_saveexec_b64 s[24:25], s[22:23]
.LBB2_861:                              ;   in Loop: Header=BB2_835 Depth=2
	v_cndmask_b32_e64 v19, v0, v56, s[20:21]
.LBB2_862:                              ;   in Loop: Header=BB2_835 Depth=2
	s_or_b64 exec, exec, s[24:25]
	v_max_f32_e32 v0, v19, v19
	v_max_f32_e32 v18, v18, v18
	v_min_f32_e32 v18, v18, v0
.LBB2_863:                              ;   in Loop: Header=BB2_835 Depth=2
	v_and_b32_e32 v36, 0x7f800000, v18
	v_cmp_ne_u64_e32 vcc, s[72:73], v[36:37]
                                        ; implicit-def: $vgpr34
	s_and_saveexec_b64 s[20:21], vcc
	s_xor_b64 s[22:23], exec, s[20:21]
	s_cbranch_execz .LBB2_877
; %bb.864:                              ;   in Loop: Header=BB2_835 Depth=2
	v_and_b32_e32 v36, 0x7fffffff, v18
	v_cmp_gt_u64_e32 vcc, s[74:75], v[36:37]
	v_and_b32_sdwa v0, v18, s55 dst_sel:DWORD dst_unused:UNUSED_PAD src0_sel:BYTE_3 src1_sel:DWORD
                                        ; implicit-def: $vgpr34
	s_and_saveexec_b64 s[20:21], vcc
	s_xor_b64 s[24:25], exec, s[20:21]
	s_cbranch_execz .LBB2_874
; %bb.865:                              ;   in Loop: Header=BB2_835 Depth=2
	v_mov_b32_e32 v34, 0
	v_cmp_ne_u32_e32 vcc, 0, v18
	s_and_saveexec_b64 s[26:27], vcc
	s_cbranch_execz .LBB2_873
; %bb.866:                              ;   in Loop: Header=BB2_835 Depth=2
	v_and_b32_e32 v24, 0x7fffff, v18
	v_bfe_u32 v18, v18, 23, 8
	v_cmp_gt_u32_e64 s[20:21], s64, v18
	v_sub_u32_e32 v19, 0x79, v18
	v_cmp_eq_u32_e32 vcc, 0, v18
	v_cndmask_b32_e64 v19, 0, v19, s[20:21]
	v_or_b32_e32 v25, 0x800000, v24
	v_cndmask_b32_e32 v19, v19, v2, vcc
	v_cndmask_b32_e32 v36, v25, v24, vcc
	v_add_u32_e32 v24, 20, v19
	v_lshlrev_b64 v[24:25], v24, -1
	v_add_u32_e32 v30, 19, v19
	v_lshlrev_b64 v[34:35], v30, 1
	v_lshrrev_b64 v[44:45], v19, v[36:37]
	v_bfi_b32 v25, v25, 0, 0
	v_bfi_b32 v24, v24, 0, v36
	v_cmp_eq_u64_e64 s[20:21], v[24:25], v[34:35]
	v_mov_b32_e32 v46, v45
	v_mov_b32_e32 v45, v44
	s_and_saveexec_b64 s[34:35], s[20:21]
; %bb.867:                              ;   in Loop: Header=BB2_835 Depth=2
	v_bfe_u32 v24, v44, 20, 1
	v_add_co_u32_e64 v24, s[20:21], v44, v24
	v_add_co_u32_e64 v45, s[20:21], -1, v24
; %bb.868:                              ;   in Loop: Header=BB2_835 Depth=2
	s_or_b64 exec, exec, s[34:35]
	v_add_u32_e32 v18, 0xffffff81, v18
	v_cndmask_b32_e32 v18, v18, v20, vcc
	v_lshrrev_b32_e32 v24, 23, v44
	v_add3_u32 v30, v19, v18, v24
	v_add_u32_e32 v19, 6, v30
	v_and_b32_e32 v18, 0xfffff, v45
	v_add_u32_e32 v36, v18, v44
	v_cmp_ne_u32_e32 vcc, 0, v19
                                        ; implicit-def: $vgpr44_vgpr45
                                        ; implicit-def: $vgpr18
	s_and_saveexec_b64 s[20:21], vcc
	s_xor_b64 s[20:21], exec, s[20:21]
; %bb.869:                              ;   in Loop: Header=BB2_835 Depth=2
	v_cmp_lt_u64_e32 vcc, s[76:77], v[36:37]
	v_add_u32_e32 v18, 7, v30
	v_cndmask_b32_e32 v18, v19, v18, vcc
	v_cndmask_b32_e64 v19, 0, 1, vcc
	v_lshrrev_b64 v[44:45], v19, v[36:37]
; %bb.870:                              ;   in Loop: Header=BB2_835 Depth=2
	s_andn2_saveexec_b64 s[20:21], s[20:21]
; %bb.871:                              ;   in Loop: Header=BB2_835 Depth=2
	v_mov_b32_e32 v45, v37
	v_bfe_u32 v18, v36, 23, 1
	v_mov_b32_e32 v44, v36
; %bb.872:                              ;   in Loop: Header=BB2_835 Depth=2
	s_or_b64 exec, exec, s[20:21]
	v_lshrrev_b64 v[24:25], 20, v[44:45]
	v_cmp_gt_i32_e32 vcc, 16, v18
	v_cndmask_b32_e32 v25, 0, v25, vcc
	v_cndmask_b32_e32 v24, 7, v24, vcc
	v_cmp_eq_u32_e32 vcc, 0, v18
	v_min_i32_e32 v18, 15, v18
	v_cmp_eq_u64_e64 s[20:21], 0, v[24:25]
	v_lshlrev_b32_e32 v18, 3, v18
	v_and_b32_e32 v18, 0xf8, v18
	v_and_or_b32 v18, v24, 7, v18
	s_and_b64 s[20:21], vcc, s[20:21]
	v_cndmask_b32_e64 v18, v18, 0, s[20:21]
	v_or_b32_e32 v34, v18, v0
.LBB2_873:                              ;   in Loop: Header=BB2_835 Depth=2
	s_or_b64 exec, exec, s[26:27]
                                        ; implicit-def: $vgpr0
.LBB2_874:                              ;   in Loop: Header=BB2_835 Depth=2
	s_andn2_saveexec_b64 s[20:21], s[24:25]
; %bb.875:                              ;   in Loop: Header=BB2_835 Depth=2
	v_or_b32_e32 v34, 0x7e, v0
; %bb.876:                              ;   in Loop: Header=BB2_835 Depth=2
	s_or_b64 exec, exec, s[20:21]
                                        ; implicit-def: $vgpr18
.LBB2_877:                              ;   in Loop: Header=BB2_835 Depth=2
	s_andn2_saveexec_b64 s[20:21], s[22:23]
; %bb.878:                              ;   in Loop: Header=BB2_835 Depth=2
	v_or_b32_sdwa v34, v18, s53 dst_sel:DWORD dst_unused:UNUSED_PAD src0_sel:BYTE_3 src1_sel:DWORD
; %bb.879:                              ;   in Loop: Header=BB2_835 Depth=2
	s_or_b64 exec, exec, s[20:21]
	v_lshrrev_b16_e32 v36, 8, v14
	v_and_b32_e32 v0, 7, v36
	v_and_b32_e32 v18, 0x7f, v36
	v_cmp_eq_u32_e64 s[20:21], s53, v18
	v_cmp_gt_u32_e32 vcc, 8, v18
	v_ffbh_u32_e32 v18, v0
	v_min_u32_e32 v25, 32, v18
	v_subrev_u32_e32 v18, 28, v25
	v_lshlrev_b64 v[18:19], v18, v[36:37]
	v_bfe_u32 v24, v36, 3, 4
	v_sub_u32_e32 v19, 29, v25
	v_and_b32_e32 v18, 7, v18
	v_cndmask_b32_e32 v19, v24, v19, vcc
	v_cndmask_b32_e32 v0, v0, v18, vcc
	v_lshlrev_b32_e32 v18, 24, v36
	v_lshlrev_b32_e32 v0, 20, v0
	v_and_b32_e32 v18, 0x80000000, v18
	v_lshl_add_u32 v19, v19, 23, v3
	v_lshrrev_b16_e32 v30, 8, v10
	v_or3_b32 v0, v18, v19, v0
	v_cmp_ne_u16_e64 s[22:23], 0, v30
	s_mov_b64 s[24:25], -1
	s_and_b64 vcc, exec, s[30:31]
                                        ; implicit-def: $vgpr18
	s_cbranch_vccz .LBB2_893
; %bb.880:                              ;   in Loop: Header=BB2_835 Depth=2
	v_mov_b32_e32 v18, 0
	s_and_saveexec_b64 s[24:25], s[22:23]
	s_cbranch_execz .LBB2_886
; %bb.881:                              ;   in Loop: Header=BB2_835 Depth=2
	v_cmp_ne_u16_e32 vcc, s55, v30
	v_bfrev_b32_e32 v18, 1
	s_and_saveexec_b64 s[26:27], vcc
	s_cbranch_execz .LBB2_885
; %bb.882:                              ;   in Loop: Header=BB2_835 Depth=2
	v_and_b32_e32 v19, 0x7f, v30
	v_cmp_ne_u32_e32 vcc, s53, v19
	v_mov_b32_e32 v18, 0x7f800001
	s_and_saveexec_b64 s[34:35], vcc
	s_cbranch_execz .LBB2_884
; %bb.883:                              ;   in Loop: Header=BB2_835 Depth=2
	v_and_b32_e32 v24, 7, v30
	v_ffbh_u32_e32 v18, v24
	v_min_u32_e32 v35, 32, v18
	v_subrev_u32_e32 v18, 28, v35
	v_lshrrev_b32_e32 v25, 3, v19
	v_cmp_gt_u32_e32 vcc, 8, v19
	v_lshlrev_b64 v[18:19], v18, v[30:31]
	v_sub_u32_e32 v19, 29, v35
	v_and_b32_e32 v18, 7, v18
	v_cndmask_b32_e32 v19, v25, v19, vcc
	v_cndmask_b32_e32 v18, v24, v18, vcc
	v_lshlrev_b32_e32 v24, 16, v10
	v_lshlrev_b32_e32 v18, 20, v18
	v_and_b32_e32 v24, 0x80000000, v24
	v_lshl_add_u32 v19, v19, 23, v3
	v_or3_b32 v18, v24, v19, v18
.LBB2_884:                              ;   in Loop: Header=BB2_835 Depth=2
	s_or_b64 exec, exec, s[34:35]
.LBB2_885:                              ;   in Loop: Header=BB2_835 Depth=2
	s_or_b64 exec, exec, s[26:27]
.LBB2_886:                              ;   in Loop: Header=BB2_835 Depth=2
	s_or_b64 exec, exec, s[24:25]
	v_cmp_lt_i16_e32 vcc, s53, v36
	s_mov_b64 s[24:25], 0
	s_and_saveexec_b64 s[26:27], vcc
	s_xor_b64 s[26:27], exec, s[26:27]
	s_cbranch_execz .LBB2_1495
; %bb.887:                              ;   in Loop: Header=BB2_835 Depth=2
	v_cmp_eq_u16_e32 vcc, s55, v36
	s_mov_b64 s[24:25], -1
	s_and_saveexec_b64 s[34:35], vcc
; %bb.888:                              ;   in Loop: Header=BB2_835 Depth=2
	s_xor_b64 s[24:25], exec, -1
; %bb.889:                              ;   in Loop: Header=BB2_835 Depth=2
	s_or_b64 exec, exec, s[34:35]
	s_and_b64 s[24:25], s[24:25], exec
	s_or_saveexec_b64 s[26:27], s[26:27]
	v_bfrev_b32_e32 v19, 1
	s_xor_b64 exec, exec, s[26:27]
	s_cbranch_execnz .LBB2_1496
.LBB2_890:                              ;   in Loop: Header=BB2_835 Depth=2
	s_or_b64 exec, exec, s[26:27]
	s_and_saveexec_b64 s[26:27], s[24:25]
.LBB2_891:                              ;   in Loop: Header=BB2_835 Depth=2
	v_cndmask_b32_e64 v19, v0, v56, s[20:21]
.LBB2_892:                              ;   in Loop: Header=BB2_835 Depth=2
	s_or_b64 exec, exec, s[26:27]
	v_max_f32_e32 v19, v19, v19
	v_max_f32_e32 v18, v18, v18
	;; [unrolled: 1-line block ×3, first 2 shown]
	s_mov_b64 s[24:25], 0
.LBB2_893:                              ;   in Loop: Header=BB2_835 Depth=2
	s_and_b64 vcc, exec, s[24:25]
	s_cbranch_vccz .LBB2_907
; %bb.894:                              ;   in Loop: Header=BB2_835 Depth=2
	v_mov_b32_e32 v18, 0
	s_and_saveexec_b64 s[24:25], s[22:23]
	s_cbranch_execz .LBB2_900
; %bb.895:                              ;   in Loop: Header=BB2_835 Depth=2
	v_cmp_ne_u16_e32 vcc, s55, v30
	v_bfrev_b32_e32 v18, 1
	s_and_saveexec_b64 s[22:23], vcc
	s_cbranch_execz .LBB2_899
; %bb.896:                              ;   in Loop: Header=BB2_835 Depth=2
	v_and_b32_e32 v19, 0x7f, v30
	v_cmp_ne_u32_e32 vcc, s53, v19
	v_mov_b32_e32 v18, 0x7f800001
	s_and_saveexec_b64 s[26:27], vcc
	s_cbranch_execz .LBB2_898
; %bb.897:                              ;   in Loop: Header=BB2_835 Depth=2
	v_and_b32_e32 v24, 7, v30
	v_ffbh_u32_e32 v18, v24
	v_min_u32_e32 v35, 32, v18
	v_subrev_u32_e32 v18, 28, v35
	v_lshrrev_b32_e32 v25, 3, v19
	v_cmp_gt_u32_e32 vcc, 8, v19
	v_lshlrev_b64 v[18:19], v18, v[30:31]
	v_sub_u32_e32 v19, 29, v35
	v_and_b32_e32 v18, 7, v18
	v_cndmask_b32_e32 v19, v25, v19, vcc
	v_cndmask_b32_e32 v18, v24, v18, vcc
	v_lshlrev_b32_e32 v24, 16, v10
	v_lshlrev_b32_e32 v18, 20, v18
	v_and_b32_e32 v24, 0x80000000, v24
	v_lshl_add_u32 v19, v19, 23, v3
	v_or3_b32 v18, v24, v19, v18
.LBB2_898:                              ;   in Loop: Header=BB2_835 Depth=2
	s_or_b64 exec, exec, s[26:27]
.LBB2_899:                              ;   in Loop: Header=BB2_835 Depth=2
	s_or_b64 exec, exec, s[22:23]
.LBB2_900:                              ;   in Loop: Header=BB2_835 Depth=2
	s_or_b64 exec, exec, s[24:25]
	v_cmp_lt_i16_e32 vcc, s53, v36
	s_mov_b64 s[22:23], 0
	s_and_saveexec_b64 s[24:25], vcc
	s_xor_b64 s[24:25], exec, s[24:25]
	s_cbranch_execz .LBB2_1497
; %bb.901:                              ;   in Loop: Header=BB2_835 Depth=2
	v_cmp_eq_u16_e32 vcc, s55, v36
	s_mov_b64 s[22:23], -1
	s_and_saveexec_b64 s[26:27], vcc
; %bb.902:                              ;   in Loop: Header=BB2_835 Depth=2
	s_xor_b64 s[22:23], exec, -1
; %bb.903:                              ;   in Loop: Header=BB2_835 Depth=2
	s_or_b64 exec, exec, s[26:27]
	s_and_b64 s[22:23], s[22:23], exec
	s_or_saveexec_b64 s[24:25], s[24:25]
	v_bfrev_b32_e32 v19, 1
	s_xor_b64 exec, exec, s[24:25]
	s_cbranch_execnz .LBB2_1498
.LBB2_904:                              ;   in Loop: Header=BB2_835 Depth=2
	s_or_b64 exec, exec, s[24:25]
	s_and_saveexec_b64 s[24:25], s[22:23]
.LBB2_905:                              ;   in Loop: Header=BB2_835 Depth=2
	v_cndmask_b32_e64 v19, v0, v56, s[20:21]
.LBB2_906:                              ;   in Loop: Header=BB2_835 Depth=2
	s_or_b64 exec, exec, s[24:25]
	v_max_f32_e32 v0, v19, v19
	v_max_f32_e32 v18, v18, v18
	v_min_f32_e32 v18, v18, v0
.LBB2_907:                              ;   in Loop: Header=BB2_835 Depth=2
	v_and_b32_e32 v36, 0x7f800000, v18
	v_cmp_ne_u64_e32 vcc, s[72:73], v[36:37]
                                        ; implicit-def: $vgpr35
	s_and_saveexec_b64 s[20:21], vcc
	s_xor_b64 s[22:23], exec, s[20:21]
	s_cbranch_execz .LBB2_921
; %bb.908:                              ;   in Loop: Header=BB2_835 Depth=2
	v_and_b32_e32 v36, 0x7fffffff, v18
	v_cmp_gt_u64_e32 vcc, s[74:75], v[36:37]
	v_and_b32_sdwa v0, v18, s55 dst_sel:DWORD dst_unused:UNUSED_PAD src0_sel:BYTE_3 src1_sel:DWORD
                                        ; implicit-def: $vgpr35
	s_and_saveexec_b64 s[20:21], vcc
	s_xor_b64 s[24:25], exec, s[20:21]
	s_cbranch_execz .LBB2_918
; %bb.909:                              ;   in Loop: Header=BB2_835 Depth=2
	v_mov_b32_e32 v35, 0
	v_cmp_ne_u32_e32 vcc, 0, v18
	s_and_saveexec_b64 s[26:27], vcc
	s_cbranch_execz .LBB2_917
; %bb.910:                              ;   in Loop: Header=BB2_835 Depth=2
	v_and_b32_e32 v24, 0x7fffff, v18
	v_bfe_u32 v18, v18, 23, 8
	v_cmp_gt_u32_e64 s[20:21], s64, v18
	v_sub_u32_e32 v19, 0x79, v18
	v_cmp_eq_u32_e32 vcc, 0, v18
	v_cndmask_b32_e64 v19, 0, v19, s[20:21]
	v_or_b32_e32 v25, 0x800000, v24
	v_cndmask_b32_e32 v19, v19, v2, vcc
	v_cndmask_b32_e32 v36, v25, v24, vcc
	v_add_u32_e32 v24, 20, v19
	v_lshlrev_b64 v[24:25], v24, -1
	v_add_u32_e32 v30, 19, v19
	v_lshlrev_b64 v[50:51], v30, 1
	v_lshrrev_b64 v[44:45], v19, v[36:37]
	v_bfi_b32 v25, v25, 0, 0
	v_bfi_b32 v24, v24, 0, v36
	v_cmp_eq_u64_e64 s[20:21], v[24:25], v[50:51]
	v_mov_b32_e32 v46, v45
	v_mov_b32_e32 v45, v44
	s_and_saveexec_b64 s[34:35], s[20:21]
; %bb.911:                              ;   in Loop: Header=BB2_835 Depth=2
	v_bfe_u32 v24, v44, 20, 1
	v_add_co_u32_e64 v24, s[20:21], v44, v24
	v_add_co_u32_e64 v45, s[20:21], -1, v24
; %bb.912:                              ;   in Loop: Header=BB2_835 Depth=2
	s_or_b64 exec, exec, s[34:35]
	v_add_u32_e32 v18, 0xffffff81, v18
	v_cndmask_b32_e32 v18, v18, v20, vcc
	v_lshrrev_b32_e32 v24, 23, v44
	v_add3_u32 v30, v19, v18, v24
	v_add_u32_e32 v19, 6, v30
	v_and_b32_e32 v18, 0xfffff, v45
	v_add_u32_e32 v36, v18, v44
	v_cmp_ne_u32_e32 vcc, 0, v19
                                        ; implicit-def: $vgpr44_vgpr45
                                        ; implicit-def: $vgpr18
	s_and_saveexec_b64 s[20:21], vcc
	s_xor_b64 s[20:21], exec, s[20:21]
; %bb.913:                              ;   in Loop: Header=BB2_835 Depth=2
	v_cmp_lt_u64_e32 vcc, s[76:77], v[36:37]
	v_add_u32_e32 v18, 7, v30
	v_cndmask_b32_e32 v18, v19, v18, vcc
	v_cndmask_b32_e64 v19, 0, 1, vcc
	v_lshrrev_b64 v[44:45], v19, v[36:37]
; %bb.914:                              ;   in Loop: Header=BB2_835 Depth=2
	s_andn2_saveexec_b64 s[20:21], s[20:21]
; %bb.915:                              ;   in Loop: Header=BB2_835 Depth=2
	v_mov_b32_e32 v45, v37
	v_bfe_u32 v18, v36, 23, 1
	v_mov_b32_e32 v44, v36
; %bb.916:                              ;   in Loop: Header=BB2_835 Depth=2
	s_or_b64 exec, exec, s[20:21]
	v_lshrrev_b64 v[24:25], 20, v[44:45]
	v_cmp_gt_i32_e32 vcc, 16, v18
	v_cndmask_b32_e32 v25, 0, v25, vcc
	v_cndmask_b32_e32 v24, 7, v24, vcc
	v_cmp_eq_u32_e32 vcc, 0, v18
	v_min_i32_e32 v18, 15, v18
	v_cmp_eq_u64_e64 s[20:21], 0, v[24:25]
	v_lshlrev_b32_e32 v18, 3, v18
	v_and_b32_e32 v18, 0xf8, v18
	v_and_or_b32 v18, v24, 7, v18
	s_and_b64 s[20:21], vcc, s[20:21]
	v_cndmask_b32_e64 v18, v18, 0, s[20:21]
	v_or_b32_e32 v35, v18, v0
.LBB2_917:                              ;   in Loop: Header=BB2_835 Depth=2
	s_or_b64 exec, exec, s[26:27]
                                        ; implicit-def: $vgpr0
.LBB2_918:                              ;   in Loop: Header=BB2_835 Depth=2
	s_andn2_saveexec_b64 s[20:21], s[24:25]
; %bb.919:                              ;   in Loop: Header=BB2_835 Depth=2
	v_or_b32_e32 v35, 0x7e, v0
; %bb.920:                              ;   in Loop: Header=BB2_835 Depth=2
	s_or_b64 exec, exec, s[20:21]
                                        ; implicit-def: $vgpr18
.LBB2_921:                              ;   in Loop: Header=BB2_835 Depth=2
	s_andn2_saveexec_b64 s[20:21], s[22:23]
; %bb.922:                              ;   in Loop: Header=BB2_835 Depth=2
	v_or_b32_sdwa v35, v18, s53 dst_sel:DWORD dst_unused:UNUSED_PAD src0_sel:BYTE_3 src1_sel:DWORD
; %bb.923:                              ;   in Loop: Header=BB2_835 Depth=2
	s_or_b64 exec, exec, s[20:21]
	v_bfe_u32 v0, v14, 16, 3
	v_bfe_u32 v18, v14, 16, 7
	v_cmp_eq_u32_e64 s[20:21], s53, v18
	v_cmp_gt_u32_e32 vcc, 8, v18
	v_ffbh_u32_e32 v18, v0
	v_min_u32_e32 v25, 32, v18
	v_lshrrev_b32_e32 v30, 16, v14
	v_subrev_u32_e32 v18, 28, v25
	v_lshlrev_b64 v[18:19], v18, v[30:31]
	v_bfe_u32 v24, v30, 3, 4
	v_sub_u32_e32 v19, 29, v25
	v_and_b32_e32 v18, 7, v18
	v_cndmask_b32_e32 v19, v24, v19, vcc
	v_cndmask_b32_e32 v0, v0, v18, vcc
	v_lshlrev_b32_e32 v18, 8, v14
	v_lshlrev_b32_e32 v0, 20, v0
	v_and_b32_e32 v18, 0x80000000, v18
	v_lshl_add_u32 v19, v19, 23, v3
	v_lshrrev_b32_e32 v36, 16, v10
	v_or3_b32 v0, v18, v19, v0
	v_cmp_ne_u16_sdwa s[22:23], v36, v37 src0_sel:BYTE_0 src1_sel:DWORD
	s_mov_b64 s[24:25], -1
	s_and_b64 vcc, exec, s[30:31]
                                        ; implicit-def: $vgpr18
	s_cbranch_vccz .LBB2_937
; %bb.924:                              ;   in Loop: Header=BB2_835 Depth=2
	v_mov_b32_e32 v18, 0
	s_and_saveexec_b64 s[24:25], s[22:23]
	s_cbranch_execz .LBB2_930
; %bb.925:                              ;   in Loop: Header=BB2_835 Depth=2
	v_cmp_ne_u16_sdwa vcc, v36, s55 src0_sel:BYTE_0 src1_sel:DWORD
	v_bfrev_b32_e32 v18, 1
	s_and_saveexec_b64 s[26:27], vcc
	s_cbranch_execz .LBB2_929
; %bb.926:                              ;   in Loop: Header=BB2_835 Depth=2
	v_bfe_u32 v19, v10, 16, 7
	v_cmp_ne_u32_e32 vcc, s53, v19
	v_mov_b32_e32 v18, 0x7f800001
	s_and_saveexec_b64 s[34:35], vcc
	s_cbranch_execz .LBB2_928
; %bb.927:                              ;   in Loop: Header=BB2_835 Depth=2
	v_and_b32_e32 v24, 7, v36
	v_ffbh_u32_e32 v18, v24
	v_min_u32_e32 v50, 32, v18
	v_subrev_u32_e32 v18, 28, v50
	v_lshrrev_b32_e32 v25, 3, v19
	v_cmp_gt_u32_e32 vcc, 8, v19
	v_lshlrev_b64 v[18:19], v18, v[36:37]
	v_sub_u32_e32 v19, 29, v50
	v_and_b32_e32 v18, 7, v18
	v_cndmask_b32_e32 v19, v25, v19, vcc
	v_cndmask_b32_e32 v18, v24, v18, vcc
	v_lshlrev_b32_e32 v24, 24, v36
	v_lshlrev_b32_e32 v18, 20, v18
	v_and_b32_e32 v24, 0x80000000, v24
	v_lshl_add_u32 v19, v19, 23, v3
	v_or3_b32 v18, v24, v19, v18
.LBB2_928:                              ;   in Loop: Header=BB2_835 Depth=2
	s_or_b64 exec, exec, s[34:35]
.LBB2_929:                              ;   in Loop: Header=BB2_835 Depth=2
	s_or_b64 exec, exec, s[26:27]
.LBB2_930:                              ;   in Loop: Header=BB2_835 Depth=2
	s_or_b64 exec, exec, s[24:25]
	v_cmp_gt_i16_sdwa s[26:27], v30, s53 src0_sel:BYTE_0 src1_sel:DWORD
	s_mov_b64 s[24:25], 0
	s_and_saveexec_b64 vcc, s[26:27]
	s_xor_b64 s[26:27], exec, vcc
	s_cbranch_execz .LBB2_1499
; %bb.931:                              ;   in Loop: Header=BB2_835 Depth=2
	v_cmp_eq_u16_sdwa s[34:35], v30, s55 src0_sel:BYTE_0 src1_sel:DWORD
	s_mov_b64 s[24:25], -1
	s_and_saveexec_b64 vcc, s[34:35]
; %bb.932:                              ;   in Loop: Header=BB2_835 Depth=2
	s_xor_b64 s[24:25], exec, -1
; %bb.933:                              ;   in Loop: Header=BB2_835 Depth=2
	s_or_b64 exec, exec, vcc
	s_and_b64 s[24:25], s[24:25], exec
	s_or_saveexec_b64 s[26:27], s[26:27]
	v_bfrev_b32_e32 v19, 1
	s_xor_b64 exec, exec, s[26:27]
	s_cbranch_execnz .LBB2_1500
.LBB2_934:                              ;   in Loop: Header=BB2_835 Depth=2
	s_or_b64 exec, exec, s[26:27]
	s_and_saveexec_b64 s[26:27], s[24:25]
.LBB2_935:                              ;   in Loop: Header=BB2_835 Depth=2
	v_cndmask_b32_e64 v19, v0, v56, s[20:21]
.LBB2_936:                              ;   in Loop: Header=BB2_835 Depth=2
	s_or_b64 exec, exec, s[26:27]
	v_max_f32_e32 v19, v19, v19
	v_max_f32_e32 v18, v18, v18
	;; [unrolled: 1-line block ×3, first 2 shown]
	s_mov_b64 s[24:25], 0
.LBB2_937:                              ;   in Loop: Header=BB2_835 Depth=2
	s_and_b64 vcc, exec, s[24:25]
	s_cbranch_vccz .LBB2_951
; %bb.938:                              ;   in Loop: Header=BB2_835 Depth=2
	v_mov_b32_e32 v18, 0
	s_and_saveexec_b64 s[24:25], s[22:23]
	s_cbranch_execz .LBB2_944
; %bb.939:                              ;   in Loop: Header=BB2_835 Depth=2
	v_cmp_ne_u16_sdwa s[26:27], v36, s55 src0_sel:BYTE_0 src1_sel:DWORD
	v_bfrev_b32_e32 v18, 1
	s_and_saveexec_b64 s[22:23], s[26:27]
	s_cbranch_execz .LBB2_943
; %bb.940:                              ;   in Loop: Header=BB2_835 Depth=2
	v_bfe_u32 v19, v10, 16, 7
	v_cmp_ne_u32_e32 vcc, s53, v19
	v_mov_b32_e32 v18, 0x7f800001
	s_and_saveexec_b64 s[26:27], vcc
	s_cbranch_execz .LBB2_942
; %bb.941:                              ;   in Loop: Header=BB2_835 Depth=2
	v_and_b32_e32 v24, 7, v36
	v_ffbh_u32_e32 v18, v24
	v_min_u32_e32 v50, 32, v18
	v_subrev_u32_e32 v18, 28, v50
	v_lshrrev_b32_e32 v25, 3, v19
	v_cmp_gt_u32_e32 vcc, 8, v19
	v_lshlrev_b64 v[18:19], v18, v[36:37]
	v_sub_u32_e32 v19, 29, v50
	v_and_b32_e32 v18, 7, v18
	v_cndmask_b32_e32 v19, v25, v19, vcc
	v_cndmask_b32_e32 v18, v24, v18, vcc
	v_lshlrev_b32_e32 v24, 24, v36
	v_lshlrev_b32_e32 v18, 20, v18
	v_and_b32_e32 v24, 0x80000000, v24
	v_lshl_add_u32 v19, v19, 23, v3
	v_or3_b32 v18, v24, v19, v18
.LBB2_942:                              ;   in Loop: Header=BB2_835 Depth=2
	s_or_b64 exec, exec, s[26:27]
.LBB2_943:                              ;   in Loop: Header=BB2_835 Depth=2
	s_or_b64 exec, exec, s[22:23]
.LBB2_944:                              ;   in Loop: Header=BB2_835 Depth=2
	s_or_b64 exec, exec, s[24:25]
	v_cmp_gt_i16_sdwa s[24:25], v30, s53 src0_sel:BYTE_0 src1_sel:DWORD
	s_mov_b64 s[22:23], 0
	s_and_saveexec_b64 s[26:27], s[24:25]
	s_xor_b64 s[24:25], exec, s[26:27]
	s_cbranch_execz .LBB2_1501
; %bb.945:                              ;   in Loop: Header=BB2_835 Depth=2
	v_cmp_eq_u16_sdwa vcc, v30, s55 src0_sel:BYTE_0 src1_sel:DWORD
	s_mov_b64 s[22:23], -1
	s_and_saveexec_b64 s[26:27], vcc
; %bb.946:                              ;   in Loop: Header=BB2_835 Depth=2
	s_xor_b64 s[22:23], exec, -1
; %bb.947:                              ;   in Loop: Header=BB2_835 Depth=2
	s_or_b64 exec, exec, s[26:27]
	s_and_b64 s[22:23], s[22:23], exec
                                        ; implicit-def: $vgpr30
	s_or_saveexec_b64 s[24:25], s[24:25]
	v_bfrev_b32_e32 v19, 1
	s_xor_b64 exec, exec, s[24:25]
	s_cbranch_execnz .LBB2_1502
.LBB2_948:                              ;   in Loop: Header=BB2_835 Depth=2
	s_or_b64 exec, exec, s[24:25]
	s_and_saveexec_b64 s[24:25], s[22:23]
.LBB2_949:                              ;   in Loop: Header=BB2_835 Depth=2
	v_cndmask_b32_e64 v19, v0, v56, s[20:21]
.LBB2_950:                              ;   in Loop: Header=BB2_835 Depth=2
	s_or_b64 exec, exec, s[24:25]
	v_max_f32_e32 v0, v19, v19
	v_max_f32_e32 v18, v18, v18
	v_min_f32_e32 v18, v18, v0
.LBB2_951:                              ;   in Loop: Header=BB2_835 Depth=2
	v_and_b32_e32 v36, 0x7f800000, v18
	v_cmp_ne_u64_e32 vcc, s[72:73], v[36:37]
                                        ; implicit-def: $vgpr50
	s_and_saveexec_b64 s[20:21], vcc
	s_xor_b64 s[22:23], exec, s[20:21]
	s_cbranch_execz .LBB2_965
; %bb.952:                              ;   in Loop: Header=BB2_835 Depth=2
	v_and_b32_e32 v36, 0x7fffffff, v18
	v_cmp_gt_u64_e32 vcc, s[74:75], v[36:37]
	v_and_b32_sdwa v0, v18, s55 dst_sel:DWORD dst_unused:UNUSED_PAD src0_sel:BYTE_3 src1_sel:DWORD
                                        ; implicit-def: $vgpr50
	s_and_saveexec_b64 s[20:21], vcc
	s_xor_b64 s[24:25], exec, s[20:21]
	s_cbranch_execz .LBB2_962
; %bb.953:                              ;   in Loop: Header=BB2_835 Depth=2
	v_mov_b32_e32 v50, 0
	v_cmp_ne_u32_e32 vcc, 0, v18
	s_and_saveexec_b64 s[26:27], vcc
	s_cbranch_execz .LBB2_961
; %bb.954:                              ;   in Loop: Header=BB2_835 Depth=2
	v_and_b32_e32 v24, 0x7fffff, v18
	v_bfe_u32 v18, v18, 23, 8
	v_cmp_gt_u32_e64 s[20:21], s64, v18
	v_sub_u32_e32 v19, 0x79, v18
	v_cmp_eq_u32_e32 vcc, 0, v18
	v_cndmask_b32_e64 v19, 0, v19, s[20:21]
	v_or_b32_e32 v25, 0x800000, v24
	v_cndmask_b32_e32 v19, v19, v2, vcc
	v_cndmask_b32_e32 v36, v25, v24, vcc
	v_add_u32_e32 v24, 20, v19
	v_lshlrev_b64 v[24:25], v24, -1
	v_add_u32_e32 v30, 19, v19
	v_lshlrev_b64 v[50:51], v30, 1
	v_lshrrev_b64 v[44:45], v19, v[36:37]
	v_bfi_b32 v25, v25, 0, 0
	v_bfi_b32 v24, v24, 0, v36
	v_cmp_eq_u64_e64 s[20:21], v[24:25], v[50:51]
	v_mov_b32_e32 v46, v45
	v_mov_b32_e32 v45, v44
	s_and_saveexec_b64 s[34:35], s[20:21]
; %bb.955:                              ;   in Loop: Header=BB2_835 Depth=2
	v_bfe_u32 v24, v44, 20, 1
	v_add_co_u32_e64 v24, s[20:21], v44, v24
	v_add_co_u32_e64 v45, s[20:21], -1, v24
; %bb.956:                              ;   in Loop: Header=BB2_835 Depth=2
	s_or_b64 exec, exec, s[34:35]
	v_add_u32_e32 v18, 0xffffff81, v18
	v_cndmask_b32_e32 v18, v18, v20, vcc
	v_lshrrev_b32_e32 v24, 23, v44
	v_add3_u32 v30, v19, v18, v24
	v_add_u32_e32 v19, 6, v30
	v_and_b32_e32 v18, 0xfffff, v45
	v_add_u32_e32 v36, v18, v44
	v_cmp_ne_u32_e32 vcc, 0, v19
                                        ; implicit-def: $vgpr44_vgpr45
                                        ; implicit-def: $vgpr18
	s_and_saveexec_b64 s[20:21], vcc
	s_xor_b64 s[20:21], exec, s[20:21]
; %bb.957:                              ;   in Loop: Header=BB2_835 Depth=2
	v_cmp_lt_u64_e32 vcc, s[76:77], v[36:37]
	v_add_u32_e32 v18, 7, v30
	v_cndmask_b32_e32 v18, v19, v18, vcc
	v_cndmask_b32_e64 v19, 0, 1, vcc
	v_lshrrev_b64 v[44:45], v19, v[36:37]
; %bb.958:                              ;   in Loop: Header=BB2_835 Depth=2
	s_andn2_saveexec_b64 s[20:21], s[20:21]
; %bb.959:                              ;   in Loop: Header=BB2_835 Depth=2
	v_mov_b32_e32 v45, v37
	v_bfe_u32 v18, v36, 23, 1
	v_mov_b32_e32 v44, v36
; %bb.960:                              ;   in Loop: Header=BB2_835 Depth=2
	s_or_b64 exec, exec, s[20:21]
	v_lshrrev_b64 v[24:25], 20, v[44:45]
	v_cmp_gt_i32_e32 vcc, 16, v18
	v_cndmask_b32_e32 v25, 0, v25, vcc
	v_cndmask_b32_e32 v24, 7, v24, vcc
	v_cmp_eq_u32_e32 vcc, 0, v18
	v_min_i32_e32 v18, 15, v18
	v_cmp_eq_u64_e64 s[20:21], 0, v[24:25]
	v_lshlrev_b32_e32 v18, 3, v18
	v_and_b32_e32 v18, 0xf8, v18
	v_and_or_b32 v18, v24, 7, v18
	s_and_b64 s[20:21], vcc, s[20:21]
	v_cndmask_b32_e64 v18, v18, 0, s[20:21]
	v_or_b32_e32 v50, v18, v0
.LBB2_961:                              ;   in Loop: Header=BB2_835 Depth=2
	s_or_b64 exec, exec, s[26:27]
                                        ; implicit-def: $vgpr0
.LBB2_962:                              ;   in Loop: Header=BB2_835 Depth=2
	s_andn2_saveexec_b64 s[20:21], s[24:25]
; %bb.963:                              ;   in Loop: Header=BB2_835 Depth=2
	v_or_b32_e32 v50, 0x7e, v0
; %bb.964:                              ;   in Loop: Header=BB2_835 Depth=2
	s_or_b64 exec, exec, s[20:21]
                                        ; implicit-def: $vgpr18
.LBB2_965:                              ;   in Loop: Header=BB2_835 Depth=2
	s_andn2_saveexec_b64 s[20:21], s[22:23]
; %bb.966:                              ;   in Loop: Header=BB2_835 Depth=2
	v_or_b32_sdwa v50, v18, s53 dst_sel:DWORD dst_unused:UNUSED_PAD src0_sel:BYTE_3 src1_sel:DWORD
; %bb.967:                              ;   in Loop: Header=BB2_835 Depth=2
	s_or_b64 exec, exec, s[20:21]
	v_bfe_u32 v24, v14, 24, 3
	v_bfe_u32 v18, v14, 24, 7
	v_cmp_eq_u32_e64 s[24:25], s53, v18
	v_cmp_gt_u32_e32 vcc, 8, v18
	v_ffbh_u32_e32 v18, v24
	v_min_u32_e32 v36, 32, v18
	v_lshrrev_b32_e32 v0, 24, v14
	v_subrev_u32_e32 v18, 28, v36
	v_lshlrev_b64 v[18:19], v18, v[0:1]
	v_bfe_u32 v25, v0, 3, 4
	v_cmp_eq_u32_e64 s[22:23], s55, v0
	v_sub_u32_e32 v0, 29, v36
	v_and_b32_e32 v18, 7, v18
	v_cndmask_b32_e32 v0, v25, v0, vcc
	v_cndmask_b32_e32 v18, v24, v18, vcc
	v_lshlrev_b32_e32 v18, 20, v18
	v_and_b32_e32 v19, 0x80000000, v14
	v_lshl_add_u32 v0, v0, 23, v3
	v_lshrrev_b32_e32 v30, 24, v10
	v_cmp_gt_u32_e64 s[20:21], s59, v14
	v_or3_b32 v0, v19, v0, v18
	v_cmp_lt_u32_e64 s[26:27], s79, v10
	s_mov_b64 s[34:35], -1
	s_and_b64 vcc, exec, s[30:31]
                                        ; implicit-def: $vgpr18
	s_cbranch_vccz .LBB2_975
; %bb.968:                              ;   in Loop: Header=BB2_835 Depth=2
	v_mov_b32_e32 v18, 0
	s_and_saveexec_b64 s[34:35], s[26:27]
	s_cbranch_execz .LBB2_974
; %bb.969:                              ;   in Loop: Header=BB2_835 Depth=2
	v_cmp_ne_u32_e32 vcc, s55, v30
	v_bfrev_b32_e32 v18, 1
	s_and_saveexec_b64 s[36:37], vcc
	s_cbranch_execz .LBB2_973
; %bb.970:                              ;   in Loop: Header=BB2_835 Depth=2
	v_bfe_u32 v19, v10, 24, 7
	v_cmp_ne_u32_e32 vcc, s53, v19
	v_mov_b32_e32 v18, 0x7f800001
	s_and_saveexec_b64 s[38:39], vcc
	s_cbranch_execz .LBB2_972
; %bb.971:                              ;   in Loop: Header=BB2_835 Depth=2
	v_and_b32_e32 v24, 7, v30
	v_ffbh_u32_e32 v18, v24
	v_min_u32_e32 v36, 32, v18
	v_subrev_u32_e32 v18, 28, v36
	v_lshrrev_b32_e32 v25, 3, v19
	v_cmp_gt_u32_e32 vcc, 8, v19
	v_lshlrev_b64 v[18:19], v18, v[30:31]
	v_sub_u32_e32 v19, 29, v36
	v_and_b32_e32 v18, 7, v18
	v_cndmask_b32_e32 v19, v25, v19, vcc
	v_cndmask_b32_e32 v18, v24, v18, vcc
	v_lshlrev_b32_e32 v24, 24, v30
	v_lshlrev_b32_e32 v18, 20, v18
	v_and_b32_e32 v24, 0x80000000, v24
	v_lshl_add_u32 v19, v19, 23, v3
	v_or3_b32 v18, v24, v19, v18
.LBB2_972:                              ;   in Loop: Header=BB2_835 Depth=2
	s_or_b64 exec, exec, s[38:39]
.LBB2_973:                              ;   in Loop: Header=BB2_835 Depth=2
	s_or_b64 exec, exec, s[36:37]
.LBB2_974:                              ;   in Loop: Header=BB2_835 Depth=2
	s_or_b64 exec, exec, s[34:35]
	v_cndmask_b32_e64 v19, v0, v56, s[24:25]
	v_cndmask_b32_e64 v19, v19, v21, s[22:23]
	;; [unrolled: 1-line block ×3, first 2 shown]
	v_max_f32_e32 v19, v19, v19
	v_max_f32_e32 v18, v18, v18
	v_max_f32_e32 v18, v18, v19
	s_mov_b64 s[34:35], 0
.LBB2_975:                              ;   in Loop: Header=BB2_835 Depth=2
	s_and_b64 vcc, exec, s[34:35]
	s_cbranch_vccz .LBB2_983
; %bb.976:                              ;   in Loop: Header=BB2_835 Depth=2
	v_mov_b32_e32 v18, 0
	s_and_saveexec_b64 s[34:35], s[26:27]
	s_cbranch_execz .LBB2_982
; %bb.977:                              ;   in Loop: Header=BB2_835 Depth=2
	v_cmp_ne_u32_e32 vcc, s55, v30
	v_bfrev_b32_e32 v18, 1
	s_and_saveexec_b64 s[26:27], vcc
	s_cbranch_execz .LBB2_981
; %bb.978:                              ;   in Loop: Header=BB2_835 Depth=2
	v_bfe_u32 v19, v10, 24, 7
	v_cmp_ne_u32_e32 vcc, s53, v19
	v_mov_b32_e32 v18, 0x7f800001
	s_and_saveexec_b64 s[36:37], vcc
	s_cbranch_execz .LBB2_980
; %bb.979:                              ;   in Loop: Header=BB2_835 Depth=2
	v_and_b32_e32 v24, 7, v30
	v_ffbh_u32_e32 v18, v24
	v_min_u32_e32 v36, 32, v18
	v_subrev_u32_e32 v18, 28, v36
	v_lshrrev_b32_e32 v25, 3, v19
	v_cmp_gt_u32_e32 vcc, 8, v19
	v_lshlrev_b64 v[18:19], v18, v[30:31]
	v_sub_u32_e32 v19, 29, v36
	v_and_b32_e32 v18, 7, v18
	v_cndmask_b32_e32 v19, v25, v19, vcc
	v_cndmask_b32_e32 v18, v24, v18, vcc
	v_lshlrev_b32_e32 v24, 24, v30
	v_lshlrev_b32_e32 v18, 20, v18
	v_and_b32_e32 v24, 0x80000000, v24
	v_lshl_add_u32 v19, v19, 23, v3
	v_or3_b32 v18, v24, v19, v18
.LBB2_980:                              ;   in Loop: Header=BB2_835 Depth=2
	s_or_b64 exec, exec, s[36:37]
.LBB2_981:                              ;   in Loop: Header=BB2_835 Depth=2
	s_or_b64 exec, exec, s[26:27]
.LBB2_982:                              ;   in Loop: Header=BB2_835 Depth=2
	s_or_b64 exec, exec, s[34:35]
	v_cndmask_b32_e64 v0, v0, v56, s[24:25]
	v_cndmask_b32_e64 v0, v0, v21, s[22:23]
	;; [unrolled: 1-line block ×3, first 2 shown]
	v_max_f32_e32 v0, v0, v0
	v_max_f32_e32 v18, v18, v18
	v_min_f32_e32 v18, v18, v0
.LBB2_983:                              ;   in Loop: Header=BB2_835 Depth=2
	v_and_b32_e32 v36, 0x7f800000, v18
	v_cmp_ne_u64_e32 vcc, s[72:73], v[36:37]
                                        ; implicit-def: $vgpr51
	s_and_saveexec_b64 s[20:21], vcc
	s_xor_b64 s[22:23], exec, s[20:21]
	s_cbranch_execz .LBB2_997
; %bb.984:                              ;   in Loop: Header=BB2_835 Depth=2
	v_and_b32_e32 v36, 0x7fffffff, v18
	v_cmp_gt_u64_e32 vcc, s[74:75], v[36:37]
	v_and_b32_sdwa v0, v18, s55 dst_sel:DWORD dst_unused:UNUSED_PAD src0_sel:BYTE_3 src1_sel:DWORD
                                        ; implicit-def: $vgpr51
	s_and_saveexec_b64 s[20:21], vcc
	s_xor_b64 s[24:25], exec, s[20:21]
	s_cbranch_execz .LBB2_994
; %bb.985:                              ;   in Loop: Header=BB2_835 Depth=2
	v_mov_b32_e32 v51, 0
	v_cmp_ne_u32_e32 vcc, 0, v18
	s_and_saveexec_b64 s[26:27], vcc
	s_cbranch_execz .LBB2_993
; %bb.986:                              ;   in Loop: Header=BB2_835 Depth=2
	v_and_b32_e32 v24, 0x7fffff, v18
	v_bfe_u32 v18, v18, 23, 8
	v_cmp_gt_u32_e64 s[20:21], s64, v18
	v_sub_u32_e32 v19, 0x79, v18
	v_cmp_eq_u32_e32 vcc, 0, v18
	v_cndmask_b32_e64 v19, 0, v19, s[20:21]
	v_or_b32_e32 v25, 0x800000, v24
	v_cndmask_b32_e32 v19, v19, v2, vcc
	v_cndmask_b32_e32 v36, v25, v24, vcc
	v_add_u32_e32 v24, 20, v19
	v_lshlrev_b64 v[24:25], v24, -1
	v_add_u32_e32 v30, 19, v19
	v_lshlrev_b64 v[51:52], v30, 1
	v_lshrrev_b64 v[44:45], v19, v[36:37]
	v_bfi_b32 v25, v25, 0, 0
	v_bfi_b32 v24, v24, 0, v36
	v_cmp_eq_u64_e64 s[20:21], v[24:25], v[51:52]
	v_mov_b32_e32 v46, v45
	v_mov_b32_e32 v45, v44
	s_and_saveexec_b64 s[34:35], s[20:21]
; %bb.987:                              ;   in Loop: Header=BB2_835 Depth=2
	v_bfe_u32 v24, v44, 20, 1
	v_add_co_u32_e64 v24, s[20:21], v44, v24
	v_add_co_u32_e64 v45, s[20:21], -1, v24
; %bb.988:                              ;   in Loop: Header=BB2_835 Depth=2
	s_or_b64 exec, exec, s[34:35]
	v_add_u32_e32 v18, 0xffffff81, v18
	v_cndmask_b32_e32 v18, v18, v20, vcc
	v_lshrrev_b32_e32 v24, 23, v44
	v_add3_u32 v30, v19, v18, v24
	v_add_u32_e32 v19, 6, v30
	v_and_b32_e32 v18, 0xfffff, v45
	v_add_u32_e32 v36, v18, v44
	v_cmp_ne_u32_e32 vcc, 0, v19
                                        ; implicit-def: $vgpr44_vgpr45
                                        ; implicit-def: $vgpr18
	s_and_saveexec_b64 s[20:21], vcc
	s_xor_b64 s[20:21], exec, s[20:21]
; %bb.989:                              ;   in Loop: Header=BB2_835 Depth=2
	v_cmp_lt_u64_e32 vcc, s[76:77], v[36:37]
	v_add_u32_e32 v18, 7, v30
	v_cndmask_b32_e32 v18, v19, v18, vcc
	v_cndmask_b32_e64 v19, 0, 1, vcc
	v_lshrrev_b64 v[44:45], v19, v[36:37]
; %bb.990:                              ;   in Loop: Header=BB2_835 Depth=2
	s_andn2_saveexec_b64 s[20:21], s[20:21]
; %bb.991:                              ;   in Loop: Header=BB2_835 Depth=2
	v_mov_b32_e32 v45, v37
	v_bfe_u32 v18, v36, 23, 1
	v_mov_b32_e32 v44, v36
; %bb.992:                              ;   in Loop: Header=BB2_835 Depth=2
	s_or_b64 exec, exec, s[20:21]
	v_lshrrev_b64 v[24:25], 20, v[44:45]
	v_cmp_gt_i32_e32 vcc, 16, v18
	v_cndmask_b32_e32 v25, 0, v25, vcc
	v_cndmask_b32_e32 v24, 7, v24, vcc
	v_cmp_eq_u32_e32 vcc, 0, v18
	v_min_i32_e32 v18, 15, v18
	v_cmp_eq_u64_e64 s[20:21], 0, v[24:25]
	v_lshlrev_b32_e32 v18, 3, v18
	v_and_b32_e32 v18, 0xf8, v18
	v_and_or_b32 v18, v24, 7, v18
	s_and_b64 s[20:21], vcc, s[20:21]
	v_cndmask_b32_e64 v18, v18, 0, s[20:21]
	v_or_b32_e32 v51, v18, v0
.LBB2_993:                              ;   in Loop: Header=BB2_835 Depth=2
	s_or_b64 exec, exec, s[26:27]
                                        ; implicit-def: $vgpr0
.LBB2_994:                              ;   in Loop: Header=BB2_835 Depth=2
	s_andn2_saveexec_b64 s[20:21], s[24:25]
; %bb.995:                              ;   in Loop: Header=BB2_835 Depth=2
	v_or_b32_e32 v51, 0x7e, v0
; %bb.996:                              ;   in Loop: Header=BB2_835 Depth=2
	s_or_b64 exec, exec, s[20:21]
                                        ; implicit-def: $vgpr18
.LBB2_997:                              ;   in Loop: Header=BB2_835 Depth=2
	s_andn2_saveexec_b64 s[20:21], s[22:23]
; %bb.998:                              ;   in Loop: Header=BB2_835 Depth=2
	v_or_b32_sdwa v51, v18, s53 dst_sel:DWORD dst_unused:UNUSED_PAD src0_sel:BYTE_3 src1_sel:DWORD
; %bb.999:                              ;   in Loop: Header=BB2_835 Depth=2
	s_or_b64 exec, exec, s[20:21]
	v_and_b32_e32 v0, 7, v15
	v_ffbh_u32_e32 v0, v0
	v_and_b32_e32 v18, 0x7f, v15
	v_min_u32_e32 v0, 32, v0
	v_cmp_eq_u32_e64 s[20:21], s53, v18
	v_cmp_gt_u32_e32 vcc, 8, v18
	v_subrev_u32_e32 v18, 28, v0
	v_mov_b32_e32 v36, v15
	v_bfe_u32 v19, v15, 3, 4
	v_sub_u32_e32 v0, 29, v0
	v_cndmask_b32_e32 v18, 0, v18, vcc
	v_cndmask_b32_e32 v0, v19, v0, vcc
	v_lshlrev_b64 v[18:19], v18, v[36:37]
	v_lshlrev_b32_e32 v19, 24, v15
	v_lshlrev_b32_e32 v18, 20, v18
	v_and_b32_e32 v18, 0x700000, v18
	v_and_b32_e32 v19, 0x80000000, v19
	v_lshl_add_u32 v0, v0, 23, v3
	v_or3_b32 v0, v19, v0, v18
	v_mov_b32_e32 v44, v11
	v_mov_b32_e32 v45, v37
	v_cmp_ne_u16_sdwa s[22:23], v11, v37 src0_sel:BYTE_0 src1_sel:DWORD
	s_mov_b64 s[24:25], -1
	s_and_b64 vcc, exec, s[30:31]
                                        ; implicit-def: $vgpr18
	s_cbranch_vccz .LBB2_1013
; %bb.1000:                             ;   in Loop: Header=BB2_835 Depth=2
	v_mov_b32_e32 v18, 0
	s_and_saveexec_b64 s[24:25], s[22:23]
	s_cbranch_execz .LBB2_1006
; %bb.1001:                             ;   in Loop: Header=BB2_835 Depth=2
	v_cmp_ne_u16_sdwa vcc, v11, s55 src0_sel:BYTE_0 src1_sel:DWORD
	v_bfrev_b32_e32 v18, 1
	s_and_saveexec_b64 s[26:27], vcc
	s_cbranch_execz .LBB2_1005
; %bb.1002:                             ;   in Loop: Header=BB2_835 Depth=2
	v_and_b32_e32 v19, 0x7f, v11
	v_cmp_ne_u32_e32 vcc, s53, v19
	v_mov_b32_e32 v18, 0x7f800001
	s_and_saveexec_b64 s[34:35], vcc
	s_cbranch_execz .LBB2_1004
; %bb.1003:                             ;   in Loop: Header=BB2_835 Depth=2
	v_and_b32_e32 v18, 7, v11
	v_ffbh_u32_e32 v18, v18
	v_min_u32_e32 v18, 32, v18
	v_lshrrev_b32_e32 v24, 3, v19
	v_cmp_gt_u32_e32 vcc, 8, v19
	v_subrev_u32_e32 v19, 28, v18
	v_sub_u32_e32 v18, 29, v18
	v_cndmask_b32_e32 v24, v24, v18, vcc
	v_cndmask_b32_e32 v18, 0, v19, vcc
	v_lshlrev_b64 v[18:19], v18, v[44:45]
	v_lshlrev_b32_e32 v19, 24, v44
	v_lshlrev_b32_e32 v18, 20, v18
	v_and_b32_e32 v18, 0x700000, v18
	v_and_b32_e32 v19, 0x80000000, v19
	v_lshl_add_u32 v24, v24, 23, v3
	v_or3_b32 v18, v19, v24, v18
.LBB2_1004:                             ;   in Loop: Header=BB2_835 Depth=2
	s_or_b64 exec, exec, s[34:35]
.LBB2_1005:                             ;   in Loop: Header=BB2_835 Depth=2
	s_or_b64 exec, exec, s[26:27]
.LBB2_1006:                             ;   in Loop: Header=BB2_835 Depth=2
	s_or_b64 exec, exec, s[24:25]
	v_cmp_gt_i16_sdwa s[26:27], v15, s53 src0_sel:BYTE_0 src1_sel:DWORD
	s_mov_b64 s[24:25], 0
	s_and_saveexec_b64 vcc, s[26:27]
	s_xor_b64 s[26:27], exec, vcc
	s_cbranch_execz .LBB2_1503
; %bb.1007:                             ;   in Loop: Header=BB2_835 Depth=2
	v_cmp_eq_u16_sdwa s[34:35], v15, s55 src0_sel:BYTE_0 src1_sel:DWORD
	s_mov_b64 s[24:25], -1
	s_and_saveexec_b64 vcc, s[34:35]
; %bb.1008:                             ;   in Loop: Header=BB2_835 Depth=2
	s_xor_b64 s[24:25], exec, -1
; %bb.1009:                             ;   in Loop: Header=BB2_835 Depth=2
	s_or_b64 exec, exec, vcc
	s_and_b64 s[24:25], s[24:25], exec
	s_or_saveexec_b64 s[26:27], s[26:27]
	v_bfrev_b32_e32 v19, 1
	s_xor_b64 exec, exec, s[26:27]
	s_cbranch_execnz .LBB2_1504
.LBB2_1010:                             ;   in Loop: Header=BB2_835 Depth=2
	s_or_b64 exec, exec, s[26:27]
	s_and_saveexec_b64 s[26:27], s[24:25]
.LBB2_1011:                             ;   in Loop: Header=BB2_835 Depth=2
	v_cndmask_b32_e64 v19, v0, v56, s[20:21]
.LBB2_1012:                             ;   in Loop: Header=BB2_835 Depth=2
	s_or_b64 exec, exec, s[26:27]
	v_max_f32_e32 v19, v19, v19
	v_max_f32_e32 v18, v18, v18
	;; [unrolled: 1-line block ×3, first 2 shown]
	s_mov_b64 s[24:25], 0
.LBB2_1013:                             ;   in Loop: Header=BB2_835 Depth=2
	s_and_b64 vcc, exec, s[24:25]
	s_cbranch_vccz .LBB2_1027
; %bb.1014:                             ;   in Loop: Header=BB2_835 Depth=2
	v_mov_b32_e32 v18, 0
	s_and_saveexec_b64 s[24:25], s[22:23]
	s_cbranch_execz .LBB2_1020
; %bb.1015:                             ;   in Loop: Header=BB2_835 Depth=2
	v_cmp_ne_u16_sdwa s[26:27], v11, s55 src0_sel:BYTE_0 src1_sel:DWORD
	v_bfrev_b32_e32 v18, 1
	s_and_saveexec_b64 s[22:23], s[26:27]
	s_cbranch_execz .LBB2_1019
; %bb.1016:                             ;   in Loop: Header=BB2_835 Depth=2
	v_and_b32_e32 v19, 0x7f, v11
	v_cmp_ne_u32_e32 vcc, s53, v19
	v_mov_b32_e32 v18, 0x7f800001
	s_and_saveexec_b64 s[26:27], vcc
	s_cbranch_execz .LBB2_1018
; %bb.1017:                             ;   in Loop: Header=BB2_835 Depth=2
	v_and_b32_e32 v18, 7, v11
	v_ffbh_u32_e32 v18, v18
	v_min_u32_e32 v18, 32, v18
	v_lshrrev_b32_e32 v24, 3, v19
	v_cmp_gt_u32_e32 vcc, 8, v19
	v_subrev_u32_e32 v19, 28, v18
	v_sub_u32_e32 v18, 29, v18
	v_cndmask_b32_e32 v24, v24, v18, vcc
	v_cndmask_b32_e32 v18, 0, v19, vcc
	v_lshlrev_b64 v[18:19], v18, v[44:45]
	v_lshlrev_b32_e32 v19, 24, v44
	v_lshlrev_b32_e32 v18, 20, v18
	v_and_b32_e32 v18, 0x700000, v18
	v_and_b32_e32 v19, 0x80000000, v19
	v_lshl_add_u32 v24, v24, 23, v3
	v_or3_b32 v18, v19, v24, v18
.LBB2_1018:                             ;   in Loop: Header=BB2_835 Depth=2
	s_or_b64 exec, exec, s[26:27]
.LBB2_1019:                             ;   in Loop: Header=BB2_835 Depth=2
	s_or_b64 exec, exec, s[22:23]
.LBB2_1020:                             ;   in Loop: Header=BB2_835 Depth=2
	s_or_b64 exec, exec, s[24:25]
	v_cmp_gt_i16_sdwa s[24:25], v15, s53 src0_sel:BYTE_0 src1_sel:DWORD
	s_mov_b64 s[22:23], 0
	s_and_saveexec_b64 s[26:27], s[24:25]
	s_xor_b64 s[24:25], exec, s[26:27]
	s_cbranch_execz .LBB2_1505
; %bb.1021:                             ;   in Loop: Header=BB2_835 Depth=2
	v_cmp_eq_u16_sdwa vcc, v15, s55 src0_sel:BYTE_0 src1_sel:DWORD
	s_mov_b64 s[22:23], -1
	s_and_saveexec_b64 s[26:27], vcc
; %bb.1022:                             ;   in Loop: Header=BB2_835 Depth=2
	s_xor_b64 s[22:23], exec, -1
; %bb.1023:                             ;   in Loop: Header=BB2_835 Depth=2
	s_or_b64 exec, exec, s[26:27]
	s_and_b64 s[22:23], s[22:23], exec
	s_or_saveexec_b64 s[24:25], s[24:25]
	v_bfrev_b32_e32 v19, 1
	s_xor_b64 exec, exec, s[24:25]
	s_cbranch_execnz .LBB2_1506
.LBB2_1024:                             ;   in Loop: Header=BB2_835 Depth=2
	s_or_b64 exec, exec, s[24:25]
	s_and_saveexec_b64 s[24:25], s[22:23]
.LBB2_1025:                             ;   in Loop: Header=BB2_835 Depth=2
	v_cndmask_b32_e64 v19, v0, v56, s[20:21]
.LBB2_1026:                             ;   in Loop: Header=BB2_835 Depth=2
	s_or_b64 exec, exec, s[24:25]
	v_max_f32_e32 v0, v19, v19
	v_max_f32_e32 v18, v18, v18
	v_min_f32_e32 v18, v18, v0
.LBB2_1027:                             ;   in Loop: Header=BB2_835 Depth=2
	v_and_b32_e32 v24, 0x7f800000, v18
	v_mov_b32_e32 v25, v37
	v_cmp_ne_u64_e32 vcc, s[72:73], v[24:25]
                                        ; implicit-def: $vgpr47
	s_and_saveexec_b64 s[20:21], vcc
	s_xor_b64 s[22:23], exec, s[20:21]
	s_cbranch_execz .LBB2_1041
; %bb.1028:                             ;   in Loop: Header=BB2_835 Depth=2
	v_and_b32_e32 v24, 0x7fffffff, v18
	v_mov_b32_e32 v25, v37
	v_cmp_gt_u64_e32 vcc, s[74:75], v[24:25]
	v_and_b32_sdwa v0, v18, s55 dst_sel:DWORD dst_unused:UNUSED_PAD src0_sel:BYTE_3 src1_sel:DWORD
                                        ; implicit-def: $vgpr47
	s_and_saveexec_b64 s[20:21], vcc
	s_xor_b64 s[24:25], exec, s[20:21]
	s_cbranch_execz .LBB2_1038
; %bb.1029:                             ;   in Loop: Header=BB2_835 Depth=2
	v_mov_b32_e32 v47, 0
	v_cmp_ne_u32_e32 vcc, 0, v18
	s_and_saveexec_b64 s[26:27], vcc
	s_cbranch_execz .LBB2_1037
; %bb.1030:                             ;   in Loop: Header=BB2_835 Depth=2
	v_and_b32_e32 v24, 0x7fffff, v18
	v_bfe_u32 v18, v18, 23, 8
	v_cmp_gt_u32_e64 s[20:21], s64, v18
	v_sub_u32_e32 v19, 0x79, v18
	v_cmp_eq_u32_e32 vcc, 0, v18
	v_cndmask_b32_e64 v19, 0, v19, s[20:21]
	v_cndmask_b32_e32 v19, v19, v2, vcc
	v_add_u32_e32 v30, 20, v19
	v_or_b32_e32 v25, 0x800000, v24
	v_lshlrev_b64 v[52:53], v30, -1
	v_add_u32_e32 v30, 19, v19
	v_cndmask_b32_e32 v24, v25, v24, vcc
	v_lshlrev_b64 v[45:46], v30, 1
	v_mov_b32_e32 v25, v37
	v_bfi_b32 v53, v53, 0, 0
	v_bfi_b32 v52, v52, 0, v24
	v_cmp_eq_u64_e64 s[20:21], v[52:53], v[45:46]
	v_lshrrev_b64 v[45:46], v19, v[24:25]
	v_mov_b32_e32 v47, v46
	v_mov_b32_e32 v46, v45
	s_and_saveexec_b64 s[34:35], s[20:21]
; %bb.1031:                             ;   in Loop: Header=BB2_835 Depth=2
	v_bfe_u32 v24, v45, 20, 1
	v_add_co_u32_e64 v24, s[20:21], v45, v24
	v_add_co_u32_e64 v46, s[20:21], -1, v24
; %bb.1032:                             ;   in Loop: Header=BB2_835 Depth=2
	s_or_b64 exec, exec, s[34:35]
	v_add_u32_e32 v18, 0xffffff81, v18
	v_cndmask_b32_e32 v18, v18, v20, vcc
	v_lshrrev_b32_e32 v24, 23, v45
	v_add3_u32 v30, v19, v18, v24
	v_add_u32_e32 v19, 6, v30
	v_and_b32_e32 v18, 0xfffff, v46
	v_add_u32_e32 v45, v18, v45
	v_mov_b32_e32 v46, v37
	v_cmp_ne_u32_e32 vcc, 0, v19
                                        ; implicit-def: $vgpr18
	s_and_saveexec_b64 s[20:21], vcc
	s_xor_b64 s[20:21], exec, s[20:21]
; %bb.1033:                             ;   in Loop: Header=BB2_835 Depth=2
	v_cmp_lt_u64_e32 vcc, s[76:77], v[45:46]
	v_add_u32_e32 v18, 7, v30
	v_cndmask_b32_e32 v18, v19, v18, vcc
	v_cndmask_b32_e64 v19, 0, 1, vcc
	v_lshrrev_b64 v[45:46], v19, v[45:46]
; %bb.1034:                             ;   in Loop: Header=BB2_835 Depth=2
	s_andn2_saveexec_b64 s[20:21], s[20:21]
; %bb.1035:                             ;   in Loop: Header=BB2_835 Depth=2
	v_bfe_u32 v18, v45, 23, 1
; %bb.1036:                             ;   in Loop: Header=BB2_835 Depth=2
	s_or_b64 exec, exec, s[20:21]
	v_lshrrev_b64 v[24:25], 20, v[45:46]
	v_cmp_gt_i32_e32 vcc, 16, v18
	v_cndmask_b32_e32 v25, 0, v25, vcc
	v_cndmask_b32_e32 v24, 7, v24, vcc
	v_cmp_eq_u32_e32 vcc, 0, v18
	v_min_i32_e32 v18, 15, v18
	v_cmp_eq_u64_e64 s[20:21], 0, v[24:25]
	v_lshlrev_b32_e32 v18, 3, v18
	v_and_b32_e32 v18, 0xf8, v18
	v_and_or_b32 v18, v24, 7, v18
	s_and_b64 s[20:21], vcc, s[20:21]
	v_cndmask_b32_e64 v18, v18, 0, s[20:21]
	v_or_b32_e32 v47, v18, v0
.LBB2_1037:                             ;   in Loop: Header=BB2_835 Depth=2
	s_or_b64 exec, exec, s[26:27]
                                        ; implicit-def: $vgpr0
.LBB2_1038:                             ;   in Loop: Header=BB2_835 Depth=2
	s_andn2_saveexec_b64 s[20:21], s[24:25]
; %bb.1039:                             ;   in Loop: Header=BB2_835 Depth=2
	v_or_b32_e32 v47, 0x7e, v0
; %bb.1040:                             ;   in Loop: Header=BB2_835 Depth=2
	s_or_b64 exec, exec, s[20:21]
                                        ; implicit-def: $vgpr18
.LBB2_1041:                             ;   in Loop: Header=BB2_835 Depth=2
	s_andn2_saveexec_b64 s[20:21], s[22:23]
; %bb.1042:                             ;   in Loop: Header=BB2_835 Depth=2
	v_or_b32_sdwa v47, v18, s53 dst_sel:DWORD dst_unused:UNUSED_PAD src0_sel:BYTE_3 src1_sel:DWORD
; %bb.1043:                             ;   in Loop: Header=BB2_835 Depth=2
	s_or_b64 exec, exec, s[20:21]
	v_lshrrev_b16_e32 v36, 8, v36
	v_and_b32_e32 v0, 7, v36
	v_and_b32_e32 v18, 0x7f, v36
	v_cmp_eq_u32_e64 s[20:21], s53, v18
	v_cmp_gt_u32_e32 vcc, 8, v18
	v_ffbh_u32_e32 v18, v0
	v_min_u32_e32 v25, 32, v18
	v_subrev_u32_e32 v18, 28, v25
	v_lshlrev_b64 v[18:19], v18, v[36:37]
	v_bfe_u32 v24, v36, 3, 4
	v_sub_u32_e32 v19, 29, v25
	v_and_b32_e32 v18, 7, v18
	v_cndmask_b32_e32 v19, v24, v19, vcc
	v_cndmask_b32_e32 v0, v0, v18, vcc
	v_lshlrev_b32_e32 v18, 24, v36
	v_lshrrev_b16_e32 v30, 8, v44
	v_lshlrev_b32_e32 v0, 20, v0
	v_and_b32_e32 v18, 0x80000000, v18
	v_lshl_add_u32 v19, v19, 23, v3
	v_or3_b32 v0, v18, v19, v0
	v_cmp_ne_u16_e64 s[22:23], 0, v30
	s_mov_b64 s[24:25], -1
	s_and_b64 vcc, exec, s[30:31]
                                        ; implicit-def: $vgpr19
	s_cbranch_vccz .LBB2_1057
; %bb.1044:                             ;   in Loop: Header=BB2_835 Depth=2
	v_mov_b32_e32 v18, 0
	s_and_saveexec_b64 s[24:25], s[22:23]
	s_cbranch_execz .LBB2_1050
; %bb.1045:                             ;   in Loop: Header=BB2_835 Depth=2
	v_cmp_ne_u16_e32 vcc, s55, v30
	v_bfrev_b32_e32 v18, 1
	s_and_saveexec_b64 s[26:27], vcc
	s_cbranch_execz .LBB2_1049
; %bb.1046:                             ;   in Loop: Header=BB2_835 Depth=2
	v_and_b32_e32 v19, 0x7f, v30
	v_cmp_ne_u32_e32 vcc, s53, v19
	v_mov_b32_e32 v18, 0x7f800001
	s_and_saveexec_b64 s[34:35], vcc
	s_cbranch_execz .LBB2_1048
; %bb.1047:                             ;   in Loop: Header=BB2_835 Depth=2
	v_and_b32_e32 v24, 7, v30
	v_ffbh_u32_e32 v18, v24
	v_min_u32_e32 v52, 32, v18
	v_subrev_u32_e32 v18, 28, v52
	v_lshrrev_b32_e32 v25, 3, v19
	v_cmp_gt_u32_e32 vcc, 8, v19
	v_lshlrev_b64 v[18:19], v18, v[30:31]
	v_sub_u32_e32 v19, 29, v52
	v_and_b32_e32 v18, 7, v18
	v_cndmask_b32_e32 v19, v25, v19, vcc
	v_cndmask_b32_e32 v18, v24, v18, vcc
	v_lshlrev_b32_e32 v24, 16, v44
	v_lshlrev_b32_e32 v18, 20, v18
	v_and_b32_e32 v24, 0x80000000, v24
	v_lshl_add_u32 v19, v19, 23, v3
	v_or3_b32 v18, v24, v19, v18
.LBB2_1048:                             ;   in Loop: Header=BB2_835 Depth=2
	s_or_b64 exec, exec, s[34:35]
.LBB2_1049:                             ;   in Loop: Header=BB2_835 Depth=2
	s_or_b64 exec, exec, s[26:27]
.LBB2_1050:                             ;   in Loop: Header=BB2_835 Depth=2
	s_or_b64 exec, exec, s[24:25]
	v_cmp_lt_i16_e32 vcc, s53, v36
	s_mov_b64 s[24:25], 0
	s_and_saveexec_b64 s[26:27], vcc
	s_xor_b64 s[26:27], exec, s[26:27]
	s_cbranch_execz .LBB2_1507
; %bb.1051:                             ;   in Loop: Header=BB2_835 Depth=2
	v_cmp_eq_u16_e32 vcc, s55, v36
	s_mov_b64 s[24:25], -1
	s_and_saveexec_b64 s[34:35], vcc
; %bb.1052:                             ;   in Loop: Header=BB2_835 Depth=2
	s_xor_b64 s[24:25], exec, -1
; %bb.1053:                             ;   in Loop: Header=BB2_835 Depth=2
	s_or_b64 exec, exec, s[34:35]
	s_and_b64 s[24:25], s[24:25], exec
	s_or_saveexec_b64 s[26:27], s[26:27]
	v_bfrev_b32_e32 v19, 1
	s_xor_b64 exec, exec, s[26:27]
	s_cbranch_execnz .LBB2_1508
.LBB2_1054:                             ;   in Loop: Header=BB2_835 Depth=2
	s_or_b64 exec, exec, s[26:27]
	s_and_saveexec_b64 s[26:27], s[24:25]
.LBB2_1055:                             ;   in Loop: Header=BB2_835 Depth=2
	v_cndmask_b32_e64 v19, v0, v56, s[20:21]
.LBB2_1056:                             ;   in Loop: Header=BB2_835 Depth=2
	s_or_b64 exec, exec, s[26:27]
	v_max_f32_e32 v19, v19, v19
	v_max_f32_e32 v18, v18, v18
	;; [unrolled: 1-line block ×3, first 2 shown]
	s_mov_b64 s[24:25], 0
.LBB2_1057:                             ;   in Loop: Header=BB2_835 Depth=2
	s_and_b64 vcc, exec, s[24:25]
	s_cbranch_vccz .LBB2_1071
; %bb.1058:                             ;   in Loop: Header=BB2_835 Depth=2
	v_mov_b32_e32 v18, 0
	s_and_saveexec_b64 s[24:25], s[22:23]
	s_cbranch_execz .LBB2_1064
; %bb.1059:                             ;   in Loop: Header=BB2_835 Depth=2
	v_cmp_ne_u16_e32 vcc, s55, v30
	v_bfrev_b32_e32 v18, 1
	s_and_saveexec_b64 s[22:23], vcc
	s_cbranch_execz .LBB2_1063
; %bb.1060:                             ;   in Loop: Header=BB2_835 Depth=2
	v_and_b32_e32 v19, 0x7f, v30
	v_cmp_ne_u32_e32 vcc, s53, v19
	v_mov_b32_e32 v18, 0x7f800001
	s_and_saveexec_b64 s[26:27], vcc
	s_cbranch_execz .LBB2_1062
; %bb.1061:                             ;   in Loop: Header=BB2_835 Depth=2
	v_and_b32_e32 v24, 7, v30
	v_ffbh_u32_e32 v18, v24
	v_min_u32_e32 v52, 32, v18
	v_subrev_u32_e32 v18, 28, v52
	v_lshrrev_b32_e32 v25, 3, v19
	v_cmp_gt_u32_e32 vcc, 8, v19
	v_lshlrev_b64 v[18:19], v18, v[30:31]
	v_sub_u32_e32 v19, 29, v52
	v_and_b32_e32 v18, 7, v18
	v_cndmask_b32_e32 v19, v25, v19, vcc
	v_cndmask_b32_e32 v18, v24, v18, vcc
	v_lshlrev_b32_e32 v24, 16, v44
	v_lshlrev_b32_e32 v18, 20, v18
	v_and_b32_e32 v24, 0x80000000, v24
	v_lshl_add_u32 v19, v19, 23, v3
	v_or3_b32 v18, v24, v19, v18
.LBB2_1062:                             ;   in Loop: Header=BB2_835 Depth=2
	s_or_b64 exec, exec, s[26:27]
.LBB2_1063:                             ;   in Loop: Header=BB2_835 Depth=2
	s_or_b64 exec, exec, s[22:23]
.LBB2_1064:                             ;   in Loop: Header=BB2_835 Depth=2
	s_or_b64 exec, exec, s[24:25]
	v_cmp_lt_i16_e32 vcc, s53, v36
	s_mov_b64 s[22:23], 0
	s_and_saveexec_b64 s[24:25], vcc
	s_xor_b64 s[24:25], exec, s[24:25]
	s_cbranch_execz .LBB2_1509
; %bb.1065:                             ;   in Loop: Header=BB2_835 Depth=2
	v_cmp_eq_u16_e32 vcc, s55, v36
	s_mov_b64 s[22:23], -1
	s_and_saveexec_b64 s[26:27], vcc
; %bb.1066:                             ;   in Loop: Header=BB2_835 Depth=2
	s_xor_b64 s[22:23], exec, -1
; %bb.1067:                             ;   in Loop: Header=BB2_835 Depth=2
	s_or_b64 exec, exec, s[26:27]
	s_and_b64 s[22:23], s[22:23], exec
	s_or_saveexec_b64 s[24:25], s[24:25]
	v_bfrev_b32_e32 v19, 1
	s_xor_b64 exec, exec, s[24:25]
	s_cbranch_execnz .LBB2_1510
.LBB2_1068:                             ;   in Loop: Header=BB2_835 Depth=2
	s_or_b64 exec, exec, s[24:25]
	s_and_saveexec_b64 s[24:25], s[22:23]
.LBB2_1069:                             ;   in Loop: Header=BB2_835 Depth=2
	v_cndmask_b32_e64 v19, v0, v56, s[20:21]
.LBB2_1070:                             ;   in Loop: Header=BB2_835 Depth=2
	s_or_b64 exec, exec, s[24:25]
	v_max_f32_e32 v0, v19, v19
	v_max_f32_e32 v18, v18, v18
	v_min_f32_e32 v19, v18, v0
.LBB2_1071:                             ;   in Loop: Header=BB2_835 Depth=2
	v_and_b32_e32 v36, 0x7f800000, v19
	v_cmp_ne_u64_e32 vcc, s[72:73], v[36:37]
                                        ; implicit-def: $vgpr0
	s_and_saveexec_b64 s[20:21], vcc
	s_xor_b64 s[22:23], exec, s[20:21]
	s_cbranch_execz .LBB2_1085
; %bb.1072:                             ;   in Loop: Header=BB2_835 Depth=2
	v_and_b32_e32 v36, 0x7fffffff, v19
	v_cmp_gt_u64_e32 vcc, s[74:75], v[36:37]
	v_and_b32_sdwa v18, v19, s55 dst_sel:DWORD dst_unused:UNUSED_PAD src0_sel:BYTE_3 src1_sel:DWORD
                                        ; implicit-def: $vgpr0
	s_and_saveexec_b64 s[20:21], vcc
	s_xor_b64 s[24:25], exec, s[20:21]
	s_cbranch_execz .LBB2_1082
; %bb.1073:                             ;   in Loop: Header=BB2_835 Depth=2
	v_mov_b32_e32 v0, 0
	v_cmp_ne_u32_e32 vcc, 0, v19
	s_and_saveexec_b64 s[26:27], vcc
	s_cbranch_execz .LBB2_1081
; %bb.1074:                             ;   in Loop: Header=BB2_835 Depth=2
	v_bfe_u32 v0, v19, 23, 8
	v_and_b32_e32 v24, 0x7fffff, v19
	v_cmp_gt_u32_e64 s[20:21], s64, v0
	v_sub_u32_e32 v19, 0x79, v0
	v_cmp_eq_u32_e32 vcc, 0, v0
	v_cndmask_b32_e64 v19, 0, v19, s[20:21]
	v_or_b32_e32 v25, 0x800000, v24
	v_cndmask_b32_e32 v19, v19, v2, vcc
	v_cndmask_b32_e32 v36, v25, v24, vcc
	v_add_u32_e32 v24, 20, v19
	v_lshlrev_b64 v[24:25], v24, -1
	v_add_u32_e32 v30, 19, v19
	v_lshlrev_b64 v[52:53], v30, 1
	v_lshrrev_b64 v[44:45], v19, v[36:37]
	v_bfi_b32 v25, v25, 0, 0
	v_bfi_b32 v24, v24, 0, v36
	v_cmp_eq_u64_e64 s[20:21], v[24:25], v[52:53]
	v_mov_b32_e32 v46, v45
	v_mov_b32_e32 v45, v44
	s_and_saveexec_b64 s[34:35], s[20:21]
; %bb.1075:                             ;   in Loop: Header=BB2_835 Depth=2
	v_bfe_u32 v24, v44, 20, 1
	v_add_co_u32_e64 v24, s[20:21], v44, v24
	v_add_co_u32_e64 v45, s[20:21], -1, v24
; %bb.1076:                             ;   in Loop: Header=BB2_835 Depth=2
	s_or_b64 exec, exec, s[34:35]
	v_add_u32_e32 v0, 0xffffff81, v0
	v_cndmask_b32_e32 v0, v0, v20, vcc
	v_lshrrev_b32_e32 v24, 23, v44
	v_add3_u32 v30, v19, v0, v24
	v_add_u32_e32 v19, 6, v30
	v_and_b32_e32 v0, 0xfffff, v45
	v_add_u32_e32 v36, v0, v44
	v_cmp_ne_u32_e32 vcc, 0, v19
                                        ; implicit-def: $vgpr44_vgpr45
                                        ; implicit-def: $vgpr0
	s_and_saveexec_b64 s[20:21], vcc
	s_xor_b64 s[20:21], exec, s[20:21]
; %bb.1077:                             ;   in Loop: Header=BB2_835 Depth=2
	v_cmp_lt_u64_e32 vcc, s[76:77], v[36:37]
	v_add_u32_e32 v0, 7, v30
	v_cndmask_b32_e32 v0, v19, v0, vcc
	v_cndmask_b32_e64 v19, 0, 1, vcc
	v_lshrrev_b64 v[44:45], v19, v[36:37]
; %bb.1078:                             ;   in Loop: Header=BB2_835 Depth=2
	s_andn2_saveexec_b64 s[20:21], s[20:21]
; %bb.1079:                             ;   in Loop: Header=BB2_835 Depth=2
	v_mov_b32_e32 v45, v37
	v_bfe_u32 v0, v36, 23, 1
	v_mov_b32_e32 v44, v36
; %bb.1080:                             ;   in Loop: Header=BB2_835 Depth=2
	s_or_b64 exec, exec, s[20:21]
	v_lshrrev_b64 v[24:25], 20, v[44:45]
	v_cmp_gt_i32_e32 vcc, 16, v0
	v_cndmask_b32_e32 v25, 0, v25, vcc
	v_cndmask_b32_e32 v24, 7, v24, vcc
	v_cmp_eq_u32_e32 vcc, 0, v0
	v_min_i32_e32 v0, 15, v0
	v_cmp_eq_u64_e64 s[20:21], 0, v[24:25]
	v_lshlrev_b32_e32 v0, 3, v0
	v_and_b32_e32 v0, 0xf8, v0
	v_and_or_b32 v0, v24, 7, v0
	s_and_b64 s[20:21], vcc, s[20:21]
	v_cndmask_b32_e64 v0, v0, 0, s[20:21]
	v_or_b32_e32 v0, v0, v18
.LBB2_1081:                             ;   in Loop: Header=BB2_835 Depth=2
	s_or_b64 exec, exec, s[26:27]
                                        ; implicit-def: $vgpr18
.LBB2_1082:                             ;   in Loop: Header=BB2_835 Depth=2
	s_andn2_saveexec_b64 s[20:21], s[24:25]
; %bb.1083:                             ;   in Loop: Header=BB2_835 Depth=2
	v_or_b32_e32 v0, 0x7e, v18
; %bb.1084:                             ;   in Loop: Header=BB2_835 Depth=2
	s_or_b64 exec, exec, s[20:21]
                                        ; implicit-def: $vgpr19
.LBB2_1085:                             ;   in Loop: Header=BB2_835 Depth=2
	s_andn2_saveexec_b64 s[20:21], s[22:23]
; %bb.1086:                             ;   in Loop: Header=BB2_835 Depth=2
	v_or_b32_sdwa v0, v19, s53 dst_sel:DWORD dst_unused:UNUSED_PAD src0_sel:BYTE_3 src1_sel:DWORD
; %bb.1087:                             ;   in Loop: Header=BB2_835 Depth=2
	s_or_b64 exec, exec, s[20:21]
	v_bfe_u32 v24, v15, 16, 3
	v_bfe_u32 v18, v15, 16, 7
	v_cmp_eq_u32_e64 s[20:21], s53, v18
	v_cmp_gt_u32_e32 vcc, 8, v18
	v_ffbh_u32_e32 v18, v24
	v_min_u32_e32 v36, 32, v18
	v_lshrrev_b32_e32 v30, 16, v15
	v_subrev_u32_e32 v18, 28, v36
	v_lshlrev_b64 v[18:19], v18, v[30:31]
	v_bfe_u32 v25, v30, 3, 4
	v_sub_u32_e32 v19, 29, v36
	v_and_b32_e32 v18, 7, v18
	v_cndmask_b32_e32 v19, v25, v19, vcc
	v_cndmask_b32_e32 v18, v24, v18, vcc
	v_lshlrev_b32_e32 v24, 8, v15
	v_lshlrev_b32_e32 v18, 20, v18
	v_and_b32_e32 v24, 0x80000000, v24
	v_lshl_add_u32 v19, v19, 23, v3
	v_lshrrev_b32_e32 v36, 16, v11
	v_or3_b32 v18, v24, v19, v18
	v_cmp_ne_u16_sdwa s[22:23], v36, v37 src0_sel:BYTE_0 src1_sel:DWORD
	s_mov_b64 s[24:25], -1
	s_and_b64 vcc, exec, s[30:31]
                                        ; implicit-def: $vgpr19
	s_cbranch_vccz .LBB2_1101
; %bb.1088:                             ;   in Loop: Header=BB2_835 Depth=2
	v_mov_b32_e32 v19, 0
	s_and_saveexec_b64 s[24:25], s[22:23]
	s_cbranch_execz .LBB2_1094
; %bb.1089:                             ;   in Loop: Header=BB2_835 Depth=2
	v_cmp_ne_u16_sdwa vcc, v36, s55 src0_sel:BYTE_0 src1_sel:DWORD
	v_bfrev_b32_e32 v19, 1
	s_and_saveexec_b64 s[26:27], vcc
	s_cbranch_execz .LBB2_1093
; %bb.1090:                             ;   in Loop: Header=BB2_835 Depth=2
	v_bfe_u32 v52, v11, 16, 7
	v_cmp_ne_u32_e32 vcc, s53, v52
	v_mov_b32_e32 v19, 0x7f800001
	s_and_saveexec_b64 s[34:35], vcc
	s_cbranch_execz .LBB2_1092
; %bb.1091:                             ;   in Loop: Header=BB2_835 Depth=2
	v_and_b32_e32 v19, 7, v36
	v_ffbh_u32_e32 v24, v19
	v_lshrrev_b32_e32 v53, 3, v52
	v_cmp_gt_u32_e32 vcc, 8, v52
	v_min_u32_e32 v52, 32, v24
	v_subrev_u32_e32 v24, 28, v52
	v_lshlrev_b64 v[24:25], v24, v[36:37]
	v_sub_u32_e32 v25, 29, v52
	v_and_b32_e32 v24, 7, v24
	v_cndmask_b32_e32 v25, v53, v25, vcc
	v_cndmask_b32_e32 v19, v19, v24, vcc
	v_lshlrev_b32_e32 v24, 24, v36
	v_lshlrev_b32_e32 v19, 20, v19
	v_and_b32_e32 v24, 0x80000000, v24
	v_lshl_add_u32 v25, v25, 23, v3
	v_or3_b32 v19, v24, v25, v19
.LBB2_1092:                             ;   in Loop: Header=BB2_835 Depth=2
	s_or_b64 exec, exec, s[34:35]
.LBB2_1093:                             ;   in Loop: Header=BB2_835 Depth=2
	s_or_b64 exec, exec, s[26:27]
.LBB2_1094:                             ;   in Loop: Header=BB2_835 Depth=2
	s_or_b64 exec, exec, s[24:25]
	v_cmp_gt_i16_sdwa s[26:27], v30, s53 src0_sel:BYTE_0 src1_sel:DWORD
	s_mov_b64 s[24:25], 0
	s_and_saveexec_b64 vcc, s[26:27]
	s_xor_b64 s[26:27], exec, vcc
	s_cbranch_execz .LBB2_1511
; %bb.1095:                             ;   in Loop: Header=BB2_835 Depth=2
	v_cmp_eq_u16_sdwa s[34:35], v30, s55 src0_sel:BYTE_0 src1_sel:DWORD
	s_mov_b64 s[24:25], -1
	s_and_saveexec_b64 vcc, s[34:35]
; %bb.1096:                             ;   in Loop: Header=BB2_835 Depth=2
	s_xor_b64 s[24:25], exec, -1
; %bb.1097:                             ;   in Loop: Header=BB2_835 Depth=2
	s_or_b64 exec, exec, vcc
	s_and_b64 s[24:25], s[24:25], exec
	s_or_saveexec_b64 s[26:27], s[26:27]
	v_bfrev_b32_e32 v52, 1
	s_xor_b64 exec, exec, s[26:27]
	s_cbranch_execnz .LBB2_1512
.LBB2_1098:                             ;   in Loop: Header=BB2_835 Depth=2
	s_or_b64 exec, exec, s[26:27]
	s_and_saveexec_b64 s[26:27], s[24:25]
.LBB2_1099:                             ;   in Loop: Header=BB2_835 Depth=2
	v_cndmask_b32_e64 v52, v18, v56, s[20:21]
.LBB2_1100:                             ;   in Loop: Header=BB2_835 Depth=2
	s_or_b64 exec, exec, s[26:27]
	v_max_f32_e32 v24, v52, v52
	v_max_f32_e32 v19, v19, v19
	;; [unrolled: 1-line block ×3, first 2 shown]
	s_mov_b64 s[24:25], 0
.LBB2_1101:                             ;   in Loop: Header=BB2_835 Depth=2
	s_and_b64 vcc, exec, s[24:25]
	s_cbranch_vccz .LBB2_1115
; %bb.1102:                             ;   in Loop: Header=BB2_835 Depth=2
	v_mov_b32_e32 v19, 0
	s_and_saveexec_b64 s[24:25], s[22:23]
	s_cbranch_execz .LBB2_1108
; %bb.1103:                             ;   in Loop: Header=BB2_835 Depth=2
	v_cmp_ne_u16_sdwa s[26:27], v36, s55 src0_sel:BYTE_0 src1_sel:DWORD
	v_bfrev_b32_e32 v19, 1
	s_and_saveexec_b64 s[22:23], s[26:27]
	s_cbranch_execz .LBB2_1107
; %bb.1104:                             ;   in Loop: Header=BB2_835 Depth=2
	v_bfe_u32 v52, v11, 16, 7
	v_cmp_ne_u32_e32 vcc, s53, v52
	v_mov_b32_e32 v19, 0x7f800001
	s_and_saveexec_b64 s[26:27], vcc
	s_cbranch_execz .LBB2_1106
; %bb.1105:                             ;   in Loop: Header=BB2_835 Depth=2
	v_and_b32_e32 v19, 7, v36
	v_ffbh_u32_e32 v24, v19
	v_lshrrev_b32_e32 v53, 3, v52
	v_cmp_gt_u32_e32 vcc, 8, v52
	v_min_u32_e32 v52, 32, v24
	v_subrev_u32_e32 v24, 28, v52
	v_lshlrev_b64 v[24:25], v24, v[36:37]
	v_sub_u32_e32 v25, 29, v52
	v_and_b32_e32 v24, 7, v24
	v_cndmask_b32_e32 v25, v53, v25, vcc
	v_cndmask_b32_e32 v19, v19, v24, vcc
	v_lshlrev_b32_e32 v24, 24, v36
	v_lshlrev_b32_e32 v19, 20, v19
	v_and_b32_e32 v24, 0x80000000, v24
	v_lshl_add_u32 v25, v25, 23, v3
	v_or3_b32 v19, v24, v25, v19
.LBB2_1106:                             ;   in Loop: Header=BB2_835 Depth=2
	s_or_b64 exec, exec, s[26:27]
.LBB2_1107:                             ;   in Loop: Header=BB2_835 Depth=2
	s_or_b64 exec, exec, s[22:23]
.LBB2_1108:                             ;   in Loop: Header=BB2_835 Depth=2
	s_or_b64 exec, exec, s[24:25]
	v_cmp_gt_i16_sdwa s[24:25], v30, s53 src0_sel:BYTE_0 src1_sel:DWORD
	s_mov_b64 s[22:23], 0
	s_and_saveexec_b64 s[26:27], s[24:25]
	s_xor_b64 s[24:25], exec, s[26:27]
	s_cbranch_execz .LBB2_1513
; %bb.1109:                             ;   in Loop: Header=BB2_835 Depth=2
	v_cmp_eq_u16_sdwa vcc, v30, s55 src0_sel:BYTE_0 src1_sel:DWORD
	s_mov_b64 s[22:23], -1
	s_and_saveexec_b64 s[26:27], vcc
; %bb.1110:                             ;   in Loop: Header=BB2_835 Depth=2
	s_xor_b64 s[22:23], exec, -1
; %bb.1111:                             ;   in Loop: Header=BB2_835 Depth=2
	s_or_b64 exec, exec, s[26:27]
	s_and_b64 s[22:23], s[22:23], exec
                                        ; implicit-def: $vgpr30
	s_or_saveexec_b64 s[24:25], s[24:25]
	v_bfrev_b32_e32 v36, 1
	s_xor_b64 exec, exec, s[24:25]
	s_cbranch_execnz .LBB2_1514
.LBB2_1112:                             ;   in Loop: Header=BB2_835 Depth=2
	s_or_b64 exec, exec, s[24:25]
	s_and_saveexec_b64 s[24:25], s[22:23]
.LBB2_1113:                             ;   in Loop: Header=BB2_835 Depth=2
	v_cndmask_b32_e64 v36, v18, v56, s[20:21]
.LBB2_1114:                             ;   in Loop: Header=BB2_835 Depth=2
	s_or_b64 exec, exec, s[24:25]
	v_max_f32_e32 v18, v36, v36
	v_max_f32_e32 v19, v19, v19
	v_min_f32_e32 v19, v19, v18
.LBB2_1115:                             ;   in Loop: Header=BB2_835 Depth=2
	v_and_b32_e32 v36, 0x7f800000, v19
	v_cmp_ne_u64_e32 vcc, s[72:73], v[36:37]
                                        ; implicit-def: $vgpr46
	s_and_saveexec_b64 s[20:21], vcc
	s_xor_b64 s[22:23], exec, s[20:21]
	s_cbranch_execz .LBB2_1129
; %bb.1116:                             ;   in Loop: Header=BB2_835 Depth=2
	v_and_b32_e32 v36, 0x7fffffff, v19
	v_cmp_gt_u64_e32 vcc, s[74:75], v[36:37]
	v_and_b32_sdwa v18, v19, s55 dst_sel:DWORD dst_unused:UNUSED_PAD src0_sel:BYTE_3 src1_sel:DWORD
                                        ; implicit-def: $vgpr46
	s_and_saveexec_b64 s[20:21], vcc
	s_xor_b64 s[24:25], exec, s[20:21]
	s_cbranch_execz .LBB2_1126
; %bb.1117:                             ;   in Loop: Header=BB2_835 Depth=2
	v_mov_b32_e32 v46, 0
	v_cmp_ne_u32_e32 vcc, 0, v19
	s_and_saveexec_b64 s[26:27], vcc
	s_cbranch_execz .LBB2_1125
; %bb.1118:                             ;   in Loop: Header=BB2_835 Depth=2
	v_and_b32_e32 v24, 0x7fffff, v19
	v_bfe_u32 v19, v19, 23, 8
	v_cmp_gt_u32_e64 s[20:21], s64, v19
	v_sub_u32_e32 v25, 0x79, v19
	v_cmp_eq_u32_e32 vcc, 0, v19
	v_cndmask_b32_e64 v25, 0, v25, s[20:21]
	v_or_b32_e32 v36, 0x800000, v24
	v_cndmask_b32_e32 v30, v25, v2, vcc
	v_cndmask_b32_e32 v36, v36, v24, vcc
	v_add_u32_e32 v24, 20, v30
	v_lshlrev_b64 v[24:25], v24, -1
	v_add_u32_e32 v52, 19, v30
	v_lshlrev_b64 v[52:53], v52, 1
	v_lshrrev_b64 v[44:45], v30, v[36:37]
	v_bfi_b32 v25, v25, 0, 0
	v_bfi_b32 v24, v24, 0, v36
	v_cmp_eq_u64_e64 s[20:21], v[24:25], v[52:53]
	v_mov_b32_e32 v46, v45
	v_mov_b32_e32 v45, v44
	s_and_saveexec_b64 s[34:35], s[20:21]
; %bb.1119:                             ;   in Loop: Header=BB2_835 Depth=2
	v_bfe_u32 v24, v44, 20, 1
	v_add_co_u32_e64 v24, s[20:21], v44, v24
	v_add_co_u32_e64 v45, s[20:21], -1, v24
; %bb.1120:                             ;   in Loop: Header=BB2_835 Depth=2
	s_or_b64 exec, exec, s[34:35]
	v_add_u32_e32 v19, 0xffffff81, v19
	v_cndmask_b32_e32 v19, v19, v20, vcc
	v_lshrrev_b32_e32 v24, 23, v44
	v_add3_u32 v52, v30, v19, v24
	v_add_u32_e32 v30, 6, v52
	v_and_b32_e32 v19, 0xfffff, v45
	v_add_u32_e32 v36, v19, v44
	v_cmp_ne_u32_e32 vcc, 0, v30
                                        ; implicit-def: $vgpr44_vgpr45
                                        ; implicit-def: $vgpr19
	s_and_saveexec_b64 s[20:21], vcc
	s_xor_b64 s[20:21], exec, s[20:21]
; %bb.1121:                             ;   in Loop: Header=BB2_835 Depth=2
	v_cmp_lt_u64_e32 vcc, s[76:77], v[36:37]
	v_add_u32_e32 v19, 7, v52
	v_cndmask_b32_e64 v24, 0, 1, vcc
	v_cndmask_b32_e32 v19, v30, v19, vcc
	v_lshrrev_b64 v[44:45], v24, v[36:37]
; %bb.1122:                             ;   in Loop: Header=BB2_835 Depth=2
	s_andn2_saveexec_b64 s[20:21], s[20:21]
; %bb.1123:                             ;   in Loop: Header=BB2_835 Depth=2
	v_mov_b32_e32 v45, v37
	v_bfe_u32 v19, v36, 23, 1
	v_mov_b32_e32 v44, v36
; %bb.1124:                             ;   in Loop: Header=BB2_835 Depth=2
	s_or_b64 exec, exec, s[20:21]
	v_lshrrev_b64 v[24:25], 20, v[44:45]
	v_cmp_gt_i32_e32 vcc, 16, v19
	v_cndmask_b32_e32 v25, 0, v25, vcc
	v_cndmask_b32_e32 v24, 7, v24, vcc
	v_cmp_eq_u32_e32 vcc, 0, v19
	v_min_i32_e32 v19, 15, v19
	v_cmp_eq_u64_e64 s[20:21], 0, v[24:25]
	v_lshlrev_b32_e32 v19, 3, v19
	v_and_b32_e32 v19, 0xf8, v19
	v_and_or_b32 v19, v24, 7, v19
	s_and_b64 s[20:21], vcc, s[20:21]
	v_cndmask_b32_e64 v19, v19, 0, s[20:21]
	v_or_b32_e32 v46, v19, v18
.LBB2_1125:                             ;   in Loop: Header=BB2_835 Depth=2
	s_or_b64 exec, exec, s[26:27]
                                        ; implicit-def: $vgpr18
.LBB2_1126:                             ;   in Loop: Header=BB2_835 Depth=2
	s_andn2_saveexec_b64 s[20:21], s[24:25]
; %bb.1127:                             ;   in Loop: Header=BB2_835 Depth=2
	v_or_b32_e32 v46, 0x7e, v18
; %bb.1128:                             ;   in Loop: Header=BB2_835 Depth=2
	s_or_b64 exec, exec, s[20:21]
                                        ; implicit-def: $vgpr19
.LBB2_1129:                             ;   in Loop: Header=BB2_835 Depth=2
	s_andn2_saveexec_b64 s[20:21], s[22:23]
; %bb.1130:                             ;   in Loop: Header=BB2_835 Depth=2
	v_or_b32_sdwa v46, v19, s53 dst_sel:DWORD dst_unused:UNUSED_PAD src0_sel:BYTE_3 src1_sel:DWORD
; %bb.1131:                             ;   in Loop: Header=BB2_835 Depth=2
	s_or_b64 exec, exec, s[20:21]
	v_cmp_gt_u64_e64 s[20:21], s[58:59], v[14:15]
	v_bfe_u32 v14, v15, 24, 3
	v_bfe_u32 v19, v15, 24, 7
	v_cmp_eq_u32_e64 s[24:25], s53, v19
	v_cmp_gt_u32_e32 vcc, 8, v19
	v_ffbh_u32_e32 v19, v14
	v_min_u32_e32 v25, 32, v19
	v_lshrrev_b32_e32 v18, 24, v15
	v_subrev_u32_e32 v19, 28, v25
	v_bfe_u32 v24, v18, 3, 4
	v_cmp_eq_u32_e64 s[22:23], s55, v18
	v_lshlrev_b64 v[18:19], v19, v[18:19]
	v_sub_u32_e32 v19, 29, v25
	v_and_b32_e32 v18, 7, v18
	v_cndmask_b32_e32 v19, v24, v19, vcc
	v_cndmask_b32_e32 v14, v14, v18, vcc
	v_lshlrev_b32_e32 v14, 20, v14
	v_and_b32_e32 v15, 0x80000000, v15
	v_lshl_add_u32 v18, v19, 23, v3
	v_cmp_lt_u64_e64 s[26:27], s[78:79], v[10:11]
	v_lshrrev_b32_e32 v30, 24, v11
	v_or3_b32 v14, v15, v18, v14
	s_mov_b64 s[34:35], -1
	s_and_b64 vcc, exec, s[30:31]
                                        ; implicit-def: $vgpr10
	s_cbranch_vccz .LBB2_1139
; %bb.1132:                             ;   in Loop: Header=BB2_835 Depth=2
	v_mov_b32_e32 v10, 0
	s_and_saveexec_b64 s[34:35], s[26:27]
	s_cbranch_execz .LBB2_1138
; %bb.1133:                             ;   in Loop: Header=BB2_835 Depth=2
	v_cmp_ne_u32_e32 vcc, s55, v30
	v_bfrev_b32_e32 v10, 1
	s_and_saveexec_b64 s[36:37], vcc
	s_cbranch_execz .LBB2_1137
; %bb.1134:                             ;   in Loop: Header=BB2_835 Depth=2
	v_bfe_u32 v15, v11, 24, 7
	v_cmp_ne_u32_e32 vcc, s53, v15
	v_mov_b32_e32 v10, 0x7f800001
	s_and_saveexec_b64 s[38:39], vcc
	s_cbranch_execz .LBB2_1136
; %bb.1135:                             ;   in Loop: Header=BB2_835 Depth=2
	v_and_b32_e32 v10, 7, v30
	v_lshrrev_b32_e32 v24, 3, v15
	v_cmp_gt_u32_e32 vcc, 8, v15
	v_ffbh_u32_e32 v15, v10
	v_min_u32_e32 v15, 32, v15
	v_subrev_u32_e32 v18, 28, v15
	v_lshlrev_b64 v[18:19], v18, v[30:31]
	v_sub_u32_e32 v15, 29, v15
	v_and_b32_e32 v18, 7, v18
	v_cndmask_b32_e32 v15, v24, v15, vcc
	v_cndmask_b32_e32 v10, v10, v18, vcc
	v_lshlrev_b32_e32 v18, 24, v30
	v_lshlrev_b32_e32 v10, 20, v10
	v_and_b32_e32 v18, 0x80000000, v18
	v_lshl_add_u32 v15, v15, 23, v3
	v_or3_b32 v10, v18, v15, v10
.LBB2_1136:                             ;   in Loop: Header=BB2_835 Depth=2
	s_or_b64 exec, exec, s[38:39]
.LBB2_1137:                             ;   in Loop: Header=BB2_835 Depth=2
	s_or_b64 exec, exec, s[36:37]
.LBB2_1138:                             ;   in Loop: Header=BB2_835 Depth=2
	s_or_b64 exec, exec, s[34:35]
	v_cndmask_b32_e64 v15, v14, v56, s[24:25]
	v_cndmask_b32_e64 v15, v15, v21, s[22:23]
	;; [unrolled: 1-line block ×3, first 2 shown]
	v_max_f32_e32 v15, v15, v15
	v_max_f32_e32 v10, v10, v10
	;; [unrolled: 1-line block ×3, first 2 shown]
	s_mov_b64 s[34:35], 0
.LBB2_1139:                             ;   in Loop: Header=BB2_835 Depth=2
	s_and_b64 vcc, exec, s[34:35]
	s_cbranch_vccz .LBB2_1147
; %bb.1140:                             ;   in Loop: Header=BB2_835 Depth=2
	v_mov_b32_e32 v10, 0
	s_and_saveexec_b64 s[34:35], s[26:27]
	s_cbranch_execz .LBB2_1146
; %bb.1141:                             ;   in Loop: Header=BB2_835 Depth=2
	v_cmp_ne_u32_e32 vcc, s55, v30
	v_bfrev_b32_e32 v10, 1
	s_and_saveexec_b64 s[26:27], vcc
	s_cbranch_execz .LBB2_1145
; %bb.1142:                             ;   in Loop: Header=BB2_835 Depth=2
	v_bfe_u32 v11, v11, 24, 7
	v_cmp_ne_u32_e32 vcc, s53, v11
	v_mov_b32_e32 v10, 0x7f800001
	s_and_saveexec_b64 s[36:37], vcc
	s_cbranch_execz .LBB2_1144
; %bb.1143:                             ;   in Loop: Header=BB2_835 Depth=2
	v_and_b32_e32 v15, 7, v30
	v_ffbh_u32_e32 v10, v15
	v_min_u32_e32 v19, 32, v10
	v_subrev_u32_e32 v10, 28, v19
	v_lshrrev_b32_e32 v18, 3, v11
	v_cmp_gt_u32_e32 vcc, 8, v11
	v_lshlrev_b64 v[10:11], v10, v[30:31]
	v_sub_u32_e32 v11, 29, v19
	v_and_b32_e32 v10, 7, v10
	v_cndmask_b32_e32 v11, v18, v11, vcc
	v_cndmask_b32_e32 v10, v15, v10, vcc
	v_lshlrev_b32_e32 v15, 24, v30
	v_lshlrev_b32_e32 v10, 20, v10
	v_and_b32_e32 v15, 0x80000000, v15
	v_lshl_add_u32 v11, v11, 23, v3
	v_or3_b32 v10, v15, v11, v10
.LBB2_1144:                             ;   in Loop: Header=BB2_835 Depth=2
	s_or_b64 exec, exec, s[36:37]
.LBB2_1145:                             ;   in Loop: Header=BB2_835 Depth=2
	s_or_b64 exec, exec, s[26:27]
.LBB2_1146:                             ;   in Loop: Header=BB2_835 Depth=2
	s_or_b64 exec, exec, s[34:35]
	v_cndmask_b32_e64 v11, v14, v56, s[24:25]
	v_cndmask_b32_e64 v11, v11, v21, s[22:23]
	;; [unrolled: 1-line block ×3, first 2 shown]
	v_max_f32_e32 v11, v11, v11
	v_max_f32_e32 v10, v10, v10
	v_min_f32_e32 v10, v10, v11
.LBB2_1147:                             ;   in Loop: Header=BB2_835 Depth=2
	v_and_b32_e32 v36, 0x7f800000, v10
	v_cmp_ne_u64_e32 vcc, s[72:73], v[36:37]
                                        ; implicit-def: $vgpr30
	s_and_saveexec_b64 s[20:21], vcc
	s_xor_b64 s[22:23], exec, s[20:21]
	s_cbranch_execz .LBB2_1161
; %bb.1148:                             ;   in Loop: Header=BB2_835 Depth=2
	v_and_b32_e32 v36, 0x7fffffff, v10
	v_cmp_gt_u64_e32 vcc, s[74:75], v[36:37]
	v_and_b32_sdwa v18, v10, s55 dst_sel:DWORD dst_unused:UNUSED_PAD src0_sel:BYTE_3 src1_sel:DWORD
                                        ; implicit-def: $vgpr30
	s_and_saveexec_b64 s[20:21], vcc
	s_xor_b64 s[24:25], exec, s[20:21]
	s_cbranch_execz .LBB2_1158
; %bb.1149:                             ;   in Loop: Header=BB2_835 Depth=2
	v_mov_b32_e32 v30, 0
	v_cmp_ne_u32_e32 vcc, 0, v10
	s_and_saveexec_b64 s[26:27], vcc
	s_cbranch_execz .LBB2_1157
; %bb.1150:                             ;   in Loop: Header=BB2_835 Depth=2
	v_bfe_u32 v19, v10, 23, 8
	v_and_b32_e32 v11, 0x7fffff, v10
	v_cmp_gt_u32_e64 s[20:21], s64, v19
	v_sub_u32_e32 v10, 0x79, v19
	v_cmp_eq_u32_e32 vcc, 0, v19
	v_cndmask_b32_e64 v10, 0, v10, s[20:21]
	v_cndmask_b32_e32 v30, v10, v2, vcc
	v_or_b32_e32 v14, 0x800000, v11
	v_add_u32_e32 v10, 20, v30
	v_cndmask_b32_e32 v36, v14, v11, vcc
	v_lshlrev_b64 v[10:11], v10, -1
	v_add_u32_e32 v14, 19, v30
	v_lshlrev_b64 v[14:15], v14, 1
	v_bfi_b32 v11, v11, 0, 0
	v_bfi_b32 v10, v10, 0, v36
	v_cmp_eq_u64_e64 s[20:21], v[10:11], v[14:15]
	v_lshrrev_b64 v[10:11], v30, v[36:37]
	v_mov_b32_e32 v15, v11
	v_mov_b32_e32 v14, v10
	s_and_saveexec_b64 s[34:35], s[20:21]
; %bb.1151:                             ;   in Loop: Header=BB2_835 Depth=2
	v_bfe_u32 v11, v10, 20, 1
	v_add_co_u32_e64 v11, s[20:21], v10, v11
	v_add_co_u32_e64 v14, s[20:21], -1, v11
; %bb.1152:                             ;   in Loop: Header=BB2_835 Depth=2
	s_or_b64 exec, exec, s[34:35]
	v_add_u32_e32 v11, 0xffffff81, v19
	v_cndmask_b32_e32 v11, v11, v20, vcc
	v_lshrrev_b32_e32 v15, 23, v10
	v_add3_u32 v19, v30, v11, v15
	v_add_u32_e32 v15, 6, v19
	v_and_b32_e32 v11, 0xfffff, v14
	v_add_u32_e32 v36, v11, v10
	v_cmp_ne_u32_e32 vcc, 0, v15
                                        ; implicit-def: $vgpr10_vgpr11
                                        ; implicit-def: $vgpr14
	s_and_saveexec_b64 s[20:21], vcc
	s_xor_b64 s[20:21], exec, s[20:21]
; %bb.1153:                             ;   in Loop: Header=BB2_835 Depth=2
	v_cmp_lt_u64_e32 vcc, s[76:77], v[36:37]
	v_add_u32_e32 v10, 7, v19
	v_cndmask_b32_e32 v14, v15, v10, vcc
	v_cndmask_b32_e64 v10, 0, 1, vcc
	v_lshrrev_b64 v[10:11], v10, v[36:37]
; %bb.1154:                             ;   in Loop: Header=BB2_835 Depth=2
	s_andn2_saveexec_b64 s[20:21], s[20:21]
; %bb.1155:                             ;   in Loop: Header=BB2_835 Depth=2
	v_mov_b32_e32 v10, v36
	v_bfe_u32 v14, v36, 23, 1
	v_mov_b32_e32 v11, v37
; %bb.1156:                             ;   in Loop: Header=BB2_835 Depth=2
	s_or_b64 exec, exec, s[20:21]
	v_lshrrev_b64 v[10:11], 20, v[10:11]
	v_cmp_gt_i32_e32 vcc, 16, v14
	v_cndmask_b32_e32 v11, 0, v11, vcc
	v_cndmask_b32_e32 v10, 7, v10, vcc
	v_cmp_eq_u64_e64 s[20:21], 0, v[10:11]
	v_min_i32_e32 v11, 15, v14
	v_lshlrev_b32_e32 v11, 3, v11
	v_cmp_eq_u32_e32 vcc, 0, v14
	v_and_b32_e32 v11, 0xf8, v11
	v_and_or_b32 v10, v10, 7, v11
	s_and_b64 s[20:21], vcc, s[20:21]
	v_cndmask_b32_e64 v10, v10, 0, s[20:21]
	v_or_b32_e32 v30, v10, v18
.LBB2_1157:                             ;   in Loop: Header=BB2_835 Depth=2
	s_or_b64 exec, exec, s[26:27]
                                        ; implicit-def: $vgpr18
.LBB2_1158:                             ;   in Loop: Header=BB2_835 Depth=2
	s_andn2_saveexec_b64 s[20:21], s[24:25]
; %bb.1159:                             ;   in Loop: Header=BB2_835 Depth=2
	v_or_b32_e32 v30, 0x7e, v18
; %bb.1160:                             ;   in Loop: Header=BB2_835 Depth=2
	s_or_b64 exec, exec, s[20:21]
                                        ; implicit-def: $vgpr10
.LBB2_1161:                             ;   in Loop: Header=BB2_835 Depth=2
	s_andn2_saveexec_b64 s[20:21], s[22:23]
; %bb.1162:                             ;   in Loop: Header=BB2_835 Depth=2
	v_or_b32_sdwa v30, v10, s53 dst_sel:DWORD dst_unused:UNUSED_PAD src0_sel:BYTE_3 src1_sel:DWORD
; %bb.1163:                             ;   in Loop: Header=BB2_835 Depth=2
	s_or_b64 exec, exec, s[20:21]
	v_and_b32_e32 v10, 7, v16
	v_ffbh_u32_e32 v10, v10
	v_and_b32_e32 v11, 0x7f, v16
	v_min_u32_e32 v10, 32, v10
	v_bfe_u32 v14, v16, 3, 4
	v_cmp_eq_u32_e64 s[20:21], s53, v11
	v_cmp_gt_u32_e32 vcc, 8, v11
	v_subrev_u32_e32 v11, 28, v10
	v_sub_u32_e32 v10, 29, v10
	v_cndmask_b32_e32 v14, v14, v10, vcc
	v_cndmask_b32_e32 v10, 0, v11, vcc
	v_lshlrev_b64 v[10:11], v10, v[16:17]
	v_lshlrev_b32_e32 v11, 24, v16
	v_lshlrev_b32_e32 v10, 20, v10
	v_and_b32_e32 v10, 0x700000, v10
	v_and_b32_e32 v11, 0x80000000, v11
	v_lshl_add_u32 v14, v14, 23, v3
	v_or3_b32 v10, v11, v14, v10
	v_cmp_ne_u16_sdwa s[22:23], v12, v37 src0_sel:BYTE_0 src1_sel:DWORD
	s_mov_b64 s[24:25], -1
	s_and_b64 vcc, exec, s[30:31]
                                        ; implicit-def: $vgpr11
	s_cbranch_vccz .LBB2_1177
; %bb.1164:                             ;   in Loop: Header=BB2_835 Depth=2
	v_mov_b32_e32 v11, 0
	s_and_saveexec_b64 s[24:25], s[22:23]
	s_cbranch_execz .LBB2_1170
; %bb.1165:                             ;   in Loop: Header=BB2_835 Depth=2
	v_cmp_ne_u16_sdwa vcc, v12, s55 src0_sel:BYTE_0 src1_sel:DWORD
	v_bfrev_b32_e32 v11, 1
	s_and_saveexec_b64 s[26:27], vcc
	s_cbranch_execz .LBB2_1169
; %bb.1166:                             ;   in Loop: Header=BB2_835 Depth=2
	v_and_b32_e32 v14, 0x7f, v12
	v_cmp_ne_u32_e32 vcc, s53, v14
	v_mov_b32_e32 v11, 0x7f800001
	s_and_saveexec_b64 s[34:35], vcc
	s_cbranch_execz .LBB2_1168
; %bb.1167:                             ;   in Loop: Header=BB2_835 Depth=2
	v_and_b32_e32 v11, 7, v12
	v_ffbh_u32_e32 v11, v11
	v_min_u32_e32 v11, 32, v11
	v_lshrrev_b32_e32 v15, 3, v14
	v_cmp_gt_u32_e32 vcc, 8, v14
	v_subrev_u32_e32 v14, 28, v11
	v_sub_u32_e32 v11, 29, v11
	v_cndmask_b32_e32 v14, 0, v14, vcc
	v_cndmask_b32_e32 v11, v15, v11, vcc
	v_lshlrev_b64 v[14:15], v14, v[12:13]
	v_lshlrev_b32_e32 v15, 24, v12
	v_lshlrev_b32_e32 v14, 20, v14
	v_and_b32_e32 v14, 0x700000, v14
	v_and_b32_e32 v15, 0x80000000, v15
	v_lshl_add_u32 v11, v11, 23, v3
	v_or3_b32 v11, v15, v11, v14
.LBB2_1168:                             ;   in Loop: Header=BB2_835 Depth=2
	s_or_b64 exec, exec, s[34:35]
.LBB2_1169:                             ;   in Loop: Header=BB2_835 Depth=2
	s_or_b64 exec, exec, s[26:27]
.LBB2_1170:                             ;   in Loop: Header=BB2_835 Depth=2
	s_or_b64 exec, exec, s[24:25]
	v_cmp_gt_i16_sdwa s[26:27], v16, s53 src0_sel:BYTE_0 src1_sel:DWORD
	s_mov_b64 s[24:25], 0
	s_and_saveexec_b64 vcc, s[26:27]
	s_xor_b64 s[26:27], exec, vcc
	s_cbranch_execz .LBB2_1515
; %bb.1171:                             ;   in Loop: Header=BB2_835 Depth=2
	v_cmp_eq_u16_sdwa s[34:35], v16, s55 src0_sel:BYTE_0 src1_sel:DWORD
	s_mov_b64 s[24:25], -1
	s_and_saveexec_b64 vcc, s[34:35]
; %bb.1172:                             ;   in Loop: Header=BB2_835 Depth=2
	s_xor_b64 s[24:25], exec, -1
; %bb.1173:                             ;   in Loop: Header=BB2_835 Depth=2
	s_or_b64 exec, exec, vcc
	s_and_b64 s[24:25], s[24:25], exec
	s_or_saveexec_b64 s[26:27], s[26:27]
	v_bfrev_b32_e32 v14, 1
	s_xor_b64 exec, exec, s[26:27]
	s_cbranch_execnz .LBB2_1516
.LBB2_1174:                             ;   in Loop: Header=BB2_835 Depth=2
	s_or_b64 exec, exec, s[26:27]
	s_and_saveexec_b64 s[26:27], s[24:25]
.LBB2_1175:                             ;   in Loop: Header=BB2_835 Depth=2
	v_cndmask_b32_e64 v14, v10, v56, s[20:21]
.LBB2_1176:                             ;   in Loop: Header=BB2_835 Depth=2
	s_or_b64 exec, exec, s[26:27]
	v_max_f32_e32 v14, v14, v14
	v_max_f32_e32 v11, v11, v11
	;; [unrolled: 1-line block ×3, first 2 shown]
	s_mov_b64 s[24:25], 0
.LBB2_1177:                             ;   in Loop: Header=BB2_835 Depth=2
	s_and_b64 vcc, exec, s[24:25]
	s_cbranch_vccz .LBB2_1191
; %bb.1178:                             ;   in Loop: Header=BB2_835 Depth=2
	v_mov_b32_e32 v11, 0
	s_and_saveexec_b64 s[24:25], s[22:23]
	s_cbranch_execz .LBB2_1184
; %bb.1179:                             ;   in Loop: Header=BB2_835 Depth=2
	v_cmp_ne_u16_sdwa s[26:27], v12, s55 src0_sel:BYTE_0 src1_sel:DWORD
	v_bfrev_b32_e32 v11, 1
	s_and_saveexec_b64 s[22:23], s[26:27]
	s_cbranch_execz .LBB2_1183
; %bb.1180:                             ;   in Loop: Header=BB2_835 Depth=2
	v_and_b32_e32 v14, 0x7f, v12
	v_cmp_ne_u32_e32 vcc, s53, v14
	v_mov_b32_e32 v11, 0x7f800001
	s_and_saveexec_b64 s[26:27], vcc
	s_cbranch_execz .LBB2_1182
; %bb.1181:                             ;   in Loop: Header=BB2_835 Depth=2
	v_and_b32_e32 v11, 7, v12
	v_ffbh_u32_e32 v11, v11
	v_min_u32_e32 v11, 32, v11
	v_lshrrev_b32_e32 v15, 3, v14
	v_cmp_gt_u32_e32 vcc, 8, v14
	v_subrev_u32_e32 v14, 28, v11
	v_sub_u32_e32 v11, 29, v11
	v_cndmask_b32_e32 v14, 0, v14, vcc
	v_cndmask_b32_e32 v11, v15, v11, vcc
	v_lshlrev_b64 v[14:15], v14, v[12:13]
	v_lshlrev_b32_e32 v15, 24, v12
	v_lshlrev_b32_e32 v14, 20, v14
	v_and_b32_e32 v14, 0x700000, v14
	v_and_b32_e32 v15, 0x80000000, v15
	v_lshl_add_u32 v11, v11, 23, v3
	v_or3_b32 v11, v15, v11, v14
.LBB2_1182:                             ;   in Loop: Header=BB2_835 Depth=2
	s_or_b64 exec, exec, s[26:27]
.LBB2_1183:                             ;   in Loop: Header=BB2_835 Depth=2
	s_or_b64 exec, exec, s[22:23]
.LBB2_1184:                             ;   in Loop: Header=BB2_835 Depth=2
	s_or_b64 exec, exec, s[24:25]
	v_cmp_gt_i16_sdwa s[24:25], v16, s53 src0_sel:BYTE_0 src1_sel:DWORD
	s_mov_b64 s[22:23], 0
	s_and_saveexec_b64 s[26:27], s[24:25]
	s_xor_b64 s[24:25], exec, s[26:27]
	s_cbranch_execz .LBB2_1517
; %bb.1185:                             ;   in Loop: Header=BB2_835 Depth=2
	v_cmp_eq_u16_sdwa vcc, v16, s55 src0_sel:BYTE_0 src1_sel:DWORD
	s_mov_b64 s[22:23], -1
	s_and_saveexec_b64 s[26:27], vcc
; %bb.1186:                             ;   in Loop: Header=BB2_835 Depth=2
	s_xor_b64 s[22:23], exec, -1
; %bb.1187:                             ;   in Loop: Header=BB2_835 Depth=2
	s_or_b64 exec, exec, s[26:27]
	s_and_b64 s[22:23], s[22:23], exec
	s_or_saveexec_b64 s[24:25], s[24:25]
	v_bfrev_b32_e32 v14, 1
	s_xor_b64 exec, exec, s[24:25]
	s_cbranch_execnz .LBB2_1518
.LBB2_1188:                             ;   in Loop: Header=BB2_835 Depth=2
	s_or_b64 exec, exec, s[24:25]
	s_and_saveexec_b64 s[24:25], s[22:23]
.LBB2_1189:                             ;   in Loop: Header=BB2_835 Depth=2
	v_cndmask_b32_e64 v14, v10, v56, s[20:21]
.LBB2_1190:                             ;   in Loop: Header=BB2_835 Depth=2
	s_or_b64 exec, exec, s[24:25]
	v_max_f32_e32 v10, v14, v14
	v_max_f32_e32 v11, v11, v11
	v_min_f32_e32 v11, v11, v10
.LBB2_1191:                             ;   in Loop: Header=BB2_835 Depth=2
	v_and_b32_e32 v36, 0x7f800000, v11
	v_cmp_ne_u64_e32 vcc, s[72:73], v[36:37]
                                        ; implicit-def: $vgpr58
	s_and_saveexec_b64 s[20:21], vcc
	s_xor_b64 s[22:23], exec, s[20:21]
	s_cbranch_execz .LBB2_1205
; %bb.1192:                             ;   in Loop: Header=BB2_835 Depth=2
	v_and_b32_e32 v36, 0x7fffffff, v11
	v_cmp_gt_u64_e32 vcc, s[74:75], v[36:37]
	v_and_b32_sdwa v18, v11, s55 dst_sel:DWORD dst_unused:UNUSED_PAD src0_sel:BYTE_3 src1_sel:DWORD
                                        ; implicit-def: $vgpr58
	s_and_saveexec_b64 s[20:21], vcc
	s_xor_b64 s[24:25], exec, s[20:21]
	s_cbranch_execz .LBB2_1202
; %bb.1193:                             ;   in Loop: Header=BB2_835 Depth=2
	v_mov_b32_e32 v58, 0
	v_cmp_ne_u32_e32 vcc, 0, v11
	s_and_saveexec_b64 s[26:27], vcc
	s_cbranch_execz .LBB2_1201
; %bb.1194:                             ;   in Loop: Header=BB2_835 Depth=2
	v_bfe_u32 v19, v11, 23, 8
	v_and_b32_e32 v10, 0x7fffff, v11
	v_cmp_gt_u32_e64 s[20:21], s64, v19
	v_sub_u32_e32 v11, 0x79, v19
	v_cmp_eq_u32_e32 vcc, 0, v19
	v_cndmask_b32_e64 v11, 0, v11, s[20:21]
	v_or_b32_e32 v14, 0x800000, v10
	v_cndmask_b32_e32 v52, v11, v2, vcc
	v_cndmask_b32_e32 v36, v14, v10, vcc
	v_add_u32_e32 v10, 20, v52
	v_lshlrev_b64 v[10:11], v10, -1
	v_add_u32_e32 v14, 19, v52
	v_lshlrev_b64 v[14:15], v14, 1
	v_bfi_b32 v11, v11, 0, 0
	v_bfi_b32 v10, v10, 0, v36
	v_cmp_eq_u64_e64 s[20:21], v[10:11], v[14:15]
	v_lshrrev_b64 v[10:11], v52, v[36:37]
	v_mov_b32_e32 v15, v11
	v_mov_b32_e32 v14, v10
	s_and_saveexec_b64 s[34:35], s[20:21]
; %bb.1195:                             ;   in Loop: Header=BB2_835 Depth=2
	v_bfe_u32 v11, v10, 20, 1
	v_add_co_u32_e64 v11, s[20:21], v10, v11
	v_add_co_u32_e64 v14, s[20:21], -1, v11
; %bb.1196:                             ;   in Loop: Header=BB2_835 Depth=2
	s_or_b64 exec, exec, s[34:35]
	v_add_u32_e32 v11, 0xffffff81, v19
	v_cndmask_b32_e32 v11, v11, v20, vcc
	v_lshrrev_b32_e32 v15, 23, v10
	v_add3_u32 v19, v52, v11, v15
	v_add_u32_e32 v15, 6, v19
	v_and_b32_e32 v11, 0xfffff, v14
	v_add_u32_e32 v36, v11, v10
	v_cmp_ne_u32_e32 vcc, 0, v15
                                        ; implicit-def: $vgpr10_vgpr11
                                        ; implicit-def: $vgpr14
	s_and_saveexec_b64 s[20:21], vcc
	s_xor_b64 s[20:21], exec, s[20:21]
; %bb.1197:                             ;   in Loop: Header=BB2_835 Depth=2
	v_cmp_lt_u64_e32 vcc, s[76:77], v[36:37]
	v_add_u32_e32 v10, 7, v19
	v_cndmask_b32_e32 v14, v15, v10, vcc
	v_cndmask_b32_e64 v10, 0, 1, vcc
	v_lshrrev_b64 v[10:11], v10, v[36:37]
; %bb.1198:                             ;   in Loop: Header=BB2_835 Depth=2
	s_andn2_saveexec_b64 s[20:21], s[20:21]
; %bb.1199:                             ;   in Loop: Header=BB2_835 Depth=2
	v_mov_b32_e32 v10, v36
	v_bfe_u32 v14, v36, 23, 1
	v_mov_b32_e32 v11, v37
; %bb.1200:                             ;   in Loop: Header=BB2_835 Depth=2
	s_or_b64 exec, exec, s[20:21]
	v_lshrrev_b64 v[10:11], 20, v[10:11]
	v_cmp_gt_i32_e32 vcc, 16, v14
	v_cndmask_b32_e32 v11, 0, v11, vcc
	v_cndmask_b32_e32 v10, 7, v10, vcc
	v_cmp_eq_u64_e64 s[20:21], 0, v[10:11]
	v_min_i32_e32 v11, 15, v14
	v_lshlrev_b32_e32 v11, 3, v11
	v_cmp_eq_u32_e32 vcc, 0, v14
	v_and_b32_e32 v11, 0xf8, v11
	v_and_or_b32 v10, v10, 7, v11
	s_and_b64 s[20:21], vcc, s[20:21]
	v_cndmask_b32_e64 v10, v10, 0, s[20:21]
	v_or_b32_e32 v58, v10, v18
.LBB2_1201:                             ;   in Loop: Header=BB2_835 Depth=2
	s_or_b64 exec, exec, s[26:27]
                                        ; implicit-def: $vgpr18
.LBB2_1202:                             ;   in Loop: Header=BB2_835 Depth=2
	s_andn2_saveexec_b64 s[20:21], s[24:25]
; %bb.1203:                             ;   in Loop: Header=BB2_835 Depth=2
	v_or_b32_e32 v58, 0x7e, v18
; %bb.1204:                             ;   in Loop: Header=BB2_835 Depth=2
	s_or_b64 exec, exec, s[20:21]
                                        ; implicit-def: $vgpr11
.LBB2_1205:                             ;   in Loop: Header=BB2_835 Depth=2
	s_andn2_saveexec_b64 s[20:21], s[22:23]
; %bb.1206:                             ;   in Loop: Header=BB2_835 Depth=2
	v_or_b32_sdwa v58, v11, s53 dst_sel:DWORD dst_unused:UNUSED_PAD src0_sel:BYTE_3 src1_sel:DWORD
; %bb.1207:                             ;   in Loop: Header=BB2_835 Depth=2
	s_or_b64 exec, exec, s[20:21]
	v_lshrrev_b16_e32 v36, 8, v16
	v_and_b32_e32 v11, 7, v36
	v_and_b32_e32 v14, 0x7f, v36
	v_cmp_eq_u32_e64 s[20:21], s53, v14
	v_cmp_gt_u32_e32 vcc, 8, v14
	v_ffbh_u32_e32 v14, v11
	v_min_u32_e32 v19, 32, v14
	v_subrev_u32_e32 v14, 28, v19
	v_lshlrev_b64 v[14:15], v14, v[36:37]
	v_bfe_u32 v18, v36, 3, 4
	v_sub_u32_e32 v15, 29, v19
	v_and_b32_e32 v14, 7, v14
	v_cndmask_b32_e32 v15, v18, v15, vcc
	v_cndmask_b32_e32 v11, v11, v14, vcc
	v_lshlrev_b32_e32 v14, 24, v36
	v_lshrrev_b16_e32 v10, 8, v12
	v_lshlrev_b32_e32 v11, 20, v11
	v_and_b32_e32 v14, 0x80000000, v14
	v_lshl_add_u32 v15, v15, 23, v3
	v_or3_b32 v11, v14, v15, v11
	v_cmp_ne_u16_e64 s[22:23], 0, v10
	s_mov_b64 s[24:25], -1
	s_and_b64 vcc, exec, s[30:31]
                                        ; implicit-def: $vgpr14
	s_cbranch_vccz .LBB2_1221
; %bb.1208:                             ;   in Loop: Header=BB2_835 Depth=2
	v_mov_b32_e32 v14, 0
	s_and_saveexec_b64 s[24:25], s[22:23]
	s_cbranch_execz .LBB2_1214
; %bb.1209:                             ;   in Loop: Header=BB2_835 Depth=2
	v_cmp_ne_u16_e32 vcc, s55, v10
	v_bfrev_b32_e32 v14, 1
	s_and_saveexec_b64 s[26:27], vcc
	s_cbranch_execz .LBB2_1213
; %bb.1210:                             ;   in Loop: Header=BB2_835 Depth=2
	v_and_b32_e32 v15, 0x7f, v10
	v_cmp_ne_u32_e32 vcc, s53, v15
	v_mov_b32_e32 v14, 0x7f800001
	s_and_saveexec_b64 s[34:35], vcc
	s_cbranch_execz .LBB2_1212
; %bb.1211:                             ;   in Loop: Header=BB2_835 Depth=2
	v_and_b32_e32 v18, 7, v10
	v_ffbh_u32_e32 v14, v18
	v_min_u32_e32 v24, 32, v14
	v_subrev_u32_e32 v14, 28, v24
	v_lshrrev_b32_e32 v19, 3, v15
	v_cmp_gt_u32_e32 vcc, 8, v15
	v_lshlrev_b64 v[14:15], v14, v[10:11]
	v_sub_u32_e32 v15, 29, v24
	v_and_b32_e32 v14, 7, v14
	v_cndmask_b32_e32 v15, v19, v15, vcc
	v_cndmask_b32_e32 v14, v18, v14, vcc
	v_lshlrev_b32_e32 v18, 16, v12
	v_lshlrev_b32_e32 v14, 20, v14
	v_and_b32_e32 v18, 0x80000000, v18
	v_lshl_add_u32 v15, v15, 23, v3
	v_or3_b32 v14, v18, v15, v14
.LBB2_1212:                             ;   in Loop: Header=BB2_835 Depth=2
	s_or_b64 exec, exec, s[34:35]
.LBB2_1213:                             ;   in Loop: Header=BB2_835 Depth=2
	s_or_b64 exec, exec, s[26:27]
.LBB2_1214:                             ;   in Loop: Header=BB2_835 Depth=2
	s_or_b64 exec, exec, s[24:25]
	v_cmp_lt_i16_e32 vcc, s53, v36
	s_mov_b64 s[24:25], 0
	s_and_saveexec_b64 s[26:27], vcc
	s_xor_b64 s[26:27], exec, s[26:27]
	s_cbranch_execz .LBB2_1519
; %bb.1215:                             ;   in Loop: Header=BB2_835 Depth=2
	v_cmp_eq_u16_e32 vcc, s55, v36
	s_mov_b64 s[24:25], -1
	s_and_saveexec_b64 s[34:35], vcc
; %bb.1216:                             ;   in Loop: Header=BB2_835 Depth=2
	s_xor_b64 s[24:25], exec, -1
; %bb.1217:                             ;   in Loop: Header=BB2_835 Depth=2
	s_or_b64 exec, exec, s[34:35]
	s_and_b64 s[24:25], s[24:25], exec
	s_or_saveexec_b64 s[26:27], s[26:27]
	v_bfrev_b32_e32 v15, 1
	s_xor_b64 exec, exec, s[26:27]
	s_cbranch_execnz .LBB2_1520
.LBB2_1218:                             ;   in Loop: Header=BB2_835 Depth=2
	s_or_b64 exec, exec, s[26:27]
	s_and_saveexec_b64 s[26:27], s[24:25]
.LBB2_1219:                             ;   in Loop: Header=BB2_835 Depth=2
	v_cndmask_b32_e64 v15, v11, v56, s[20:21]
.LBB2_1220:                             ;   in Loop: Header=BB2_835 Depth=2
	s_or_b64 exec, exec, s[26:27]
	v_max_f32_e32 v15, v15, v15
	v_max_f32_e32 v14, v14, v14
	v_max_f32_e32 v14, v14, v15
	s_mov_b64 s[24:25], 0
.LBB2_1221:                             ;   in Loop: Header=BB2_835 Depth=2
	s_and_b64 vcc, exec, s[24:25]
	s_cbranch_vccz .LBB2_1235
; %bb.1222:                             ;   in Loop: Header=BB2_835 Depth=2
	v_mov_b32_e32 v14, 0
	s_and_saveexec_b64 s[24:25], s[22:23]
	s_cbranch_execz .LBB2_1228
; %bb.1223:                             ;   in Loop: Header=BB2_835 Depth=2
	v_cmp_ne_u16_e32 vcc, s55, v10
	v_bfrev_b32_e32 v14, 1
	s_and_saveexec_b64 s[22:23], vcc
	s_cbranch_execz .LBB2_1227
; %bb.1224:                             ;   in Loop: Header=BB2_835 Depth=2
	v_and_b32_e32 v15, 0x7f, v10
	v_cmp_ne_u32_e32 vcc, s53, v15
	v_mov_b32_e32 v14, 0x7f800001
	s_and_saveexec_b64 s[26:27], vcc
	s_cbranch_execz .LBB2_1226
; %bb.1225:                             ;   in Loop: Header=BB2_835 Depth=2
	v_and_b32_e32 v18, 7, v10
	v_ffbh_u32_e32 v14, v18
	v_min_u32_e32 v24, 32, v14
	v_subrev_u32_e32 v14, 28, v24
	v_lshrrev_b32_e32 v19, 3, v15
	v_cmp_gt_u32_e32 vcc, 8, v15
	v_lshlrev_b64 v[14:15], v14, v[10:11]
	v_sub_u32_e32 v10, 29, v24
	v_and_b32_e32 v14, 7, v14
	v_cndmask_b32_e32 v10, v19, v10, vcc
	v_cndmask_b32_e32 v14, v18, v14, vcc
	v_lshlrev_b32_e32 v15, 16, v12
	v_lshlrev_b32_e32 v14, 20, v14
	v_and_b32_e32 v15, 0x80000000, v15
	v_lshl_add_u32 v10, v10, 23, v3
	v_or3_b32 v14, v15, v10, v14
.LBB2_1226:                             ;   in Loop: Header=BB2_835 Depth=2
	s_or_b64 exec, exec, s[26:27]
.LBB2_1227:                             ;   in Loop: Header=BB2_835 Depth=2
	s_or_b64 exec, exec, s[22:23]
.LBB2_1228:                             ;   in Loop: Header=BB2_835 Depth=2
	s_or_b64 exec, exec, s[24:25]
	v_cmp_lt_i16_e32 vcc, s53, v36
	s_mov_b64 s[22:23], 0
	s_and_saveexec_b64 s[24:25], vcc
	s_xor_b64 s[24:25], exec, s[24:25]
	s_cbranch_execz .LBB2_1521
; %bb.1229:                             ;   in Loop: Header=BB2_835 Depth=2
	v_cmp_eq_u16_e32 vcc, s55, v36
	s_mov_b64 s[22:23], -1
	s_and_saveexec_b64 s[26:27], vcc
; %bb.1230:                             ;   in Loop: Header=BB2_835 Depth=2
	s_xor_b64 s[22:23], exec, -1
; %bb.1231:                             ;   in Loop: Header=BB2_835 Depth=2
	s_or_b64 exec, exec, s[26:27]
	s_and_b64 s[22:23], s[22:23], exec
	s_or_saveexec_b64 s[24:25], s[24:25]
	v_bfrev_b32_e32 v10, 1
	s_xor_b64 exec, exec, s[24:25]
	s_cbranch_execnz .LBB2_1522
.LBB2_1232:                             ;   in Loop: Header=BB2_835 Depth=2
	s_or_b64 exec, exec, s[24:25]
	s_and_saveexec_b64 s[24:25], s[22:23]
.LBB2_1233:                             ;   in Loop: Header=BB2_835 Depth=2
	v_cndmask_b32_e64 v10, v11, v56, s[20:21]
.LBB2_1234:                             ;   in Loop: Header=BB2_835 Depth=2
	s_or_b64 exec, exec, s[24:25]
	v_max_f32_e32 v10, v10, v10
	v_max_f32_e32 v11, v14, v14
	v_min_f32_e32 v14, v11, v10
.LBB2_1235:                             ;   in Loop: Header=BB2_835 Depth=2
	v_and_b32_e32 v36, 0x7f800000, v14
	v_cmp_ne_u64_e32 vcc, s[72:73], v[36:37]
                                        ; implicit-def: $vgpr18
	s_and_saveexec_b64 s[20:21], vcc
	s_xor_b64 s[22:23], exec, s[20:21]
	s_cbranch_execz .LBB2_1249
; %bb.1236:                             ;   in Loop: Header=BB2_835 Depth=2
	v_and_b32_e32 v36, 0x7fffffff, v14
	v_cmp_gt_u64_e32 vcc, s[74:75], v[36:37]
	v_and_b32_sdwa v19, v14, s55 dst_sel:DWORD dst_unused:UNUSED_PAD src0_sel:BYTE_3 src1_sel:DWORD
                                        ; implicit-def: $vgpr18
	s_and_saveexec_b64 s[20:21], vcc
	s_xor_b64 s[24:25], exec, s[20:21]
	s_cbranch_execz .LBB2_1246
; %bb.1237:                             ;   in Loop: Header=BB2_835 Depth=2
	v_mov_b32_e32 v18, 0
	v_cmp_ne_u32_e32 vcc, 0, v14
	s_and_saveexec_b64 s[26:27], vcc
	s_cbranch_execz .LBB2_1245
; %bb.1238:                             ;   in Loop: Header=BB2_835 Depth=2
	v_bfe_u32 v18, v14, 23, 8
	v_cmp_gt_u32_e64 s[20:21], s64, v18
	v_sub_u32_e32 v11, 0x79, v18
	v_and_b32_e32 v10, 0x7fffff, v14
	v_cmp_eq_u32_e32 vcc, 0, v18
	v_cndmask_b32_e64 v11, 0, v11, s[20:21]
	v_or_b32_e32 v14, 0x800000, v10
	v_cndmask_b32_e32 v52, v11, v2, vcc
	v_cndmask_b32_e32 v36, v14, v10, vcc
	v_add_u32_e32 v10, 20, v52
	v_lshlrev_b64 v[10:11], v10, -1
	v_add_u32_e32 v14, 19, v52
	v_lshlrev_b64 v[14:15], v14, 1
	v_bfi_b32 v11, v11, 0, 0
	v_bfi_b32 v10, v10, 0, v36
	v_cmp_eq_u64_e64 s[20:21], v[10:11], v[14:15]
	v_lshrrev_b64 v[10:11], v52, v[36:37]
	v_mov_b32_e32 v15, v11
	v_mov_b32_e32 v14, v10
	s_and_saveexec_b64 s[34:35], s[20:21]
; %bb.1239:                             ;   in Loop: Header=BB2_835 Depth=2
	v_bfe_u32 v11, v10, 20, 1
	v_add_co_u32_e64 v11, s[20:21], v10, v11
	v_add_co_u32_e64 v14, s[20:21], -1, v11
; %bb.1240:                             ;   in Loop: Header=BB2_835 Depth=2
	s_or_b64 exec, exec, s[34:35]
	v_add_u32_e32 v11, 0xffffff81, v18
	v_cndmask_b32_e32 v11, v11, v20, vcc
	v_lshrrev_b32_e32 v15, 23, v10
	v_add3_u32 v18, v52, v11, v15
	v_add_u32_e32 v15, 6, v18
	v_and_b32_e32 v11, 0xfffff, v14
	v_add_u32_e32 v36, v11, v10
	v_cmp_ne_u32_e32 vcc, 0, v15
                                        ; implicit-def: $vgpr10_vgpr11
                                        ; implicit-def: $vgpr14
	s_and_saveexec_b64 s[20:21], vcc
	s_xor_b64 s[20:21], exec, s[20:21]
; %bb.1241:                             ;   in Loop: Header=BB2_835 Depth=2
	v_cmp_lt_u64_e32 vcc, s[76:77], v[36:37]
	v_add_u32_e32 v10, 7, v18
	v_cndmask_b32_e32 v14, v15, v10, vcc
	v_cndmask_b32_e64 v10, 0, 1, vcc
	v_lshrrev_b64 v[10:11], v10, v[36:37]
; %bb.1242:                             ;   in Loop: Header=BB2_835 Depth=2
	s_andn2_saveexec_b64 s[20:21], s[20:21]
; %bb.1243:                             ;   in Loop: Header=BB2_835 Depth=2
	v_mov_b32_e32 v10, v36
	v_bfe_u32 v14, v36, 23, 1
	v_mov_b32_e32 v11, v37
; %bb.1244:                             ;   in Loop: Header=BB2_835 Depth=2
	s_or_b64 exec, exec, s[20:21]
	v_lshrrev_b64 v[10:11], 20, v[10:11]
	v_cmp_gt_i32_e32 vcc, 16, v14
	v_cndmask_b32_e32 v11, 0, v11, vcc
	v_cndmask_b32_e32 v10, 7, v10, vcc
	v_cmp_eq_u64_e64 s[20:21], 0, v[10:11]
	v_min_i32_e32 v11, 15, v14
	v_lshlrev_b32_e32 v11, 3, v11
	v_cmp_eq_u32_e32 vcc, 0, v14
	v_and_b32_e32 v11, 0xf8, v11
	v_and_or_b32 v10, v10, 7, v11
	s_and_b64 s[20:21], vcc, s[20:21]
	v_cndmask_b32_e64 v10, v10, 0, s[20:21]
	v_or_b32_e32 v18, v10, v19
.LBB2_1245:                             ;   in Loop: Header=BB2_835 Depth=2
	s_or_b64 exec, exec, s[26:27]
                                        ; implicit-def: $vgpr19
.LBB2_1246:                             ;   in Loop: Header=BB2_835 Depth=2
	s_andn2_saveexec_b64 s[20:21], s[24:25]
; %bb.1247:                             ;   in Loop: Header=BB2_835 Depth=2
	v_or_b32_e32 v18, 0x7e, v19
; %bb.1248:                             ;   in Loop: Header=BB2_835 Depth=2
	s_or_b64 exec, exec, s[20:21]
                                        ; implicit-def: $vgpr14
.LBB2_1249:                             ;   in Loop: Header=BB2_835 Depth=2
	s_andn2_saveexec_b64 s[20:21], s[22:23]
; %bb.1250:                             ;   in Loop: Header=BB2_835 Depth=2
	v_or_b32_sdwa v18, v14, s53 dst_sel:DWORD dst_unused:UNUSED_PAD src0_sel:BYTE_3 src1_sel:DWORD
; %bb.1251:                             ;   in Loop: Header=BB2_835 Depth=2
	s_or_b64 exec, exec, s[20:21]
	v_bfe_u32 v11, v16, 16, 3
	v_bfe_u32 v14, v16, 16, 7
	v_cmp_eq_u32_e64 s[20:21], s53, v14
	v_cmp_gt_u32_e32 vcc, 8, v14
	v_ffbh_u32_e32 v14, v11
	v_min_u32_e32 v24, 32, v14
	v_lshrrev_b32_e32 v10, 16, v16
	v_subrev_u32_e32 v14, 28, v24
	v_lshlrev_b64 v[14:15], v14, v[10:11]
	v_bfe_u32 v19, v10, 3, 4
	v_sub_u32_e32 v15, 29, v24
	v_and_b32_e32 v14, 7, v14
	v_cndmask_b32_e32 v15, v19, v15, vcc
	v_cndmask_b32_e32 v11, v11, v14, vcc
	v_lshlrev_b32_e32 v14, 8, v16
	v_lshlrev_b32_e32 v11, 20, v11
	v_and_b32_e32 v14, 0x80000000, v14
	v_lshl_add_u32 v15, v15, 23, v3
	v_or3_b32 v14, v14, v15, v11
	v_lshrrev_b32_e32 v11, 16, v12
	v_cmp_ne_u16_sdwa s[22:23], v11, v37 src0_sel:BYTE_0 src1_sel:DWORD
	s_mov_b64 s[24:25], -1
	s_and_b64 vcc, exec, s[30:31]
                                        ; implicit-def: $vgpr15
	s_cbranch_vccz .LBB2_1265
; %bb.1252:                             ;   in Loop: Header=BB2_835 Depth=2
	v_mov_b32_e32 v15, 0
	s_and_saveexec_b64 s[24:25], s[22:23]
	s_cbranch_execz .LBB2_1258
; %bb.1253:                             ;   in Loop: Header=BB2_835 Depth=2
	v_cmp_ne_u16_sdwa vcc, v11, s55 src0_sel:BYTE_0 src1_sel:DWORD
	v_bfrev_b32_e32 v15, 1
	s_and_saveexec_b64 s[26:27], vcc
	s_cbranch_execz .LBB2_1257
; %bb.1254:                             ;   in Loop: Header=BB2_835 Depth=2
	v_bfe_u32 v19, v12, 16, 7
	v_cmp_ne_u32_e32 vcc, s53, v19
	v_mov_b32_e32 v15, 0x7f800001
	s_and_saveexec_b64 s[34:35], vcc
	s_cbranch_execz .LBB2_1256
; %bb.1255:                             ;   in Loop: Header=BB2_835 Depth=2
	v_and_b32_e32 v15, 7, v11
	v_lshrrev_b32_e32 v36, 3, v19
	v_cmp_gt_u32_e32 vcc, 8, v19
	v_ffbh_u32_e32 v19, v15
	v_min_u32_e32 v19, 32, v19
	v_subrev_u32_e32 v24, 28, v19
	v_lshlrev_b64 v[24:25], v24, v[11:12]
	v_sub_u32_e32 v19, 29, v19
	v_and_b32_e32 v24, 7, v24
	v_cndmask_b32_e32 v19, v36, v19, vcc
	v_cndmask_b32_e32 v15, v15, v24, vcc
	v_lshlrev_b32_e32 v24, 24, v11
	v_lshlrev_b32_e32 v15, 20, v15
	v_and_b32_e32 v24, 0x80000000, v24
	v_lshl_add_u32 v19, v19, 23, v3
	v_or3_b32 v15, v24, v19, v15
.LBB2_1256:                             ;   in Loop: Header=BB2_835 Depth=2
	s_or_b64 exec, exec, s[34:35]
.LBB2_1257:                             ;   in Loop: Header=BB2_835 Depth=2
	s_or_b64 exec, exec, s[26:27]
.LBB2_1258:                             ;   in Loop: Header=BB2_835 Depth=2
	s_or_b64 exec, exec, s[24:25]
	v_cmp_gt_i16_sdwa s[26:27], v10, s53 src0_sel:BYTE_0 src1_sel:DWORD
	s_mov_b64 s[24:25], 0
	s_and_saveexec_b64 vcc, s[26:27]
	s_xor_b64 s[26:27], exec, vcc
	s_cbranch_execz .LBB2_1523
; %bb.1259:                             ;   in Loop: Header=BB2_835 Depth=2
	v_cmp_eq_u16_sdwa s[34:35], v10, s55 src0_sel:BYTE_0 src1_sel:DWORD
	s_mov_b64 s[24:25], -1
	s_and_saveexec_b64 vcc, s[34:35]
; %bb.1260:                             ;   in Loop: Header=BB2_835 Depth=2
	s_xor_b64 s[24:25], exec, -1
; %bb.1261:                             ;   in Loop: Header=BB2_835 Depth=2
	s_or_b64 exec, exec, vcc
	s_and_b64 s[24:25], s[24:25], exec
	s_or_saveexec_b64 s[26:27], s[26:27]
	v_bfrev_b32_e32 v19, 1
	s_xor_b64 exec, exec, s[26:27]
	s_cbranch_execnz .LBB2_1524
.LBB2_1262:                             ;   in Loop: Header=BB2_835 Depth=2
	s_or_b64 exec, exec, s[26:27]
	s_and_saveexec_b64 s[26:27], s[24:25]
.LBB2_1263:                             ;   in Loop: Header=BB2_835 Depth=2
	v_cndmask_b32_e64 v19, v14, v56, s[20:21]
.LBB2_1264:                             ;   in Loop: Header=BB2_835 Depth=2
	s_or_b64 exec, exec, s[26:27]
	v_max_f32_e32 v19, v19, v19
	v_max_f32_e32 v15, v15, v15
	;; [unrolled: 1-line block ×3, first 2 shown]
	s_mov_b64 s[24:25], 0
.LBB2_1265:                             ;   in Loop: Header=BB2_835 Depth=2
	s_and_b64 vcc, exec, s[24:25]
	s_cbranch_vccz .LBB2_1279
; %bb.1266:                             ;   in Loop: Header=BB2_835 Depth=2
	v_mov_b32_e32 v15, 0
	s_and_saveexec_b64 s[24:25], s[22:23]
	s_cbranch_execz .LBB2_1272
; %bb.1267:                             ;   in Loop: Header=BB2_835 Depth=2
	v_cmp_ne_u16_sdwa s[26:27], v11, s55 src0_sel:BYTE_0 src1_sel:DWORD
	v_bfrev_b32_e32 v15, 1
	s_and_saveexec_b64 s[22:23], s[26:27]
	s_cbranch_execz .LBB2_1271
; %bb.1268:                             ;   in Loop: Header=BB2_835 Depth=2
	v_bfe_u32 v19, v12, 16, 7
	v_cmp_ne_u32_e32 vcc, s53, v19
	v_mov_b32_e32 v15, 0x7f800001
	s_and_saveexec_b64 s[26:27], vcc
	s_cbranch_execz .LBB2_1270
; %bb.1269:                             ;   in Loop: Header=BB2_835 Depth=2
	v_and_b32_e32 v15, 7, v11
	v_lshrrev_b32_e32 v36, 3, v19
	v_cmp_gt_u32_e32 vcc, 8, v19
	v_ffbh_u32_e32 v19, v15
	v_min_u32_e32 v19, 32, v19
	v_subrev_u32_e32 v24, 28, v19
	v_lshlrev_b64 v[24:25], v24, v[11:12]
	v_sub_u32_e32 v19, 29, v19
	v_and_b32_e32 v24, 7, v24
	v_cndmask_b32_e32 v19, v36, v19, vcc
	v_cndmask_b32_e32 v15, v15, v24, vcc
	v_lshlrev_b32_e32 v11, 24, v11
	v_lshlrev_b32_e32 v15, 20, v15
	v_and_b32_e32 v11, 0x80000000, v11
	v_lshl_add_u32 v19, v19, 23, v3
	v_or3_b32 v15, v11, v19, v15
.LBB2_1270:                             ;   in Loop: Header=BB2_835 Depth=2
	s_or_b64 exec, exec, s[26:27]
.LBB2_1271:                             ;   in Loop: Header=BB2_835 Depth=2
	s_or_b64 exec, exec, s[22:23]
.LBB2_1272:                             ;   in Loop: Header=BB2_835 Depth=2
	s_or_b64 exec, exec, s[24:25]
	v_cmp_gt_i16_sdwa s[24:25], v10, s53 src0_sel:BYTE_0 src1_sel:DWORD
	s_mov_b64 s[22:23], 0
	s_and_saveexec_b64 s[26:27], s[24:25]
	s_xor_b64 s[24:25], exec, s[26:27]
	s_cbranch_execz .LBB2_1525
; %bb.1273:                             ;   in Loop: Header=BB2_835 Depth=2
	v_cmp_eq_u16_sdwa vcc, v10, s55 src0_sel:BYTE_0 src1_sel:DWORD
	s_mov_b64 s[22:23], -1
	s_and_saveexec_b64 s[26:27], vcc
; %bb.1274:                             ;   in Loop: Header=BB2_835 Depth=2
	s_xor_b64 s[22:23], exec, -1
; %bb.1275:                             ;   in Loop: Header=BB2_835 Depth=2
	s_or_b64 exec, exec, s[26:27]
	s_and_b64 s[22:23], s[22:23], exec
                                        ; implicit-def: $vgpr10
	s_or_saveexec_b64 s[24:25], s[24:25]
	v_bfrev_b32_e32 v11, 1
	s_xor_b64 exec, exec, s[24:25]
	s_cbranch_execnz .LBB2_1526
.LBB2_1276:                             ;   in Loop: Header=BB2_835 Depth=2
	s_or_b64 exec, exec, s[24:25]
	s_and_saveexec_b64 s[24:25], s[22:23]
.LBB2_1277:                             ;   in Loop: Header=BB2_835 Depth=2
	v_cndmask_b32_e64 v11, v14, v56, s[20:21]
.LBB2_1278:                             ;   in Loop: Header=BB2_835 Depth=2
	s_or_b64 exec, exec, s[24:25]
	v_max_f32_e32 v10, v11, v11
	v_max_f32_e32 v11, v15, v15
	v_min_f32_e32 v15, v11, v10
.LBB2_1279:                             ;   in Loop: Header=BB2_835 Depth=2
	v_and_b32_e32 v36, 0x7f800000, v15
	v_cmp_ne_u64_e32 vcc, s[72:73], v[36:37]
                                        ; implicit-def: $vgpr19
	s_and_saveexec_b64 s[20:21], vcc
	s_xor_b64 s[22:23], exec, s[20:21]
	s_cbranch_execz .LBB2_1293
; %bb.1280:                             ;   in Loop: Header=BB2_835 Depth=2
	v_and_b32_e32 v36, 0x7fffffff, v15
	v_cmp_gt_u64_e32 vcc, s[74:75], v[36:37]
	v_and_b32_sdwa v52, v15, s55 dst_sel:DWORD dst_unused:UNUSED_PAD src0_sel:BYTE_3 src1_sel:DWORD
                                        ; implicit-def: $vgpr19
	s_and_saveexec_b64 s[20:21], vcc
	s_xor_b64 s[24:25], exec, s[20:21]
	s_cbranch_execz .LBB2_1290
; %bb.1281:                             ;   in Loop: Header=BB2_835 Depth=2
	v_mov_b32_e32 v19, 0
	v_cmp_ne_u32_e32 vcc, 0, v15
	s_and_saveexec_b64 s[26:27], vcc
	s_cbranch_execz .LBB2_1289
; %bb.1282:                             ;   in Loop: Header=BB2_835 Depth=2
	v_bfe_u32 v19, v15, 23, 8
	v_cmp_gt_u32_e64 s[20:21], s64, v19
	v_sub_u32_e32 v11, 0x79, v19
	v_and_b32_e32 v10, 0x7fffff, v15
	v_cmp_eq_u32_e32 vcc, 0, v19
	v_cndmask_b32_e64 v11, 0, v11, s[20:21]
	v_or_b32_e32 v14, 0x800000, v10
	v_cndmask_b32_e32 v53, v11, v2, vcc
	v_cndmask_b32_e32 v36, v14, v10, vcc
	v_add_u32_e32 v10, 20, v53
	v_lshlrev_b64 v[10:11], v10, -1
	v_add_u32_e32 v14, 19, v53
	v_lshlrev_b64 v[14:15], v14, 1
	v_bfi_b32 v11, v11, 0, 0
	v_bfi_b32 v10, v10, 0, v36
	v_cmp_eq_u64_e64 s[20:21], v[10:11], v[14:15]
	v_lshrrev_b64 v[10:11], v53, v[36:37]
	v_mov_b32_e32 v15, v11
	v_mov_b32_e32 v14, v10
	s_and_saveexec_b64 s[34:35], s[20:21]
; %bb.1283:                             ;   in Loop: Header=BB2_835 Depth=2
	v_bfe_u32 v11, v10, 20, 1
	v_add_co_u32_e64 v11, s[20:21], v10, v11
	v_add_co_u32_e64 v14, s[20:21], -1, v11
; %bb.1284:                             ;   in Loop: Header=BB2_835 Depth=2
	s_or_b64 exec, exec, s[34:35]
	v_add_u32_e32 v11, 0xffffff81, v19
	v_cndmask_b32_e32 v11, v11, v20, vcc
	v_lshrrev_b32_e32 v15, 23, v10
	v_add3_u32 v19, v53, v11, v15
	v_add_u32_e32 v15, 6, v19
	v_and_b32_e32 v11, 0xfffff, v14
	v_add_u32_e32 v36, v11, v10
	v_cmp_ne_u32_e32 vcc, 0, v15
                                        ; implicit-def: $vgpr10_vgpr11
                                        ; implicit-def: $vgpr14
	s_and_saveexec_b64 s[20:21], vcc
	s_xor_b64 s[20:21], exec, s[20:21]
; %bb.1285:                             ;   in Loop: Header=BB2_835 Depth=2
	v_cmp_lt_u64_e32 vcc, s[76:77], v[36:37]
	v_add_u32_e32 v10, 7, v19
	v_cndmask_b32_e32 v14, v15, v10, vcc
	v_cndmask_b32_e64 v10, 0, 1, vcc
	v_lshrrev_b64 v[10:11], v10, v[36:37]
; %bb.1286:                             ;   in Loop: Header=BB2_835 Depth=2
	s_andn2_saveexec_b64 s[20:21], s[20:21]
; %bb.1287:                             ;   in Loop: Header=BB2_835 Depth=2
	v_mov_b32_e32 v10, v36
	v_bfe_u32 v14, v36, 23, 1
	v_mov_b32_e32 v11, v37
; %bb.1288:                             ;   in Loop: Header=BB2_835 Depth=2
	s_or_b64 exec, exec, s[20:21]
	v_lshrrev_b64 v[10:11], 20, v[10:11]
	v_cmp_gt_i32_e32 vcc, 16, v14
	v_cndmask_b32_e32 v11, 0, v11, vcc
	v_cndmask_b32_e32 v10, 7, v10, vcc
	v_cmp_eq_u64_e64 s[20:21], 0, v[10:11]
	v_min_i32_e32 v11, 15, v14
	v_lshlrev_b32_e32 v11, 3, v11
	v_cmp_eq_u32_e32 vcc, 0, v14
	v_and_b32_e32 v11, 0xf8, v11
	v_and_or_b32 v10, v10, 7, v11
	s_and_b64 s[20:21], vcc, s[20:21]
	v_cndmask_b32_e64 v10, v10, 0, s[20:21]
	v_or_b32_e32 v19, v10, v52
.LBB2_1289:                             ;   in Loop: Header=BB2_835 Depth=2
	s_or_b64 exec, exec, s[26:27]
                                        ; implicit-def: $vgpr52
.LBB2_1290:                             ;   in Loop: Header=BB2_835 Depth=2
	s_andn2_saveexec_b64 s[20:21], s[24:25]
; %bb.1291:                             ;   in Loop: Header=BB2_835 Depth=2
	v_or_b32_e32 v19, 0x7e, v52
; %bb.1292:                             ;   in Loop: Header=BB2_835 Depth=2
	s_or_b64 exec, exec, s[20:21]
                                        ; implicit-def: $vgpr15
.LBB2_1293:                             ;   in Loop: Header=BB2_835 Depth=2
	s_andn2_saveexec_b64 s[20:21], s[22:23]
; %bb.1294:                             ;   in Loop: Header=BB2_835 Depth=2
	v_or_b32_sdwa v19, v15, s53 dst_sel:DWORD dst_unused:UNUSED_PAD src0_sel:BYTE_3 src1_sel:DWORD
; %bb.1295:                             ;   in Loop: Header=BB2_835 Depth=2
	s_or_b64 exec, exec, s[20:21]
	v_bfe_u32 v24, v16, 24, 3
	v_bfe_u32 v14, v16, 24, 7
	v_cmp_eq_u32_e64 s[24:25], s53, v14
	v_cmp_gt_u32_e32 vcc, 8, v14
	v_ffbh_u32_e32 v14, v24
	v_min_u32_e32 v36, 32, v14
	v_lshrrev_b32_e32 v11, 24, v16
	v_subrev_u32_e32 v14, 28, v36
	v_lshlrev_b64 v[14:15], v14, v[11:12]
	v_bfe_u32 v25, v11, 3, 4
	v_cmp_eq_u32_e64 s[22:23], s55, v11
	v_sub_u32_e32 v11, 29, v36
	v_and_b32_e32 v14, 7, v14
	v_cndmask_b32_e32 v11, v25, v11, vcc
	v_cndmask_b32_e32 v14, v24, v14, vcc
	v_lshlrev_b32_e32 v14, 20, v14
	v_and_b32_e32 v15, 0x80000000, v16
	v_lshl_add_u32 v11, v11, 23, v3
	v_lshrrev_b32_e32 v10, 24, v12
	v_cmp_gt_u32_e64 s[20:21], s59, v16
	v_or3_b32 v11, v15, v11, v14
	v_cmp_lt_u32_e64 s[26:27], s79, v12
	s_mov_b64 s[34:35], -1
	s_and_b64 vcc, exec, s[30:31]
                                        ; implicit-def: $vgpr14
	s_cbranch_vccz .LBB2_1303
; %bb.1296:                             ;   in Loop: Header=BB2_835 Depth=2
	v_mov_b32_e32 v14, 0
	s_and_saveexec_b64 s[34:35], s[26:27]
	s_cbranch_execz .LBB2_1302
; %bb.1297:                             ;   in Loop: Header=BB2_835 Depth=2
	v_cmp_ne_u32_e32 vcc, s55, v10
	v_bfrev_b32_e32 v14, 1
	s_and_saveexec_b64 s[36:37], vcc
	s_cbranch_execz .LBB2_1301
; %bb.1298:                             ;   in Loop: Header=BB2_835 Depth=2
	v_bfe_u32 v15, v12, 24, 7
	v_cmp_ne_u32_e32 vcc, s53, v15
	v_mov_b32_e32 v14, 0x7f800001
	s_and_saveexec_b64 s[38:39], vcc
	s_cbranch_execz .LBB2_1300
; %bb.1299:                             ;   in Loop: Header=BB2_835 Depth=2
	v_and_b32_e32 v24, 7, v10
	v_ffbh_u32_e32 v14, v24
	v_min_u32_e32 v36, 32, v14
	v_subrev_u32_e32 v14, 28, v36
	v_lshrrev_b32_e32 v25, 3, v15
	v_cmp_gt_u32_e32 vcc, 8, v15
	v_lshlrev_b64 v[14:15], v14, v[10:11]
	v_sub_u32_e32 v15, 29, v36
	v_and_b32_e32 v14, 7, v14
	v_cndmask_b32_e32 v15, v25, v15, vcc
	v_cndmask_b32_e32 v14, v24, v14, vcc
	v_lshlrev_b32_e32 v24, 24, v10
	v_lshlrev_b32_e32 v14, 20, v14
	v_and_b32_e32 v24, 0x80000000, v24
	v_lshl_add_u32 v15, v15, 23, v3
	v_or3_b32 v14, v24, v15, v14
.LBB2_1300:                             ;   in Loop: Header=BB2_835 Depth=2
	s_or_b64 exec, exec, s[38:39]
.LBB2_1301:                             ;   in Loop: Header=BB2_835 Depth=2
	s_or_b64 exec, exec, s[36:37]
.LBB2_1302:                             ;   in Loop: Header=BB2_835 Depth=2
	s_or_b64 exec, exec, s[34:35]
	v_cndmask_b32_e64 v15, v11, v56, s[24:25]
	v_cndmask_b32_e64 v15, v15, v21, s[22:23]
	;; [unrolled: 1-line block ×3, first 2 shown]
	v_max_f32_e32 v15, v15, v15
	v_max_f32_e32 v14, v14, v14
	;; [unrolled: 1-line block ×3, first 2 shown]
	s_mov_b64 s[34:35], 0
.LBB2_1303:                             ;   in Loop: Header=BB2_835 Depth=2
	s_and_b64 vcc, exec, s[34:35]
	s_cbranch_vccz .LBB2_1311
; %bb.1304:                             ;   in Loop: Header=BB2_835 Depth=2
	v_mov_b32_e32 v14, 0
	s_and_saveexec_b64 s[34:35], s[26:27]
	s_cbranch_execz .LBB2_1310
; %bb.1305:                             ;   in Loop: Header=BB2_835 Depth=2
	v_cmp_ne_u32_e32 vcc, s55, v10
	v_bfrev_b32_e32 v14, 1
	s_and_saveexec_b64 s[26:27], vcc
	s_cbranch_execz .LBB2_1309
; %bb.1306:                             ;   in Loop: Header=BB2_835 Depth=2
	v_bfe_u32 v15, v12, 24, 7
	v_cmp_ne_u32_e32 vcc, s53, v15
	v_mov_b32_e32 v14, 0x7f800001
	s_and_saveexec_b64 s[36:37], vcc
	s_cbranch_execz .LBB2_1308
; %bb.1307:                             ;   in Loop: Header=BB2_835 Depth=2
	v_and_b32_e32 v24, 7, v10
	v_ffbh_u32_e32 v14, v24
	v_min_u32_e32 v36, 32, v14
	v_subrev_u32_e32 v14, 28, v36
	v_lshrrev_b32_e32 v25, 3, v15
	v_cmp_gt_u32_e32 vcc, 8, v15
	v_lshlrev_b64 v[14:15], v14, v[10:11]
	v_sub_u32_e32 v15, 29, v36
	v_and_b32_e32 v14, 7, v14
	v_cndmask_b32_e32 v15, v25, v15, vcc
	v_cndmask_b32_e32 v14, v24, v14, vcc
	v_lshlrev_b32_e32 v10, 24, v10
	v_lshlrev_b32_e32 v14, 20, v14
	v_and_b32_e32 v10, 0x80000000, v10
	v_lshl_add_u32 v15, v15, 23, v3
	v_or3_b32 v14, v10, v15, v14
.LBB2_1308:                             ;   in Loop: Header=BB2_835 Depth=2
	s_or_b64 exec, exec, s[36:37]
.LBB2_1309:                             ;   in Loop: Header=BB2_835 Depth=2
	s_or_b64 exec, exec, s[26:27]
.LBB2_1310:                             ;   in Loop: Header=BB2_835 Depth=2
	s_or_b64 exec, exec, s[34:35]
	v_cndmask_b32_e64 v10, v11, v56, s[24:25]
	v_cndmask_b32_e64 v10, v10, v21, s[22:23]
	;; [unrolled: 1-line block ×3, first 2 shown]
	v_max_f32_e32 v10, v10, v10
	v_max_f32_e32 v11, v14, v14
	v_min_f32_e32 v14, v11, v10
.LBB2_1311:                             ;   in Loop: Header=BB2_835 Depth=2
	v_and_b32_e32 v36, 0x7f800000, v14
	v_cmp_ne_u64_e32 vcc, s[72:73], v[36:37]
                                        ; implicit-def: $vgpr59
	s_and_saveexec_b64 s[20:21], vcc
	s_xor_b64 s[22:23], exec, s[20:21]
	s_cbranch_execz .LBB2_1325
; %bb.1312:                             ;   in Loop: Header=BB2_835 Depth=2
	v_and_b32_e32 v36, 0x7fffffff, v14
	v_cmp_gt_u64_e32 vcc, s[74:75], v[36:37]
	v_and_b32_sdwa v52, v14, s55 dst_sel:DWORD dst_unused:UNUSED_PAD src0_sel:BYTE_3 src1_sel:DWORD
                                        ; implicit-def: $vgpr59
	s_and_saveexec_b64 s[20:21], vcc
	s_xor_b64 s[24:25], exec, s[20:21]
	s_cbranch_execz .LBB2_1322
; %bb.1313:                             ;   in Loop: Header=BB2_835 Depth=2
	v_mov_b32_e32 v59, 0
	v_cmp_ne_u32_e32 vcc, 0, v14
	s_and_saveexec_b64 s[26:27], vcc
	s_cbranch_execz .LBB2_1321
; %bb.1314:                             ;   in Loop: Header=BB2_835 Depth=2
	v_bfe_u32 v53, v14, 23, 8
	v_cmp_gt_u32_e64 s[20:21], s64, v53
	v_sub_u32_e32 v11, 0x79, v53
	v_and_b32_e32 v10, 0x7fffff, v14
	v_cmp_eq_u32_e32 vcc, 0, v53
	v_cndmask_b32_e64 v11, 0, v11, s[20:21]
	v_or_b32_e32 v14, 0x800000, v10
	v_cndmask_b32_e32 v44, v11, v2, vcc
	v_cndmask_b32_e32 v36, v14, v10, vcc
	v_add_u32_e32 v10, 20, v44
	v_lshlrev_b64 v[10:11], v10, -1
	v_add_u32_e32 v14, 19, v44
	v_lshlrev_b64 v[14:15], v14, 1
	v_bfi_b32 v11, v11, 0, 0
	v_bfi_b32 v10, v10, 0, v36
	v_cmp_eq_u64_e64 s[20:21], v[10:11], v[14:15]
	v_lshrrev_b64 v[10:11], v44, v[36:37]
	v_mov_b32_e32 v15, v11
	v_mov_b32_e32 v14, v10
	s_and_saveexec_b64 s[34:35], s[20:21]
; %bb.1315:                             ;   in Loop: Header=BB2_835 Depth=2
	v_bfe_u32 v11, v10, 20, 1
	v_add_co_u32_e64 v11, s[20:21], v10, v11
	v_add_co_u32_e64 v14, s[20:21], -1, v11
; %bb.1316:                             ;   in Loop: Header=BB2_835 Depth=2
	s_or_b64 exec, exec, s[34:35]
	v_add_u32_e32 v11, 0xffffff81, v53
	v_cndmask_b32_e32 v11, v11, v20, vcc
	v_lshrrev_b32_e32 v15, 23, v10
	v_add3_u32 v53, v44, v11, v15
	v_add_u32_e32 v15, 6, v53
	v_and_b32_e32 v11, 0xfffff, v14
	v_add_u32_e32 v36, v11, v10
	v_cmp_ne_u32_e32 vcc, 0, v15
                                        ; implicit-def: $vgpr10_vgpr11
                                        ; implicit-def: $vgpr14
	s_and_saveexec_b64 s[20:21], vcc
	s_xor_b64 s[20:21], exec, s[20:21]
; %bb.1317:                             ;   in Loop: Header=BB2_835 Depth=2
	v_cmp_lt_u64_e32 vcc, s[76:77], v[36:37]
	v_add_u32_e32 v10, 7, v53
	v_cndmask_b32_e32 v14, v15, v10, vcc
	v_cndmask_b32_e64 v10, 0, 1, vcc
	v_lshrrev_b64 v[10:11], v10, v[36:37]
; %bb.1318:                             ;   in Loop: Header=BB2_835 Depth=2
	s_andn2_saveexec_b64 s[20:21], s[20:21]
; %bb.1319:                             ;   in Loop: Header=BB2_835 Depth=2
	v_mov_b32_e32 v10, v36
	v_bfe_u32 v14, v36, 23, 1
	v_mov_b32_e32 v11, v37
; %bb.1320:                             ;   in Loop: Header=BB2_835 Depth=2
	s_or_b64 exec, exec, s[20:21]
	v_lshrrev_b64 v[10:11], 20, v[10:11]
	v_cmp_gt_i32_e32 vcc, 16, v14
	v_cndmask_b32_e32 v11, 0, v11, vcc
	v_cndmask_b32_e32 v10, 7, v10, vcc
	v_cmp_eq_u64_e64 s[20:21], 0, v[10:11]
	v_min_i32_e32 v11, 15, v14
	v_lshlrev_b32_e32 v11, 3, v11
	v_cmp_eq_u32_e32 vcc, 0, v14
	v_and_b32_e32 v11, 0xf8, v11
	v_and_or_b32 v10, v10, 7, v11
	s_and_b64 s[20:21], vcc, s[20:21]
	v_cndmask_b32_e64 v10, v10, 0, s[20:21]
	v_or_b32_e32 v59, v10, v52
.LBB2_1321:                             ;   in Loop: Header=BB2_835 Depth=2
	s_or_b64 exec, exec, s[26:27]
                                        ; implicit-def: $vgpr52
.LBB2_1322:                             ;   in Loop: Header=BB2_835 Depth=2
	s_andn2_saveexec_b64 s[20:21], s[24:25]
; %bb.1323:                             ;   in Loop: Header=BB2_835 Depth=2
	v_or_b32_e32 v59, 0x7e, v52
; %bb.1324:                             ;   in Loop: Header=BB2_835 Depth=2
	s_or_b64 exec, exec, s[20:21]
                                        ; implicit-def: $vgpr14
.LBB2_1325:                             ;   in Loop: Header=BB2_835 Depth=2
	s_andn2_saveexec_b64 s[20:21], s[22:23]
; %bb.1326:                             ;   in Loop: Header=BB2_835 Depth=2
	v_or_b32_sdwa v59, v14, s53 dst_sel:DWORD dst_unused:UNUSED_PAD src0_sel:BYTE_3 src1_sel:DWORD
; %bb.1327:                             ;   in Loop: Header=BB2_835 Depth=2
	s_or_b64 exec, exec, s[20:21]
	v_and_b32_e32 v14, 7, v17
	v_ffbh_u32_e32 v14, v14
	v_and_b32_e32 v15, 0x7f, v17
	v_min_u32_e32 v14, 32, v14
	v_bfe_u32 v24, v17, 3, 4
	v_cmp_eq_u32_e64 s[20:21], s53, v15
	v_cmp_gt_u32_e32 vcc, 8, v15
	v_subrev_u32_e32 v15, 28, v14
	v_sub_u32_e32 v14, 29, v14
	v_mov_b32_e32 v10, v17
	v_mov_b32_e32 v11, v37
	v_cndmask_b32_e32 v24, v24, v14, vcc
	v_cndmask_b32_e32 v14, 0, v15, vcc
	v_lshlrev_b64 v[14:15], v14, v[10:11]
	v_lshl_add_u32 v15, v24, 23, v3
	v_lshlrev_b32_e32 v11, 20, v14
	v_lshlrev_b32_e32 v14, 24, v17
	v_and_b32_e32 v11, 0x700000, v11
	v_and_b32_e32 v14, 0x80000000, v14
	v_mov_b32_e32 v36, v13
	v_or3_b32 v11, v14, v15, v11
	v_cmp_ne_u16_sdwa s[22:23], v13, v37 src0_sel:BYTE_0 src1_sel:DWORD
	s_mov_b64 s[24:25], -1
	s_and_b64 vcc, exec, s[30:31]
                                        ; implicit-def: $vgpr14
	s_cbranch_vccz .LBB2_1341
; %bb.1328:                             ;   in Loop: Header=BB2_835 Depth=2
	v_mov_b32_e32 v14, 0
	s_and_saveexec_b64 s[24:25], s[22:23]
	s_cbranch_execz .LBB2_1334
; %bb.1329:                             ;   in Loop: Header=BB2_835 Depth=2
	v_cmp_ne_u16_sdwa vcc, v13, s55 src0_sel:BYTE_0 src1_sel:DWORD
	v_bfrev_b32_e32 v14, 1
	s_and_saveexec_b64 s[26:27], vcc
	s_cbranch_execz .LBB2_1333
; %bb.1330:                             ;   in Loop: Header=BB2_835 Depth=2
	v_and_b32_e32 v15, 0x7f, v13
	v_cmp_ne_u32_e32 vcc, s53, v15
	v_mov_b32_e32 v14, 0x7f800001
	s_and_saveexec_b64 s[34:35], vcc
	s_cbranch_execz .LBB2_1332
; %bb.1331:                             ;   in Loop: Header=BB2_835 Depth=2
	v_and_b32_e32 v14, 7, v13
	v_ffbh_u32_e32 v14, v14
	v_min_u32_e32 v14, 32, v14
	v_lshrrev_b32_e32 v24, 3, v15
	v_cmp_gt_u32_e32 vcc, 8, v15
	v_subrev_u32_e32 v15, 28, v14
	v_sub_u32_e32 v14, 29, v14
	v_cndmask_b32_e32 v24, v24, v14, vcc
	v_cndmask_b32_e32 v14, 0, v15, vcc
	v_lshlrev_b64 v[14:15], v14, v[36:37]
	v_lshlrev_b32_e32 v15, 24, v36
	v_lshlrev_b32_e32 v14, 20, v14
	v_and_b32_e32 v14, 0x700000, v14
	v_and_b32_e32 v15, 0x80000000, v15
	v_lshl_add_u32 v24, v24, 23, v3
	v_or3_b32 v14, v15, v24, v14
.LBB2_1332:                             ;   in Loop: Header=BB2_835 Depth=2
	s_or_b64 exec, exec, s[34:35]
.LBB2_1333:                             ;   in Loop: Header=BB2_835 Depth=2
	s_or_b64 exec, exec, s[26:27]
.LBB2_1334:                             ;   in Loop: Header=BB2_835 Depth=2
	s_or_b64 exec, exec, s[24:25]
	v_cmp_gt_i16_sdwa s[26:27], v17, s53 src0_sel:BYTE_0 src1_sel:DWORD
	s_mov_b64 s[24:25], 0
	s_and_saveexec_b64 vcc, s[26:27]
	s_xor_b64 s[26:27], exec, vcc
	s_cbranch_execz .LBB2_1527
; %bb.1335:                             ;   in Loop: Header=BB2_835 Depth=2
	v_cmp_eq_u16_sdwa s[34:35], v17, s55 src0_sel:BYTE_0 src1_sel:DWORD
	s_mov_b64 s[24:25], -1
	s_and_saveexec_b64 vcc, s[34:35]
; %bb.1336:                             ;   in Loop: Header=BB2_835 Depth=2
	s_xor_b64 s[24:25], exec, -1
; %bb.1337:                             ;   in Loop: Header=BB2_835 Depth=2
	s_or_b64 exec, exec, vcc
	s_and_b64 s[24:25], s[24:25], exec
	s_or_saveexec_b64 s[26:27], s[26:27]
	v_bfrev_b32_e32 v15, 1
	s_xor_b64 exec, exec, s[26:27]
	s_cbranch_execnz .LBB2_1528
.LBB2_1338:                             ;   in Loop: Header=BB2_835 Depth=2
	s_or_b64 exec, exec, s[26:27]
	s_and_saveexec_b64 s[26:27], s[24:25]
.LBB2_1339:                             ;   in Loop: Header=BB2_835 Depth=2
	v_cndmask_b32_e64 v15, v11, v56, s[20:21]
.LBB2_1340:                             ;   in Loop: Header=BB2_835 Depth=2
	s_or_b64 exec, exec, s[26:27]
	v_max_f32_e32 v15, v15, v15
	v_max_f32_e32 v14, v14, v14
	;; [unrolled: 1-line block ×3, first 2 shown]
	s_mov_b64 s[24:25], 0
.LBB2_1341:                             ;   in Loop: Header=BB2_835 Depth=2
	s_and_b64 vcc, exec, s[24:25]
	s_cbranch_vccz .LBB2_1355
; %bb.1342:                             ;   in Loop: Header=BB2_835 Depth=2
	v_mov_b32_e32 v14, 0
	s_and_saveexec_b64 s[24:25], s[22:23]
	s_cbranch_execz .LBB2_1348
; %bb.1343:                             ;   in Loop: Header=BB2_835 Depth=2
	v_cmp_ne_u16_sdwa s[26:27], v13, s55 src0_sel:BYTE_0 src1_sel:DWORD
	v_bfrev_b32_e32 v14, 1
	s_and_saveexec_b64 s[22:23], s[26:27]
	s_cbranch_execz .LBB2_1347
; %bb.1344:                             ;   in Loop: Header=BB2_835 Depth=2
	v_and_b32_e32 v15, 0x7f, v13
	v_cmp_ne_u32_e32 vcc, s53, v15
	v_mov_b32_e32 v14, 0x7f800001
	s_and_saveexec_b64 s[26:27], vcc
	s_cbranch_execz .LBB2_1346
; %bb.1345:                             ;   in Loop: Header=BB2_835 Depth=2
	v_and_b32_e32 v14, 7, v13
	v_ffbh_u32_e32 v14, v14
	v_min_u32_e32 v14, 32, v14
	v_lshrrev_b32_e32 v24, 3, v15
	v_cmp_gt_u32_e32 vcc, 8, v15
	v_subrev_u32_e32 v15, 28, v14
	v_sub_u32_e32 v14, 29, v14
	v_cndmask_b32_e32 v24, v24, v14, vcc
	v_cndmask_b32_e32 v14, 0, v15, vcc
	v_lshlrev_b64 v[14:15], v14, v[36:37]
	v_lshlrev_b32_e32 v15, 24, v36
	v_lshlrev_b32_e32 v14, 20, v14
	v_and_b32_e32 v14, 0x700000, v14
	v_and_b32_e32 v15, 0x80000000, v15
	v_lshl_add_u32 v24, v24, 23, v3
	v_or3_b32 v14, v15, v24, v14
.LBB2_1346:                             ;   in Loop: Header=BB2_835 Depth=2
	s_or_b64 exec, exec, s[26:27]
.LBB2_1347:                             ;   in Loop: Header=BB2_835 Depth=2
	s_or_b64 exec, exec, s[22:23]
.LBB2_1348:                             ;   in Loop: Header=BB2_835 Depth=2
	s_or_b64 exec, exec, s[24:25]
	v_cmp_gt_i16_sdwa s[24:25], v17, s53 src0_sel:BYTE_0 src1_sel:DWORD
	s_mov_b64 s[22:23], 0
	s_and_saveexec_b64 s[26:27], s[24:25]
	s_xor_b64 s[24:25], exec, s[26:27]
	s_cbranch_execz .LBB2_1529
; %bb.1349:                             ;   in Loop: Header=BB2_835 Depth=2
	v_cmp_eq_u16_sdwa vcc, v17, s55 src0_sel:BYTE_0 src1_sel:DWORD
	s_mov_b64 s[22:23], -1
	s_and_saveexec_b64 s[26:27], vcc
; %bb.1350:                             ;   in Loop: Header=BB2_835 Depth=2
	s_xor_b64 s[22:23], exec, -1
; %bb.1351:                             ;   in Loop: Header=BB2_835 Depth=2
	s_or_b64 exec, exec, s[26:27]
	s_and_b64 s[22:23], s[22:23], exec
	s_or_saveexec_b64 s[24:25], s[24:25]
	v_bfrev_b32_e32 v15, 1
	s_xor_b64 exec, exec, s[24:25]
	s_cbranch_execnz .LBB2_1530
.LBB2_1352:                             ;   in Loop: Header=BB2_835 Depth=2
	s_or_b64 exec, exec, s[24:25]
	s_and_saveexec_b64 s[24:25], s[22:23]
.LBB2_1353:                             ;   in Loop: Header=BB2_835 Depth=2
	v_cndmask_b32_e64 v15, v11, v56, s[20:21]
.LBB2_1354:                             ;   in Loop: Header=BB2_835 Depth=2
	s_or_b64 exec, exec, s[24:25]
	v_max_f32_e32 v11, v15, v15
	v_max_f32_e32 v14, v14, v14
	v_min_f32_e32 v14, v14, v11
.LBB2_1355:                             ;   in Loop: Header=BB2_835 Depth=2
	v_and_b32_e32 v24, 0x7f800000, v14
	v_mov_b32_e32 v25, v37
	v_cmp_ne_u64_e32 vcc, s[72:73], v[24:25]
                                        ; implicit-def: $vgpr44
	s_and_saveexec_b64 s[20:21], vcc
	s_xor_b64 s[22:23], exec, s[20:21]
	s_cbranch_execz .LBB2_1369
; %bb.1356:                             ;   in Loop: Header=BB2_835 Depth=2
	v_and_b32_e32 v24, 0x7fffffff, v14
	v_mov_b32_e32 v25, v37
	v_cmp_gt_u64_e32 vcc, s[74:75], v[24:25]
	v_and_b32_sdwa v11, v14, s55 dst_sel:DWORD dst_unused:UNUSED_PAD src0_sel:BYTE_3 src1_sel:DWORD
                                        ; implicit-def: $vgpr44
	s_and_saveexec_b64 s[20:21], vcc
	s_xor_b64 s[24:25], exec, s[20:21]
	s_cbranch_execz .LBB2_1366
; %bb.1357:                             ;   in Loop: Header=BB2_835 Depth=2
	v_mov_b32_e32 v44, 0
	v_cmp_ne_u32_e32 vcc, 0, v14
	s_and_saveexec_b64 s[26:27], vcc
	s_cbranch_execz .LBB2_1365
; %bb.1358:                             ;   in Loop: Header=BB2_835 Depth=2
	v_bfe_u32 v52, v14, 23, 8
	v_and_b32_e32 v15, 0x7fffff, v14
	v_cmp_gt_u32_e64 s[20:21], s64, v52
	v_sub_u32_e32 v14, 0x79, v52
	v_cmp_eq_u32_e32 vcc, 0, v52
	v_cndmask_b32_e64 v14, 0, v14, s[20:21]
	v_or_b32_e32 v24, 0x800000, v15
	v_cndmask_b32_e32 v53, v14, v2, vcc
	v_cndmask_b32_e32 v14, v24, v15, vcc
	v_add_u32_e32 v24, 20, v53
	v_lshlrev_b64 v[24:25], v24, -1
	v_mov_b32_e32 v15, v37
	v_add_u32_e32 v44, 19, v53
	v_bfi_b32 v24, v24, 0, v14
	v_lshlrev_b64 v[44:45], v44, 1
	v_lshrrev_b64 v[14:15], v53, v[14:15]
	v_bfi_b32 v25, v25, 0, 0
	v_cmp_eq_u64_e64 s[20:21], v[24:25], v[44:45]
	v_mov_b32_e32 v45, v15
	v_mov_b32_e32 v44, v14
	s_and_saveexec_b64 s[34:35], s[20:21]
; %bb.1359:                             ;   in Loop: Header=BB2_835 Depth=2
	v_bfe_u32 v15, v14, 20, 1
	v_add_co_u32_e64 v15, s[20:21], v14, v15
	v_add_co_u32_e64 v44, s[20:21], -1, v15
; %bb.1360:                             ;   in Loop: Header=BB2_835 Depth=2
	s_or_b64 exec, exec, s[34:35]
	v_add_u32_e32 v15, 0xffffff81, v52
	v_cndmask_b32_e32 v15, v15, v20, vcc
	v_lshrrev_b32_e32 v24, 23, v14
	v_add3_u32 v45, v53, v15, v24
	v_add_u32_e32 v53, 6, v45
	v_and_b32_e32 v15, 0xfffff, v44
	v_add_u32_e32 v14, v15, v14
	v_mov_b32_e32 v15, v37
	v_cmp_ne_u32_e32 vcc, 0, v53
                                        ; implicit-def: $vgpr52
	s_and_saveexec_b64 s[20:21], vcc
	s_xor_b64 s[20:21], exec, s[20:21]
; %bb.1361:                             ;   in Loop: Header=BB2_835 Depth=2
	v_cmp_lt_u64_e32 vcc, s[76:77], v[14:15]
	v_add_u32_e32 v24, 7, v45
	v_cndmask_b32_e32 v52, v53, v24, vcc
	v_cndmask_b32_e64 v24, 0, 1, vcc
	v_lshrrev_b64 v[14:15], v24, v[14:15]
; %bb.1362:                             ;   in Loop: Header=BB2_835 Depth=2
	s_andn2_saveexec_b64 s[20:21], s[20:21]
; %bb.1363:                             ;   in Loop: Header=BB2_835 Depth=2
	v_bfe_u32 v52, v14, 23, 1
; %bb.1364:                             ;   in Loop: Header=BB2_835 Depth=2
	s_or_b64 exec, exec, s[20:21]
	v_lshrrev_b64 v[14:15], 20, v[14:15]
	v_cmp_gt_i32_e32 vcc, 16, v52
	v_cndmask_b32_e32 v15, 0, v15, vcc
	v_cndmask_b32_e32 v14, 7, v14, vcc
	v_cmp_eq_u64_e64 s[20:21], 0, v[14:15]
	v_min_i32_e32 v15, 15, v52
	v_lshlrev_b32_e32 v15, 3, v15
	v_cmp_eq_u32_e32 vcc, 0, v52
	v_and_b32_e32 v15, 0xf8, v15
	v_and_or_b32 v14, v14, 7, v15
	s_and_b64 s[20:21], vcc, s[20:21]
	v_cndmask_b32_e64 v14, v14, 0, s[20:21]
	v_or_b32_e32 v44, v14, v11
.LBB2_1365:                             ;   in Loop: Header=BB2_835 Depth=2
	s_or_b64 exec, exec, s[26:27]
                                        ; implicit-def: $vgpr11
.LBB2_1366:                             ;   in Loop: Header=BB2_835 Depth=2
	s_andn2_saveexec_b64 s[20:21], s[24:25]
; %bb.1367:                             ;   in Loop: Header=BB2_835 Depth=2
	v_or_b32_e32 v44, 0x7e, v11
; %bb.1368:                             ;   in Loop: Header=BB2_835 Depth=2
	s_or_b64 exec, exec, s[20:21]
                                        ; implicit-def: $vgpr14
.LBB2_1369:                             ;   in Loop: Header=BB2_835 Depth=2
	s_andn2_saveexec_b64 s[20:21], s[22:23]
; %bb.1370:                             ;   in Loop: Header=BB2_835 Depth=2
	v_or_b32_sdwa v44, v14, s53 dst_sel:DWORD dst_unused:UNUSED_PAD src0_sel:BYTE_3 src1_sel:DWORD
; %bb.1371:                             ;   in Loop: Header=BB2_835 Depth=2
	s_or_b64 exec, exec, s[20:21]
	v_lshrrev_b16_e32 v10, 8, v10
	v_and_b32_e32 v15, 7, v10
	v_and_b32_e32 v24, 0x7f, v10
	v_cmp_eq_u32_e64 s[20:21], s53, v24
	v_cmp_gt_u32_e32 vcc, 8, v24
	v_ffbh_u32_e32 v24, v15
	v_min_u32_e32 v53, 32, v24
	v_mov_b32_e32 v11, v37
	v_subrev_u32_e32 v24, 28, v53
	v_lshlrev_b64 v[24:25], v24, v[10:11]
	v_bfe_u32 v52, v10, 3, 4
	v_sub_u32_e32 v11, 29, v53
	v_and_b32_e32 v24, 7, v24
	v_cndmask_b32_e32 v11, v52, v11, vcc
	v_cndmask_b32_e32 v15, v15, v24, vcc
	v_lshlrev_b32_e32 v24, 24, v10
	v_lshrrev_b16_e32 v14, 8, v36
	v_lshlrev_b32_e32 v15, 20, v15
	v_and_b32_e32 v24, 0x80000000, v24
	v_lshl_add_u32 v11, v11, 23, v3
	v_or3_b32 v11, v24, v11, v15
	v_cmp_ne_u16_e64 s[22:23], 0, v14
	s_mov_b64 s[24:25], -1
	s_and_b64 vcc, exec, s[30:31]
                                        ; implicit-def: $vgpr15
	s_cbranch_vccz .LBB2_1385
; %bb.1372:                             ;   in Loop: Header=BB2_835 Depth=2
	v_mov_b32_e32 v15, 0
	s_and_saveexec_b64 s[24:25], s[22:23]
	s_cbranch_execz .LBB2_1378
; %bb.1373:                             ;   in Loop: Header=BB2_835 Depth=2
	v_cmp_ne_u16_e32 vcc, s55, v14
	v_bfrev_b32_e32 v15, 1
	s_and_saveexec_b64 s[26:27], vcc
	s_cbranch_execz .LBB2_1377
; %bb.1374:                             ;   in Loop: Header=BB2_835 Depth=2
	v_and_b32_e32 v52, 0x7f, v14
	v_cmp_ne_u32_e32 vcc, s53, v52
	v_mov_b32_e32 v15, 0x7f800001
	s_and_saveexec_b64 s[34:35], vcc
	s_cbranch_execz .LBB2_1376
; %bb.1375:                             ;   in Loop: Header=BB2_835 Depth=2
	v_and_b32_e32 v15, 7, v14
	v_ffbh_u32_e32 v24, v15
	v_lshrrev_b32_e32 v53, 3, v52
	v_cmp_gt_u32_e32 vcc, 8, v52
	v_min_u32_e32 v52, 32, v24
	v_subrev_u32_e32 v24, 28, v52
	v_lshlrev_b64 v[24:25], v24, v[14:15]
	v_sub_u32_e32 v25, 29, v52
	v_and_b32_e32 v24, 7, v24
	v_cndmask_b32_e32 v25, v53, v25, vcc
	v_cndmask_b32_e32 v15, v15, v24, vcc
	v_lshlrev_b32_e32 v24, 16, v36
	v_lshlrev_b32_e32 v15, 20, v15
	v_and_b32_e32 v24, 0x80000000, v24
	v_lshl_add_u32 v25, v25, 23, v3
	v_or3_b32 v15, v24, v25, v15
.LBB2_1376:                             ;   in Loop: Header=BB2_835 Depth=2
	s_or_b64 exec, exec, s[34:35]
.LBB2_1377:                             ;   in Loop: Header=BB2_835 Depth=2
	s_or_b64 exec, exec, s[26:27]
.LBB2_1378:                             ;   in Loop: Header=BB2_835 Depth=2
	s_or_b64 exec, exec, s[24:25]
	v_cmp_lt_i16_e32 vcc, s53, v10
	s_mov_b64 s[24:25], 0
	s_and_saveexec_b64 s[26:27], vcc
	s_xor_b64 s[26:27], exec, s[26:27]
	s_cbranch_execz .LBB2_1531
; %bb.1379:                             ;   in Loop: Header=BB2_835 Depth=2
	v_cmp_eq_u16_e32 vcc, s55, v10
	s_mov_b64 s[24:25], -1
	s_and_saveexec_b64 s[34:35], vcc
; %bb.1380:                             ;   in Loop: Header=BB2_835 Depth=2
	s_xor_b64 s[24:25], exec, -1
; %bb.1381:                             ;   in Loop: Header=BB2_835 Depth=2
	s_or_b64 exec, exec, s[34:35]
	s_and_b64 s[24:25], s[24:25], exec
	s_or_saveexec_b64 s[26:27], s[26:27]
	v_bfrev_b32_e32 v52, 1
	s_xor_b64 exec, exec, s[26:27]
	s_cbranch_execnz .LBB2_1532
.LBB2_1382:                             ;   in Loop: Header=BB2_835 Depth=2
	s_or_b64 exec, exec, s[26:27]
	s_and_saveexec_b64 s[26:27], s[24:25]
.LBB2_1383:                             ;   in Loop: Header=BB2_835 Depth=2
	v_cndmask_b32_e64 v52, v11, v56, s[20:21]
.LBB2_1384:                             ;   in Loop: Header=BB2_835 Depth=2
	s_or_b64 exec, exec, s[26:27]
	v_max_f32_e32 v24, v52, v52
	v_max_f32_e32 v15, v15, v15
	;; [unrolled: 1-line block ×3, first 2 shown]
	s_mov_b64 s[24:25], 0
.LBB2_1385:                             ;   in Loop: Header=BB2_835 Depth=2
	s_and_b64 vcc, exec, s[24:25]
	s_cbranch_vccz .LBB2_1399
; %bb.1386:                             ;   in Loop: Header=BB2_835 Depth=2
	v_mov_b32_e32 v15, 0
	s_and_saveexec_b64 s[24:25], s[22:23]
	s_cbranch_execz .LBB2_1392
; %bb.1387:                             ;   in Loop: Header=BB2_835 Depth=2
	v_cmp_ne_u16_e32 vcc, s55, v14
	v_bfrev_b32_e32 v15, 1
	s_and_saveexec_b64 s[22:23], vcc
	s_cbranch_execz .LBB2_1391
; %bb.1388:                             ;   in Loop: Header=BB2_835 Depth=2
	v_and_b32_e32 v52, 0x7f, v14
	v_cmp_ne_u32_e32 vcc, s53, v52
	v_mov_b32_e32 v15, 0x7f800001
	s_and_saveexec_b64 s[26:27], vcc
	s_cbranch_execz .LBB2_1390
; %bb.1389:                             ;   in Loop: Header=BB2_835 Depth=2
	v_and_b32_e32 v24, 7, v14
	v_ffbh_u32_e32 v15, v24
	v_lshrrev_b32_e32 v25, 3, v52
	v_cmp_gt_u32_e32 vcc, 8, v52
	v_min_u32_e32 v52, 32, v15
	v_subrev_u32_e32 v15, 28, v52
	v_lshlrev_b64 v[14:15], v15, v[14:15]
	v_sub_u32_e32 v15, 29, v52
	v_and_b32_e32 v14, 7, v14
	v_cndmask_b32_e32 v15, v25, v15, vcc
	v_cndmask_b32_e32 v14, v24, v14, vcc
	v_lshlrev_b32_e32 v24, 16, v36
	v_lshlrev_b32_e32 v14, 20, v14
	v_and_b32_e32 v24, 0x80000000, v24
	v_lshl_add_u32 v15, v15, 23, v3
	v_or3_b32 v15, v24, v15, v14
.LBB2_1390:                             ;   in Loop: Header=BB2_835 Depth=2
	s_or_b64 exec, exec, s[26:27]
.LBB2_1391:                             ;   in Loop: Header=BB2_835 Depth=2
	s_or_b64 exec, exec, s[22:23]
.LBB2_1392:                             ;   in Loop: Header=BB2_835 Depth=2
	s_or_b64 exec, exec, s[24:25]
	v_cmp_lt_i16_e32 vcc, s53, v10
	s_mov_b64 s[22:23], 0
	s_and_saveexec_b64 s[24:25], vcc
	s_xor_b64 s[24:25], exec, s[24:25]
	s_cbranch_execz .LBB2_1533
; %bb.1393:                             ;   in Loop: Header=BB2_835 Depth=2
	v_cmp_eq_u16_e32 vcc, s55, v10
	s_mov_b64 s[22:23], -1
	s_and_saveexec_b64 s[26:27], vcc
; %bb.1394:                             ;   in Loop: Header=BB2_835 Depth=2
	s_xor_b64 s[22:23], exec, -1
; %bb.1395:                             ;   in Loop: Header=BB2_835 Depth=2
	s_or_b64 exec, exec, s[26:27]
	s_and_b64 s[22:23], s[22:23], exec
                                        ; implicit-def: $vgpr10
	s_or_saveexec_b64 s[24:25], s[24:25]
	v_bfrev_b32_e32 v14, 1
	s_xor_b64 exec, exec, s[24:25]
	s_cbranch_execnz .LBB2_1534
.LBB2_1396:                             ;   in Loop: Header=BB2_835 Depth=2
	s_or_b64 exec, exec, s[24:25]
	s_and_saveexec_b64 s[24:25], s[22:23]
.LBB2_1397:                             ;   in Loop: Header=BB2_835 Depth=2
	v_cndmask_b32_e64 v14, v11, v56, s[20:21]
.LBB2_1398:                             ;   in Loop: Header=BB2_835 Depth=2
	s_or_b64 exec, exec, s[24:25]
	v_max_f32_e32 v10, v14, v14
	v_max_f32_e32 v11, v15, v15
	v_min_f32_e32 v15, v11, v10
.LBB2_1399:                             ;   in Loop: Header=BB2_835 Depth=2
	v_and_b32_e32 v36, 0x7f800000, v15
	v_cmp_ne_u64_e32 vcc, s[72:73], v[36:37]
                                        ; implicit-def: $vgpr45
	s_and_saveexec_b64 s[20:21], vcc
	s_xor_b64 s[22:23], exec, s[20:21]
	s_cbranch_execz .LBB2_1413
; %bb.1400:                             ;   in Loop: Header=BB2_835 Depth=2
	v_and_b32_e32 v36, 0x7fffffff, v15
	v_cmp_gt_u64_e32 vcc, s[74:75], v[36:37]
	v_and_b32_sdwa v52, v15, s55 dst_sel:DWORD dst_unused:UNUSED_PAD src0_sel:BYTE_3 src1_sel:DWORD
                                        ; implicit-def: $vgpr45
	s_and_saveexec_b64 s[20:21], vcc
	s_xor_b64 s[24:25], exec, s[20:21]
	s_cbranch_execz .LBB2_1410
; %bb.1401:                             ;   in Loop: Header=BB2_835 Depth=2
	v_mov_b32_e32 v45, 0
	v_cmp_ne_u32_e32 vcc, 0, v15
	s_and_saveexec_b64 s[26:27], vcc
	s_cbranch_execz .LBB2_1409
; %bb.1402:                             ;   in Loop: Header=BB2_835 Depth=2
	v_bfe_u32 v53, v15, 23, 8
	v_cmp_gt_u32_e64 s[20:21], s64, v53
	v_sub_u32_e32 v11, 0x79, v53
	v_and_b32_e32 v10, 0x7fffff, v15
	v_cmp_eq_u32_e32 vcc, 0, v53
	v_cndmask_b32_e64 v11, 0, v11, s[20:21]
	v_or_b32_e32 v14, 0x800000, v10
	v_cndmask_b32_e32 v45, v11, v2, vcc
	v_cndmask_b32_e32 v36, v14, v10, vcc
	v_add_u32_e32 v10, 20, v45
	v_lshlrev_b64 v[10:11], v10, -1
	v_add_u32_e32 v14, 19, v45
	v_lshlrev_b64 v[14:15], v14, 1
	v_bfi_b32 v11, v11, 0, 0
	v_bfi_b32 v10, v10, 0, v36
	v_cmp_eq_u64_e64 s[20:21], v[10:11], v[14:15]
	v_lshrrev_b64 v[10:11], v45, v[36:37]
	v_mov_b32_e32 v15, v11
	v_mov_b32_e32 v14, v10
	s_and_saveexec_b64 s[34:35], s[20:21]
; %bb.1403:                             ;   in Loop: Header=BB2_835 Depth=2
	v_bfe_u32 v11, v10, 20, 1
	v_add_co_u32_e64 v11, s[20:21], v10, v11
	v_add_co_u32_e64 v14, s[20:21], -1, v11
; %bb.1404:                             ;   in Loop: Header=BB2_835 Depth=2
	s_or_b64 exec, exec, s[34:35]
	v_add_u32_e32 v11, 0xffffff81, v53
	v_cndmask_b32_e32 v11, v11, v20, vcc
	v_lshrrev_b32_e32 v15, 23, v10
	v_add3_u32 v53, v45, v11, v15
	v_add_u32_e32 v15, 6, v53
	v_and_b32_e32 v11, 0xfffff, v14
	v_add_u32_e32 v36, v11, v10
	v_cmp_ne_u32_e32 vcc, 0, v15
                                        ; implicit-def: $vgpr10_vgpr11
                                        ; implicit-def: $vgpr14
	s_and_saveexec_b64 s[20:21], vcc
	s_xor_b64 s[20:21], exec, s[20:21]
; %bb.1405:                             ;   in Loop: Header=BB2_835 Depth=2
	v_cmp_lt_u64_e32 vcc, s[76:77], v[36:37]
	v_add_u32_e32 v10, 7, v53
	v_cndmask_b32_e32 v14, v15, v10, vcc
	v_cndmask_b32_e64 v10, 0, 1, vcc
	v_lshrrev_b64 v[10:11], v10, v[36:37]
; %bb.1406:                             ;   in Loop: Header=BB2_835 Depth=2
	s_andn2_saveexec_b64 s[20:21], s[20:21]
; %bb.1407:                             ;   in Loop: Header=BB2_835 Depth=2
	v_mov_b32_e32 v10, v36
	v_bfe_u32 v14, v36, 23, 1
	v_mov_b32_e32 v11, v37
; %bb.1408:                             ;   in Loop: Header=BB2_835 Depth=2
	s_or_b64 exec, exec, s[20:21]
	v_lshrrev_b64 v[10:11], 20, v[10:11]
	v_cmp_gt_i32_e32 vcc, 16, v14
	v_cndmask_b32_e32 v11, 0, v11, vcc
	v_cndmask_b32_e32 v10, 7, v10, vcc
	v_cmp_eq_u64_e64 s[20:21], 0, v[10:11]
	v_min_i32_e32 v11, 15, v14
	v_lshlrev_b32_e32 v11, 3, v11
	v_cmp_eq_u32_e32 vcc, 0, v14
	v_and_b32_e32 v11, 0xf8, v11
	v_and_or_b32 v10, v10, 7, v11
	s_and_b64 s[20:21], vcc, s[20:21]
	v_cndmask_b32_e64 v10, v10, 0, s[20:21]
	v_or_b32_e32 v45, v10, v52
.LBB2_1409:                             ;   in Loop: Header=BB2_835 Depth=2
	s_or_b64 exec, exec, s[26:27]
                                        ; implicit-def: $vgpr52
.LBB2_1410:                             ;   in Loop: Header=BB2_835 Depth=2
	s_andn2_saveexec_b64 s[20:21], s[24:25]
; %bb.1411:                             ;   in Loop: Header=BB2_835 Depth=2
	v_or_b32_e32 v45, 0x7e, v52
; %bb.1412:                             ;   in Loop: Header=BB2_835 Depth=2
	s_or_b64 exec, exec, s[20:21]
                                        ; implicit-def: $vgpr15
.LBB2_1413:                             ;   in Loop: Header=BB2_835 Depth=2
	s_andn2_saveexec_b64 s[20:21], s[22:23]
; %bb.1414:                             ;   in Loop: Header=BB2_835 Depth=2
	v_or_b32_sdwa v45, v15, s53 dst_sel:DWORD dst_unused:UNUSED_PAD src0_sel:BYTE_3 src1_sel:DWORD
; %bb.1415:                             ;   in Loop: Header=BB2_835 Depth=2
	s_or_b64 exec, exec, s[20:21]
	v_bfe_u32 v11, v17, 16, 3
	v_bfe_u32 v14, v17, 16, 7
	v_cmp_eq_u32_e64 s[20:21], s53, v14
	v_cmp_gt_u32_e32 vcc, 8, v14
	v_ffbh_u32_e32 v14, v11
	v_min_u32_e32 v25, 32, v14
	v_lshrrev_b32_e32 v10, 16, v17
	v_subrev_u32_e32 v14, 28, v25
	v_lshlrev_b64 v[14:15], v14, v[10:11]
	v_bfe_u32 v24, v10, 3, 4
	v_sub_u32_e32 v15, 29, v25
	v_and_b32_e32 v14, 7, v14
	v_cndmask_b32_e32 v15, v24, v15, vcc
	v_cndmask_b32_e32 v11, v11, v14, vcc
	v_lshlrev_b32_e32 v14, 8, v17
	v_lshlrev_b32_e32 v11, 20, v11
	v_and_b32_e32 v14, 0x80000000, v14
	v_lshl_add_u32 v15, v15, 23, v3
	v_or3_b32 v14, v14, v15, v11
	v_lshrrev_b32_e32 v11, 16, v13
	v_cmp_ne_u16_sdwa s[22:23], v11, v37 src0_sel:BYTE_0 src1_sel:DWORD
	s_mov_b64 s[24:25], -1
	s_and_b64 vcc, exec, s[30:31]
                                        ; implicit-def: $vgpr15
	s_cbranch_vccz .LBB2_1429
; %bb.1416:                             ;   in Loop: Header=BB2_835 Depth=2
	v_mov_b32_e32 v15, 0
	s_and_saveexec_b64 s[24:25], s[22:23]
	s_cbranch_execz .LBB2_1422
; %bb.1417:                             ;   in Loop: Header=BB2_835 Depth=2
	v_cmp_ne_u16_sdwa vcc, v11, s55 src0_sel:BYTE_0 src1_sel:DWORD
	v_bfrev_b32_e32 v15, 1
	s_and_saveexec_b64 s[26:27], vcc
	s_cbranch_execz .LBB2_1421
; %bb.1418:                             ;   in Loop: Header=BB2_835 Depth=2
	v_bfe_u32 v36, v13, 16, 7
	v_cmp_ne_u32_e32 vcc, s53, v36
	v_mov_b32_e32 v15, 0x7f800001
	s_and_saveexec_b64 s[34:35], vcc
	s_cbranch_execz .LBB2_1420
; %bb.1419:                             ;   in Loop: Header=BB2_835 Depth=2
	v_and_b32_e32 v15, 7, v11
	v_ffbh_u32_e32 v24, v15
	v_lshrrev_b32_e32 v52, 3, v36
	v_cmp_gt_u32_e32 vcc, 8, v36
	v_min_u32_e32 v36, 32, v24
	v_subrev_u32_e32 v24, 28, v36
	v_lshlrev_b64 v[24:25], v24, v[11:12]
	v_sub_u32_e32 v25, 29, v36
	v_and_b32_e32 v24, 7, v24
	v_cndmask_b32_e32 v25, v52, v25, vcc
	v_cndmask_b32_e32 v15, v15, v24, vcc
	v_lshlrev_b32_e32 v24, 24, v11
	v_lshlrev_b32_e32 v15, 20, v15
	v_and_b32_e32 v24, 0x80000000, v24
	v_lshl_add_u32 v25, v25, 23, v3
	v_or3_b32 v15, v24, v25, v15
.LBB2_1420:                             ;   in Loop: Header=BB2_835 Depth=2
	s_or_b64 exec, exec, s[34:35]
.LBB2_1421:                             ;   in Loop: Header=BB2_835 Depth=2
	s_or_b64 exec, exec, s[26:27]
.LBB2_1422:                             ;   in Loop: Header=BB2_835 Depth=2
	s_or_b64 exec, exec, s[24:25]
	v_cmp_gt_i16_sdwa s[26:27], v10, s53 src0_sel:BYTE_0 src1_sel:DWORD
	s_mov_b64 s[24:25], 0
	s_and_saveexec_b64 vcc, s[26:27]
	s_xor_b64 s[26:27], exec, vcc
	s_cbranch_execz .LBB2_1535
; %bb.1423:                             ;   in Loop: Header=BB2_835 Depth=2
	v_cmp_eq_u16_sdwa s[34:35], v10, s55 src0_sel:BYTE_0 src1_sel:DWORD
	s_mov_b64 s[24:25], -1
	s_and_saveexec_b64 vcc, s[34:35]
; %bb.1424:                             ;   in Loop: Header=BB2_835 Depth=2
	s_xor_b64 s[24:25], exec, -1
; %bb.1425:                             ;   in Loop: Header=BB2_835 Depth=2
	s_or_b64 exec, exec, vcc
	s_and_b64 s[24:25], s[24:25], exec
	s_or_saveexec_b64 s[26:27], s[26:27]
	v_bfrev_b32_e32 v36, 1
	s_xor_b64 exec, exec, s[26:27]
	s_cbranch_execnz .LBB2_1536
.LBB2_1426:                             ;   in Loop: Header=BB2_835 Depth=2
	s_or_b64 exec, exec, s[26:27]
	s_and_saveexec_b64 s[26:27], s[24:25]
.LBB2_1427:                             ;   in Loop: Header=BB2_835 Depth=2
	v_cndmask_b32_e64 v36, v14, v56, s[20:21]
.LBB2_1428:                             ;   in Loop: Header=BB2_835 Depth=2
	s_or_b64 exec, exec, s[26:27]
	v_max_f32_e32 v24, v36, v36
	v_max_f32_e32 v15, v15, v15
	;; [unrolled: 1-line block ×3, first 2 shown]
	s_mov_b64 s[24:25], 0
.LBB2_1429:                             ;   in Loop: Header=BB2_835 Depth=2
	s_and_b64 vcc, exec, s[24:25]
	s_cbranch_vccz .LBB2_1443
; %bb.1430:                             ;   in Loop: Header=BB2_835 Depth=2
	v_mov_b32_e32 v15, 0
	s_and_saveexec_b64 s[24:25], s[22:23]
	s_cbranch_execz .LBB2_1436
; %bb.1431:                             ;   in Loop: Header=BB2_835 Depth=2
	v_cmp_ne_u16_sdwa s[26:27], v11, s55 src0_sel:BYTE_0 src1_sel:DWORD
	v_bfrev_b32_e32 v15, 1
	s_and_saveexec_b64 s[22:23], s[26:27]
	s_cbranch_execz .LBB2_1435
; %bb.1432:                             ;   in Loop: Header=BB2_835 Depth=2
	v_bfe_u32 v36, v13, 16, 7
	v_cmp_ne_u32_e32 vcc, s53, v36
	v_mov_b32_e32 v15, 0x7f800001
	s_and_saveexec_b64 s[26:27], vcc
	s_cbranch_execz .LBB2_1434
; %bb.1433:                             ;   in Loop: Header=BB2_835 Depth=2
	v_and_b32_e32 v15, 7, v11
	v_ffbh_u32_e32 v24, v15
	v_lshrrev_b32_e32 v52, 3, v36
	v_cmp_gt_u32_e32 vcc, 8, v36
	v_min_u32_e32 v36, 32, v24
	v_subrev_u32_e32 v24, 28, v36
	v_lshlrev_b64 v[24:25], v24, v[11:12]
	v_sub_u32_e32 v25, 29, v36
	v_and_b32_e32 v24, 7, v24
	v_cndmask_b32_e32 v25, v52, v25, vcc
	v_cndmask_b32_e32 v15, v15, v24, vcc
	v_lshlrev_b32_e32 v11, 24, v11
	v_lshlrev_b32_e32 v15, 20, v15
	v_and_b32_e32 v11, 0x80000000, v11
	v_lshl_add_u32 v24, v25, 23, v3
	v_or3_b32 v15, v11, v24, v15
.LBB2_1434:                             ;   in Loop: Header=BB2_835 Depth=2
	s_or_b64 exec, exec, s[26:27]
.LBB2_1435:                             ;   in Loop: Header=BB2_835 Depth=2
	s_or_b64 exec, exec, s[22:23]
.LBB2_1436:                             ;   in Loop: Header=BB2_835 Depth=2
	s_or_b64 exec, exec, s[24:25]
	v_cmp_gt_i16_sdwa s[24:25], v10, s53 src0_sel:BYTE_0 src1_sel:DWORD
	s_mov_b64 s[22:23], 0
	s_and_saveexec_b64 s[26:27], s[24:25]
	s_xor_b64 s[24:25], exec, s[26:27]
	s_cbranch_execz .LBB2_1537
; %bb.1437:                             ;   in Loop: Header=BB2_835 Depth=2
	v_cmp_eq_u16_sdwa vcc, v10, s55 src0_sel:BYTE_0 src1_sel:DWORD
	s_mov_b64 s[22:23], -1
	s_and_saveexec_b64 s[26:27], vcc
; %bb.1438:                             ;   in Loop: Header=BB2_835 Depth=2
	s_xor_b64 s[22:23], exec, -1
; %bb.1439:                             ;   in Loop: Header=BB2_835 Depth=2
	s_or_b64 exec, exec, s[26:27]
	s_and_b64 s[22:23], s[22:23], exec
                                        ; implicit-def: $vgpr10
	s_or_saveexec_b64 s[24:25], s[24:25]
	v_bfrev_b32_e32 v11, 1
	s_xor_b64 exec, exec, s[24:25]
	s_cbranch_execnz .LBB2_1538
.LBB2_1440:                             ;   in Loop: Header=BB2_835 Depth=2
	s_or_b64 exec, exec, s[24:25]
	s_and_saveexec_b64 s[24:25], s[22:23]
.LBB2_1441:                             ;   in Loop: Header=BB2_835 Depth=2
	v_cndmask_b32_e64 v11, v14, v56, s[20:21]
.LBB2_1442:                             ;   in Loop: Header=BB2_835 Depth=2
	s_or_b64 exec, exec, s[24:25]
	v_max_f32_e32 v10, v11, v11
	v_max_f32_e32 v11, v15, v15
	v_min_f32_e32 v15, v11, v10
.LBB2_1443:                             ;   in Loop: Header=BB2_835 Depth=2
	v_and_b32_e32 v36, 0x7f800000, v15
	v_cmp_ne_u64_e32 vcc, s[72:73], v[36:37]
                                        ; implicit-def: $vgpr14
	s_and_saveexec_b64 s[20:21], vcc
	s_xor_b64 s[22:23], exec, s[20:21]
	s_cbranch_execz .LBB2_1457
; %bb.1444:                             ;   in Loop: Header=BB2_835 Depth=2
	v_and_b32_e32 v36, 0x7fffffff, v15
	v_cmp_gt_u64_e32 vcc, s[74:75], v[36:37]
	v_and_b32_sdwa v52, v15, s55 dst_sel:DWORD dst_unused:UNUSED_PAD src0_sel:BYTE_3 src1_sel:DWORD
                                        ; implicit-def: $vgpr14
	s_and_saveexec_b64 s[20:21], vcc
	s_xor_b64 s[24:25], exec, s[20:21]
	s_cbranch_execz .LBB2_1454
; %bb.1445:                             ;   in Loop: Header=BB2_835 Depth=2
	v_mov_b32_e32 v14, 0
	v_cmp_ne_u32_e32 vcc, 0, v15
	s_and_saveexec_b64 s[26:27], vcc
	s_cbranch_execz .LBB2_1453
; %bb.1446:                             ;   in Loop: Header=BB2_835 Depth=2
	v_bfe_u32 v53, v15, 23, 8
	v_cmp_gt_u32_e64 s[20:21], s64, v53
	v_sub_u32_e32 v11, 0x79, v53
	v_and_b32_e32 v10, 0x7fffff, v15
	v_cmp_eq_u32_e32 vcc, 0, v53
	v_cndmask_b32_e64 v11, 0, v11, s[20:21]
	v_or_b32_e32 v14, 0x800000, v10
	v_cndmask_b32_e32 v60, v11, v2, vcc
	v_cndmask_b32_e32 v36, v14, v10, vcc
	v_add_u32_e32 v10, 20, v60
	v_lshlrev_b64 v[10:11], v10, -1
	v_add_u32_e32 v14, 19, v60
	v_lshlrev_b64 v[14:15], v14, 1
	v_bfi_b32 v11, v11, 0, 0
	v_bfi_b32 v10, v10, 0, v36
	v_cmp_eq_u64_e64 s[20:21], v[10:11], v[14:15]
	v_lshrrev_b64 v[10:11], v60, v[36:37]
	v_mov_b32_e32 v15, v11
	v_mov_b32_e32 v14, v10
	s_and_saveexec_b64 s[34:35], s[20:21]
; %bb.1447:                             ;   in Loop: Header=BB2_835 Depth=2
	v_bfe_u32 v11, v10, 20, 1
	v_add_co_u32_e64 v11, s[20:21], v10, v11
	v_add_co_u32_e64 v14, s[20:21], -1, v11
; %bb.1448:                             ;   in Loop: Header=BB2_835 Depth=2
	s_or_b64 exec, exec, s[34:35]
	v_add_u32_e32 v11, 0xffffff81, v53
	v_cndmask_b32_e32 v11, v11, v20, vcc
	v_lshrrev_b32_e32 v15, 23, v10
	v_add3_u32 v53, v60, v11, v15
	v_add_u32_e32 v15, 6, v53
	v_and_b32_e32 v11, 0xfffff, v14
	v_add_u32_e32 v36, v11, v10
	v_cmp_ne_u32_e32 vcc, 0, v15
                                        ; implicit-def: $vgpr10_vgpr11
                                        ; implicit-def: $vgpr14
	s_and_saveexec_b64 s[20:21], vcc
	s_xor_b64 s[20:21], exec, s[20:21]
; %bb.1449:                             ;   in Loop: Header=BB2_835 Depth=2
	v_cmp_lt_u64_e32 vcc, s[76:77], v[36:37]
	v_add_u32_e32 v10, 7, v53
	v_cndmask_b32_e32 v14, v15, v10, vcc
	v_cndmask_b32_e64 v10, 0, 1, vcc
	v_lshrrev_b64 v[10:11], v10, v[36:37]
; %bb.1450:                             ;   in Loop: Header=BB2_835 Depth=2
	s_andn2_saveexec_b64 s[20:21], s[20:21]
; %bb.1451:                             ;   in Loop: Header=BB2_835 Depth=2
	v_mov_b32_e32 v10, v36
	v_bfe_u32 v14, v36, 23, 1
	v_mov_b32_e32 v11, v37
; %bb.1452:                             ;   in Loop: Header=BB2_835 Depth=2
	s_or_b64 exec, exec, s[20:21]
	v_lshrrev_b64 v[10:11], 20, v[10:11]
	v_cmp_gt_i32_e32 vcc, 16, v14
	v_cndmask_b32_e32 v11, 0, v11, vcc
	v_cndmask_b32_e32 v10, 7, v10, vcc
	v_cmp_eq_u64_e64 s[20:21], 0, v[10:11]
	v_min_i32_e32 v11, 15, v14
	v_lshlrev_b32_e32 v11, 3, v11
	v_cmp_eq_u32_e32 vcc, 0, v14
	v_and_b32_e32 v11, 0xf8, v11
	v_and_or_b32 v10, v10, 7, v11
	s_and_b64 s[20:21], vcc, s[20:21]
	v_cndmask_b32_e64 v10, v10, 0, s[20:21]
	v_or_b32_e32 v14, v10, v52
.LBB2_1453:                             ;   in Loop: Header=BB2_835 Depth=2
	s_or_b64 exec, exec, s[26:27]
                                        ; implicit-def: $vgpr52
.LBB2_1454:                             ;   in Loop: Header=BB2_835 Depth=2
	s_andn2_saveexec_b64 s[20:21], s[24:25]
; %bb.1455:                             ;   in Loop: Header=BB2_835 Depth=2
	v_or_b32_e32 v14, 0x7e, v52
; %bb.1456:                             ;   in Loop: Header=BB2_835 Depth=2
	s_or_b64 exec, exec, s[20:21]
                                        ; implicit-def: $vgpr15
.LBB2_1457:                             ;   in Loop: Header=BB2_835 Depth=2
	s_andn2_saveexec_b64 s[20:21], s[22:23]
; %bb.1458:                             ;   in Loop: Header=BB2_835 Depth=2
	v_or_b32_sdwa v14, v15, s53 dst_sel:DWORD dst_unused:UNUSED_PAD src0_sel:BYTE_3 src1_sel:DWORD
; %bb.1459:                             ;   in Loop: Header=BB2_835 Depth=2
	s_or_b64 exec, exec, s[20:21]
	v_bfe_u32 v24, v17, 24, 3
	v_bfe_u32 v15, v17, 24, 7
	v_cmp_eq_u32_e64 s[24:25], s53, v15
	v_cmp_gt_u32_e32 vcc, 8, v15
	v_ffbh_u32_e32 v15, v24
	v_min_u32_e32 v36, 32, v15
	v_lshrrev_b32_e32 v11, 24, v17
	v_subrev_u32_e32 v15, 28, v36
	v_cmp_gt_u64_e64 s[20:21], s[58:59], v[16:17]
	v_lshlrev_b64 v[15:16], v15, v[11:12]
	v_bfe_u32 v25, v11, 3, 4
	v_cmp_eq_u32_e64 s[22:23], s55, v11
	v_sub_u32_e32 v11, 29, v36
	v_and_b32_e32 v15, 7, v15
	v_cndmask_b32_e32 v11, v25, v11, vcc
	v_cndmask_b32_e32 v15, v24, v15, vcc
	v_lshlrev_b32_e32 v15, 20, v15
	v_and_b32_e32 v16, 0x80000000, v17
	v_lshl_add_u32 v11, v11, 23, v3
	v_cmp_lt_u64_e64 s[26:27], s[78:79], v[12:13]
	v_lshrrev_b32_e32 v10, 24, v13
	v_or3_b32 v11, v16, v11, v15
	s_mov_b64 s[34:35], -1
	s_and_b64 vcc, exec, s[30:31]
                                        ; implicit-def: $vgpr12
	s_cbranch_vccz .LBB2_1467
; %bb.1460:                             ;   in Loop: Header=BB2_835 Depth=2
	v_mov_b32_e32 v12, 0
	s_and_saveexec_b64 s[34:35], s[26:27]
	s_cbranch_execz .LBB2_1466
; %bb.1461:                             ;   in Loop: Header=BB2_835 Depth=2
	v_cmp_ne_u32_e32 vcc, s55, v10
	v_bfrev_b32_e32 v12, 1
	s_and_saveexec_b64 s[36:37], vcc
	s_cbranch_execz .LBB2_1465
; %bb.1462:                             ;   in Loop: Header=BB2_835 Depth=2
	v_bfe_u32 v15, v13, 24, 7
	v_cmp_ne_u32_e32 vcc, s53, v15
	v_mov_b32_e32 v12, 0x7f800001
	s_and_saveexec_b64 s[38:39], vcc
	s_cbranch_execz .LBB2_1464
; %bb.1463:                             ;   in Loop: Header=BB2_835 Depth=2
	v_and_b32_e32 v12, 7, v10
	v_lshrrev_b32_e32 v17, 3, v15
	v_cmp_gt_u32_e32 vcc, 8, v15
	v_ffbh_u32_e32 v15, v12
	v_min_u32_e32 v24, 32, v15
	v_subrev_u32_e32 v15, 28, v24
	v_lshlrev_b64 v[15:16], v15, v[10:11]
	v_sub_u32_e32 v16, 29, v24
	v_and_b32_e32 v15, 7, v15
	v_cndmask_b32_e32 v16, v17, v16, vcc
	v_cndmask_b32_e32 v12, v12, v15, vcc
	v_lshlrev_b32_e32 v15, 24, v10
	v_lshlrev_b32_e32 v12, 20, v12
	v_and_b32_e32 v15, 0x80000000, v15
	v_lshl_add_u32 v16, v16, 23, v3
	v_or3_b32 v12, v15, v16, v12
.LBB2_1464:                             ;   in Loop: Header=BB2_835 Depth=2
	s_or_b64 exec, exec, s[38:39]
.LBB2_1465:                             ;   in Loop: Header=BB2_835 Depth=2
	s_or_b64 exec, exec, s[36:37]
.LBB2_1466:                             ;   in Loop: Header=BB2_835 Depth=2
	s_or_b64 exec, exec, s[34:35]
	v_cndmask_b32_e64 v15, v11, v56, s[24:25]
	v_cndmask_b32_e64 v15, v15, v21, s[22:23]
	;; [unrolled: 1-line block ×3, first 2 shown]
	v_max_f32_e32 v15, v15, v15
	v_max_f32_e32 v12, v12, v12
	;; [unrolled: 1-line block ×3, first 2 shown]
	s_mov_b64 s[34:35], 0
.LBB2_1467:                             ;   in Loop: Header=BB2_835 Depth=2
	s_and_b64 vcc, exec, s[34:35]
	s_cbranch_vccz .LBB2_1475
; %bb.1468:                             ;   in Loop: Header=BB2_835 Depth=2
	v_mov_b32_e32 v12, 0
	s_and_saveexec_b64 s[34:35], s[26:27]
	s_cbranch_execz .LBB2_1474
; %bb.1469:                             ;   in Loop: Header=BB2_835 Depth=2
	v_cmp_ne_u32_e32 vcc, s55, v10
	v_bfrev_b32_e32 v12, 1
	s_and_saveexec_b64 s[26:27], vcc
	s_cbranch_execz .LBB2_1473
; %bb.1470:                             ;   in Loop: Header=BB2_835 Depth=2
	v_bfe_u32 v13, v13, 24, 7
	v_cmp_ne_u32_e32 vcc, s53, v13
	v_mov_b32_e32 v12, 0x7f800001
	s_and_saveexec_b64 s[36:37], vcc
	s_cbranch_execz .LBB2_1472
; %bb.1471:                             ;   in Loop: Header=BB2_835 Depth=2
	v_and_b32_e32 v15, 7, v10
	v_ffbh_u32_e32 v12, v15
	v_min_u32_e32 v17, 32, v12
	v_subrev_u32_e32 v12, 28, v17
	v_lshrrev_b32_e32 v16, 3, v13
	v_cmp_gt_u32_e32 vcc, 8, v13
	v_lshlrev_b64 v[12:13], v12, v[10:11]
	v_sub_u32_e32 v13, 29, v17
	v_and_b32_e32 v12, 7, v12
	v_cndmask_b32_e32 v13, v16, v13, vcc
	v_cndmask_b32_e32 v12, v15, v12, vcc
	v_lshlrev_b32_e32 v10, 24, v10
	v_lshlrev_b32_e32 v12, 20, v12
	v_and_b32_e32 v10, 0x80000000, v10
	v_lshl_add_u32 v13, v13, 23, v3
	v_or3_b32 v12, v10, v13, v12
.LBB2_1472:                             ;   in Loop: Header=BB2_835 Depth=2
	s_or_b64 exec, exec, s[36:37]
.LBB2_1473:                             ;   in Loop: Header=BB2_835 Depth=2
	s_or_b64 exec, exec, s[26:27]
.LBB2_1474:                             ;   in Loop: Header=BB2_835 Depth=2
	s_or_b64 exec, exec, s[34:35]
	v_cndmask_b32_e64 v10, v11, v56, s[24:25]
	v_cndmask_b32_e64 v10, v10, v21, s[22:23]
	;; [unrolled: 1-line block ×3, first 2 shown]
	v_max_f32_e32 v10, v10, v10
	v_max_f32_e32 v11, v12, v12
	v_min_f32_e32 v12, v11, v10
.LBB2_1475:                             ;   in Loop: Header=BB2_835 Depth=2
	v_and_b32_e32 v36, 0x7f800000, v12
	v_cmp_ne_u64_e32 vcc, s[72:73], v[36:37]
                                        ; implicit-def: $vgpr10
	s_and_saveexec_b64 s[20:21], vcc
	s_xor_b64 s[22:23], exec, s[20:21]
	s_cbranch_execz .LBB2_1489
; %bb.1476:                             ;   in Loop: Header=BB2_835 Depth=2
	v_and_b32_e32 v36, 0x7fffffff, v12
	v_cmp_gt_u64_e32 vcc, s[74:75], v[36:37]
	v_and_b32_sdwa v13, v12, s55 dst_sel:DWORD dst_unused:UNUSED_PAD src0_sel:BYTE_3 src1_sel:DWORD
                                        ; implicit-def: $vgpr10
	s_and_saveexec_b64 s[20:21], vcc
	s_xor_b64 s[24:25], exec, s[20:21]
	s_cbranch_execz .LBB2_1486
; %bb.1477:                             ;   in Loop: Header=BB2_835 Depth=2
	v_mov_b32_e32 v10, 0
	v_cmp_ne_u32_e32 vcc, 0, v12
	s_and_saveexec_b64 s[26:27], vcc
	s_cbranch_execz .LBB2_1485
; %bb.1478:                             ;   in Loop: Header=BB2_835 Depth=2
	v_bfe_u32 v15, v12, 23, 8
	v_cmp_gt_u32_e64 s[20:21], s64, v15
	v_sub_u32_e32 v11, 0x79, v15
	v_and_b32_e32 v10, 0x7fffff, v12
	v_cmp_eq_u32_e32 vcc, 0, v15
	v_cndmask_b32_e64 v11, 0, v11, s[20:21]
	v_or_b32_e32 v12, 0x800000, v10
	v_cndmask_b32_e32 v16, v11, v2, vcc
	v_cndmask_b32_e32 v36, v12, v10, vcc
	v_add_u32_e32 v10, 20, v16
	v_lshlrev_b64 v[10:11], v10, -1
	v_add_u32_e32 v12, 19, v16
	v_lshlrev_b64 v[24:25], v12, 1
	v_bfi_b32 v11, v11, 0, 0
	v_bfi_b32 v10, v10, 0, v36
	v_cmp_eq_u64_e64 s[20:21], v[10:11], v[24:25]
	v_lshrrev_b64 v[10:11], v16, v[36:37]
	v_mov_b32_e32 v12, v11
	v_mov_b32_e32 v11, v10
	s_and_saveexec_b64 s[34:35], s[20:21]
; %bb.1479:                             ;   in Loop: Header=BB2_835 Depth=2
	v_bfe_u32 v11, v10, 20, 1
	v_add_co_u32_e64 v11, s[20:21], v10, v11
	v_add_co_u32_e64 v11, s[20:21], -1, v11
; %bb.1480:                             ;   in Loop: Header=BB2_835 Depth=2
	s_or_b64 exec, exec, s[34:35]
	v_add_u32_e32 v12, 0xffffff81, v15
	v_cndmask_b32_e32 v12, v12, v20, vcc
	v_lshrrev_b32_e32 v15, 23, v10
	v_add3_u32 v16, v16, v12, v15
	v_add_u32_e32 v15, 6, v16
	v_and_b32_e32 v11, 0xfffff, v11
	v_add_u32_e32 v36, v11, v10
	v_cmp_ne_u32_e32 vcc, 0, v15
                                        ; implicit-def: $vgpr10_vgpr11
                                        ; implicit-def: $vgpr12
	s_and_saveexec_b64 s[20:21], vcc
	s_xor_b64 s[20:21], exec, s[20:21]
; %bb.1481:                             ;   in Loop: Header=BB2_835 Depth=2
	v_cmp_lt_u64_e32 vcc, s[76:77], v[36:37]
	v_add_u32_e32 v10, 7, v16
	v_cndmask_b32_e32 v12, v15, v10, vcc
	v_cndmask_b32_e64 v10, 0, 1, vcc
	v_lshrrev_b64 v[10:11], v10, v[36:37]
; %bb.1482:                             ;   in Loop: Header=BB2_835 Depth=2
	s_andn2_saveexec_b64 s[20:21], s[20:21]
; %bb.1483:                             ;   in Loop: Header=BB2_835 Depth=2
	v_mov_b32_e32 v10, v36
	v_bfe_u32 v12, v36, 23, 1
	v_mov_b32_e32 v11, v37
; %bb.1484:                             ;   in Loop: Header=BB2_835 Depth=2
	s_or_b64 exec, exec, s[20:21]
	v_lshrrev_b64 v[10:11], 20, v[10:11]
	v_cmp_gt_i32_e32 vcc, 16, v12
	v_cndmask_b32_e32 v11, 0, v11, vcc
	v_cndmask_b32_e32 v10, 7, v10, vcc
	v_cmp_eq_u64_e64 s[20:21], 0, v[10:11]
	v_min_i32_e32 v11, 15, v12
	v_lshlrev_b32_e32 v11, 3, v11
	v_cmp_eq_u32_e32 vcc, 0, v12
	v_and_b32_e32 v11, 0xf8, v11
	v_and_or_b32 v10, v10, 7, v11
	s_and_b64 s[20:21], vcc, s[20:21]
	v_cndmask_b32_e64 v10, v10, 0, s[20:21]
	v_or_b32_e32 v10, v10, v13
.LBB2_1485:                             ;   in Loop: Header=BB2_835 Depth=2
	s_or_b64 exec, exec, s[26:27]
                                        ; implicit-def: $vgpr13
.LBB2_1486:                             ;   in Loop: Header=BB2_835 Depth=2
	s_andn2_saveexec_b64 s[20:21], s[24:25]
; %bb.1487:                             ;   in Loop: Header=BB2_835 Depth=2
	v_or_b32_e32 v10, 0x7e, v13
; %bb.1488:                             ;   in Loop: Header=BB2_835 Depth=2
	s_or_b64 exec, exec, s[20:21]
                                        ; implicit-def: $vgpr12
.LBB2_1489:                             ;   in Loop: Header=BB2_835 Depth=2
	s_andn2_saveexec_b64 s[20:21], s[22:23]
	s_cbranch_execz .LBB2_834
; %bb.1490:                             ;   in Loop: Header=BB2_835 Depth=2
	v_or_b32_sdwa v10, v12, s53 dst_sel:DWORD dst_unused:UNUSED_PAD src0_sel:BYTE_3 src1_sel:DWORD
	s_branch .LBB2_834
.LBB2_1491:                             ;   in Loop: Header=BB2_835 Depth=2
	s_or_saveexec_b64 s[26:27], s[26:27]
	v_bfrev_b32_e32 v19, 1
	s_xor_b64 exec, exec, s[26:27]
	s_cbranch_execz .LBB2_846
.LBB2_1492:                             ;   in Loop: Header=BB2_835 Depth=2
	v_cmp_ne_u16_sdwa vcc, v14, v37 src0_sel:BYTE_0 src1_sel:DWORD
	s_andn2_b64 s[24:25], s[24:25], exec
	s_and_b64 vcc, vcc, exec
	v_mov_b32_e32 v19, 0
	s_or_b64 s[24:25], s[24:25], vcc
	s_or_b64 exec, exec, s[26:27]
	s_and_saveexec_b64 s[26:27], s[24:25]
	s_cbranch_execnz .LBB2_847
	s_branch .LBB2_848
.LBB2_1493:                             ;   in Loop: Header=BB2_835 Depth=2
	s_or_saveexec_b64 s[24:25], s[24:25]
	v_bfrev_b32_e32 v19, 1
	s_xor_b64 exec, exec, s[24:25]
	s_cbranch_execz .LBB2_860
.LBB2_1494:                             ;   in Loop: Header=BB2_835 Depth=2
	v_cmp_ne_u16_sdwa s[26:27], v14, v37 src0_sel:BYTE_0 src1_sel:DWORD
	s_andn2_b64 s[22:23], s[22:23], exec
	s_and_b64 s[26:27], s[26:27], exec
	v_mov_b32_e32 v19, 0
	s_or_b64 s[22:23], s[22:23], s[26:27]
	s_or_b64 exec, exec, s[24:25]
	s_and_saveexec_b64 s[24:25], s[22:23]
	s_cbranch_execnz .LBB2_861
	s_branch .LBB2_862
.LBB2_1495:                             ;   in Loop: Header=BB2_835 Depth=2
	s_or_saveexec_b64 s[26:27], s[26:27]
	v_bfrev_b32_e32 v19, 1
	s_xor_b64 exec, exec, s[26:27]
	s_cbranch_execz .LBB2_890
.LBB2_1496:                             ;   in Loop: Header=BB2_835 Depth=2
	v_cmp_ne_u16_e32 vcc, 0, v36
	s_andn2_b64 s[24:25], s[24:25], exec
	s_and_b64 vcc, vcc, exec
	v_mov_b32_e32 v19, 0
	s_or_b64 s[24:25], s[24:25], vcc
	s_or_b64 exec, exec, s[26:27]
	s_and_saveexec_b64 s[26:27], s[24:25]
	s_cbranch_execnz .LBB2_891
	s_branch .LBB2_892
.LBB2_1497:                             ;   in Loop: Header=BB2_835 Depth=2
	s_or_saveexec_b64 s[24:25], s[24:25]
	v_bfrev_b32_e32 v19, 1
	s_xor_b64 exec, exec, s[24:25]
	s_cbranch_execz .LBB2_904
.LBB2_1498:                             ;   in Loop: Header=BB2_835 Depth=2
	v_cmp_ne_u16_e32 vcc, 0, v36
	s_andn2_b64 s[22:23], s[22:23], exec
	s_and_b64 s[26:27], vcc, exec
	v_mov_b32_e32 v19, 0
	s_or_b64 s[22:23], s[22:23], s[26:27]
	s_or_b64 exec, exec, s[24:25]
	s_and_saveexec_b64 s[24:25], s[22:23]
	s_cbranch_execnz .LBB2_905
	s_branch .LBB2_906
.LBB2_1499:                             ;   in Loop: Header=BB2_835 Depth=2
	s_or_saveexec_b64 s[26:27], s[26:27]
	v_bfrev_b32_e32 v19, 1
	s_xor_b64 exec, exec, s[26:27]
	s_cbranch_execz .LBB2_934
.LBB2_1500:                             ;   in Loop: Header=BB2_835 Depth=2
	v_cmp_ne_u16_sdwa vcc, v30, v37 src0_sel:BYTE_0 src1_sel:DWORD
	s_andn2_b64 s[24:25], s[24:25], exec
	s_and_b64 vcc, vcc, exec
	v_mov_b32_e32 v19, 0
	s_or_b64 s[24:25], s[24:25], vcc
	s_or_b64 exec, exec, s[26:27]
	s_and_saveexec_b64 s[26:27], s[24:25]
	s_cbranch_execnz .LBB2_935
	s_branch .LBB2_936
.LBB2_1501:                             ;   in Loop: Header=BB2_835 Depth=2
	s_or_saveexec_b64 s[24:25], s[24:25]
	v_bfrev_b32_e32 v19, 1
	s_xor_b64 exec, exec, s[24:25]
	s_cbranch_execz .LBB2_948
.LBB2_1502:                             ;   in Loop: Header=BB2_835 Depth=2
	v_cmp_ne_u16_sdwa s[26:27], v30, v37 src0_sel:BYTE_0 src1_sel:DWORD
	s_andn2_b64 s[22:23], s[22:23], exec
	s_and_b64 s[26:27], s[26:27], exec
	v_mov_b32_e32 v19, 0
	s_or_b64 s[22:23], s[22:23], s[26:27]
	s_or_b64 exec, exec, s[24:25]
	s_and_saveexec_b64 s[24:25], s[22:23]
	s_cbranch_execnz .LBB2_949
	s_branch .LBB2_950
.LBB2_1503:                             ;   in Loop: Header=BB2_835 Depth=2
	s_or_saveexec_b64 s[26:27], s[26:27]
	v_bfrev_b32_e32 v19, 1
	s_xor_b64 exec, exec, s[26:27]
	s_cbranch_execz .LBB2_1010
.LBB2_1504:                             ;   in Loop: Header=BB2_835 Depth=2
	v_cmp_ne_u16_sdwa vcc, v15, v37 src0_sel:BYTE_0 src1_sel:DWORD
	s_andn2_b64 s[24:25], s[24:25], exec
	s_and_b64 vcc, vcc, exec
	v_mov_b32_e32 v19, 0
	s_or_b64 s[24:25], s[24:25], vcc
	s_or_b64 exec, exec, s[26:27]
	s_and_saveexec_b64 s[26:27], s[24:25]
	s_cbranch_execnz .LBB2_1011
	s_branch .LBB2_1012
.LBB2_1505:                             ;   in Loop: Header=BB2_835 Depth=2
	s_or_saveexec_b64 s[24:25], s[24:25]
	v_bfrev_b32_e32 v19, 1
	s_xor_b64 exec, exec, s[24:25]
	s_cbranch_execz .LBB2_1024
.LBB2_1506:                             ;   in Loop: Header=BB2_835 Depth=2
	v_cmp_ne_u16_sdwa s[26:27], v15, v37 src0_sel:BYTE_0 src1_sel:DWORD
	s_andn2_b64 s[22:23], s[22:23], exec
	s_and_b64 s[26:27], s[26:27], exec
	v_mov_b32_e32 v19, 0
	s_or_b64 s[22:23], s[22:23], s[26:27]
	s_or_b64 exec, exec, s[24:25]
	s_and_saveexec_b64 s[24:25], s[22:23]
	s_cbranch_execnz .LBB2_1025
	s_branch .LBB2_1026
.LBB2_1507:                             ;   in Loop: Header=BB2_835 Depth=2
	s_or_saveexec_b64 s[26:27], s[26:27]
	v_bfrev_b32_e32 v19, 1
	s_xor_b64 exec, exec, s[26:27]
	s_cbranch_execz .LBB2_1054
.LBB2_1508:                             ;   in Loop: Header=BB2_835 Depth=2
	v_cmp_ne_u16_e32 vcc, 0, v36
	s_andn2_b64 s[24:25], s[24:25], exec
	s_and_b64 vcc, vcc, exec
	v_mov_b32_e32 v19, 0
	s_or_b64 s[24:25], s[24:25], vcc
	s_or_b64 exec, exec, s[26:27]
	s_and_saveexec_b64 s[26:27], s[24:25]
	s_cbranch_execnz .LBB2_1055
	s_branch .LBB2_1056
.LBB2_1509:                             ;   in Loop: Header=BB2_835 Depth=2
	s_or_saveexec_b64 s[24:25], s[24:25]
	v_bfrev_b32_e32 v19, 1
	s_xor_b64 exec, exec, s[24:25]
	s_cbranch_execz .LBB2_1068
.LBB2_1510:                             ;   in Loop: Header=BB2_835 Depth=2
	v_cmp_ne_u16_e32 vcc, 0, v36
	s_andn2_b64 s[22:23], s[22:23], exec
	s_and_b64 s[26:27], vcc, exec
	v_mov_b32_e32 v19, 0
	s_or_b64 s[22:23], s[22:23], s[26:27]
	s_or_b64 exec, exec, s[24:25]
	s_and_saveexec_b64 s[24:25], s[22:23]
	s_cbranch_execnz .LBB2_1069
	s_branch .LBB2_1070
.LBB2_1511:                             ;   in Loop: Header=BB2_835 Depth=2
	s_or_saveexec_b64 s[26:27], s[26:27]
	v_bfrev_b32_e32 v52, 1
	s_xor_b64 exec, exec, s[26:27]
	s_cbranch_execz .LBB2_1098
.LBB2_1512:                             ;   in Loop: Header=BB2_835 Depth=2
	v_cmp_ne_u16_sdwa vcc, v30, v37 src0_sel:BYTE_0 src1_sel:DWORD
	s_andn2_b64 s[24:25], s[24:25], exec
	s_and_b64 vcc, vcc, exec
	v_mov_b32_e32 v52, 0
	s_or_b64 s[24:25], s[24:25], vcc
	s_or_b64 exec, exec, s[26:27]
	s_and_saveexec_b64 s[26:27], s[24:25]
	s_cbranch_execnz .LBB2_1099
	s_branch .LBB2_1100
.LBB2_1513:                             ;   in Loop: Header=BB2_835 Depth=2
	s_or_saveexec_b64 s[24:25], s[24:25]
	v_bfrev_b32_e32 v36, 1
	s_xor_b64 exec, exec, s[24:25]
	s_cbranch_execz .LBB2_1112
.LBB2_1514:                             ;   in Loop: Header=BB2_835 Depth=2
	v_cmp_ne_u16_sdwa s[26:27], v30, v37 src0_sel:BYTE_0 src1_sel:DWORD
	s_andn2_b64 s[22:23], s[22:23], exec
	s_and_b64 s[26:27], s[26:27], exec
	v_mov_b32_e32 v36, 0
	s_or_b64 s[22:23], s[22:23], s[26:27]
	s_or_b64 exec, exec, s[24:25]
	s_and_saveexec_b64 s[24:25], s[22:23]
	s_cbranch_execnz .LBB2_1113
	s_branch .LBB2_1114
.LBB2_1515:                             ;   in Loop: Header=BB2_835 Depth=2
	s_or_saveexec_b64 s[26:27], s[26:27]
	v_bfrev_b32_e32 v14, 1
	s_xor_b64 exec, exec, s[26:27]
	s_cbranch_execz .LBB2_1174
.LBB2_1516:                             ;   in Loop: Header=BB2_835 Depth=2
	v_cmp_ne_u16_sdwa vcc, v16, v37 src0_sel:BYTE_0 src1_sel:DWORD
	s_andn2_b64 s[24:25], s[24:25], exec
	s_and_b64 vcc, vcc, exec
	v_mov_b32_e32 v14, 0
	s_or_b64 s[24:25], s[24:25], vcc
	s_or_b64 exec, exec, s[26:27]
	s_and_saveexec_b64 s[26:27], s[24:25]
	s_cbranch_execnz .LBB2_1175
	s_branch .LBB2_1176
.LBB2_1517:                             ;   in Loop: Header=BB2_835 Depth=2
	s_or_saveexec_b64 s[24:25], s[24:25]
	v_bfrev_b32_e32 v14, 1
	s_xor_b64 exec, exec, s[24:25]
	s_cbranch_execz .LBB2_1188
.LBB2_1518:                             ;   in Loop: Header=BB2_835 Depth=2
	v_cmp_ne_u16_sdwa s[26:27], v16, v37 src0_sel:BYTE_0 src1_sel:DWORD
	s_andn2_b64 s[22:23], s[22:23], exec
	s_and_b64 s[26:27], s[26:27], exec
	v_mov_b32_e32 v14, 0
	s_or_b64 s[22:23], s[22:23], s[26:27]
	s_or_b64 exec, exec, s[24:25]
	s_and_saveexec_b64 s[24:25], s[22:23]
	s_cbranch_execnz .LBB2_1189
	s_branch .LBB2_1190
.LBB2_1519:                             ;   in Loop: Header=BB2_835 Depth=2
	s_or_saveexec_b64 s[26:27], s[26:27]
	v_bfrev_b32_e32 v15, 1
	s_xor_b64 exec, exec, s[26:27]
	s_cbranch_execz .LBB2_1218
.LBB2_1520:                             ;   in Loop: Header=BB2_835 Depth=2
	v_cmp_ne_u16_e32 vcc, 0, v36
	s_andn2_b64 s[24:25], s[24:25], exec
	s_and_b64 vcc, vcc, exec
	v_mov_b32_e32 v15, 0
	s_or_b64 s[24:25], s[24:25], vcc
	s_or_b64 exec, exec, s[26:27]
	s_and_saveexec_b64 s[26:27], s[24:25]
	s_cbranch_execnz .LBB2_1219
	s_branch .LBB2_1220
.LBB2_1521:                             ;   in Loop: Header=BB2_835 Depth=2
	s_or_saveexec_b64 s[24:25], s[24:25]
	v_bfrev_b32_e32 v10, 1
	s_xor_b64 exec, exec, s[24:25]
	s_cbranch_execz .LBB2_1232
.LBB2_1522:                             ;   in Loop: Header=BB2_835 Depth=2
	v_cmp_ne_u16_e32 vcc, 0, v36
	s_andn2_b64 s[22:23], s[22:23], exec
	s_and_b64 s[26:27], vcc, exec
	v_mov_b32_e32 v10, 0
	s_or_b64 s[22:23], s[22:23], s[26:27]
	s_or_b64 exec, exec, s[24:25]
	s_and_saveexec_b64 s[24:25], s[22:23]
	s_cbranch_execnz .LBB2_1233
	s_branch .LBB2_1234
.LBB2_1523:                             ;   in Loop: Header=BB2_835 Depth=2
	s_or_saveexec_b64 s[26:27], s[26:27]
	v_bfrev_b32_e32 v19, 1
	s_xor_b64 exec, exec, s[26:27]
	s_cbranch_execz .LBB2_1262
.LBB2_1524:                             ;   in Loop: Header=BB2_835 Depth=2
	v_cmp_ne_u16_sdwa vcc, v10, v37 src0_sel:BYTE_0 src1_sel:DWORD
	s_andn2_b64 s[24:25], s[24:25], exec
	s_and_b64 vcc, vcc, exec
	v_mov_b32_e32 v19, 0
	s_or_b64 s[24:25], s[24:25], vcc
	s_or_b64 exec, exec, s[26:27]
	s_and_saveexec_b64 s[26:27], s[24:25]
	s_cbranch_execnz .LBB2_1263
	s_branch .LBB2_1264
.LBB2_1525:                             ;   in Loop: Header=BB2_835 Depth=2
	s_or_saveexec_b64 s[24:25], s[24:25]
	v_bfrev_b32_e32 v11, 1
	s_xor_b64 exec, exec, s[24:25]
	s_cbranch_execz .LBB2_1276
.LBB2_1526:                             ;   in Loop: Header=BB2_835 Depth=2
	v_cmp_ne_u16_sdwa s[26:27], v10, v37 src0_sel:BYTE_0 src1_sel:DWORD
	s_andn2_b64 s[22:23], s[22:23], exec
	s_and_b64 s[26:27], s[26:27], exec
	v_mov_b32_e32 v11, 0
	s_or_b64 s[22:23], s[22:23], s[26:27]
	s_or_b64 exec, exec, s[24:25]
	s_and_saveexec_b64 s[24:25], s[22:23]
	s_cbranch_execnz .LBB2_1277
	s_branch .LBB2_1278
.LBB2_1527:                             ;   in Loop: Header=BB2_835 Depth=2
	s_or_saveexec_b64 s[26:27], s[26:27]
	v_bfrev_b32_e32 v15, 1
	s_xor_b64 exec, exec, s[26:27]
	s_cbranch_execz .LBB2_1338
.LBB2_1528:                             ;   in Loop: Header=BB2_835 Depth=2
	v_cmp_ne_u16_sdwa vcc, v17, v37 src0_sel:BYTE_0 src1_sel:DWORD
	s_andn2_b64 s[24:25], s[24:25], exec
	s_and_b64 vcc, vcc, exec
	v_mov_b32_e32 v15, 0
	s_or_b64 s[24:25], s[24:25], vcc
	s_or_b64 exec, exec, s[26:27]
	s_and_saveexec_b64 s[26:27], s[24:25]
	s_cbranch_execnz .LBB2_1339
	s_branch .LBB2_1340
.LBB2_1529:                             ;   in Loop: Header=BB2_835 Depth=2
	s_or_saveexec_b64 s[24:25], s[24:25]
	v_bfrev_b32_e32 v15, 1
	s_xor_b64 exec, exec, s[24:25]
	s_cbranch_execz .LBB2_1352
.LBB2_1530:                             ;   in Loop: Header=BB2_835 Depth=2
	v_cmp_ne_u16_sdwa s[26:27], v17, v37 src0_sel:BYTE_0 src1_sel:DWORD
	s_andn2_b64 s[22:23], s[22:23], exec
	s_and_b64 s[26:27], s[26:27], exec
	v_mov_b32_e32 v15, 0
	s_or_b64 s[22:23], s[22:23], s[26:27]
	s_or_b64 exec, exec, s[24:25]
	s_and_saveexec_b64 s[24:25], s[22:23]
	s_cbranch_execnz .LBB2_1353
	s_branch .LBB2_1354
.LBB2_1531:                             ;   in Loop: Header=BB2_835 Depth=2
	s_or_saveexec_b64 s[26:27], s[26:27]
	v_bfrev_b32_e32 v52, 1
	s_xor_b64 exec, exec, s[26:27]
	s_cbranch_execz .LBB2_1382
.LBB2_1532:                             ;   in Loop: Header=BB2_835 Depth=2
	v_cmp_ne_u16_e32 vcc, 0, v10
	s_andn2_b64 s[24:25], s[24:25], exec
	s_and_b64 vcc, vcc, exec
	v_mov_b32_e32 v52, 0
	s_or_b64 s[24:25], s[24:25], vcc
	s_or_b64 exec, exec, s[26:27]
	s_and_saveexec_b64 s[26:27], s[24:25]
	s_cbranch_execnz .LBB2_1383
	s_branch .LBB2_1384
.LBB2_1533:                             ;   in Loop: Header=BB2_835 Depth=2
	s_or_saveexec_b64 s[24:25], s[24:25]
	v_bfrev_b32_e32 v14, 1
	s_xor_b64 exec, exec, s[24:25]
	s_cbranch_execz .LBB2_1396
.LBB2_1534:                             ;   in Loop: Header=BB2_835 Depth=2
	v_cmp_ne_u16_e32 vcc, 0, v10
	s_andn2_b64 s[22:23], s[22:23], exec
	s_and_b64 s[26:27], vcc, exec
	v_mov_b32_e32 v14, 0
	s_or_b64 s[22:23], s[22:23], s[26:27]
	s_or_b64 exec, exec, s[24:25]
	s_and_saveexec_b64 s[24:25], s[22:23]
	s_cbranch_execnz .LBB2_1397
	s_branch .LBB2_1398
.LBB2_1535:                             ;   in Loop: Header=BB2_835 Depth=2
	s_or_saveexec_b64 s[26:27], s[26:27]
	v_bfrev_b32_e32 v36, 1
	s_xor_b64 exec, exec, s[26:27]
	s_cbranch_execz .LBB2_1426
.LBB2_1536:                             ;   in Loop: Header=BB2_835 Depth=2
	v_cmp_ne_u16_sdwa vcc, v10, v37 src0_sel:BYTE_0 src1_sel:DWORD
	s_andn2_b64 s[24:25], s[24:25], exec
	s_and_b64 vcc, vcc, exec
	v_mov_b32_e32 v36, 0
	s_or_b64 s[24:25], s[24:25], vcc
	s_or_b64 exec, exec, s[26:27]
	s_and_saveexec_b64 s[26:27], s[24:25]
	s_cbranch_execnz .LBB2_1427
	s_branch .LBB2_1428
.LBB2_1537:                             ;   in Loop: Header=BB2_835 Depth=2
	s_or_saveexec_b64 s[24:25], s[24:25]
	v_bfrev_b32_e32 v11, 1
	s_xor_b64 exec, exec, s[24:25]
	s_cbranch_execz .LBB2_1440
.LBB2_1538:                             ;   in Loop: Header=BB2_835 Depth=2
	v_cmp_ne_u16_sdwa s[26:27], v10, v37 src0_sel:BYTE_0 src1_sel:DWORD
	s_andn2_b64 s[22:23], s[22:23], exec
	s_and_b64 s[26:27], s[26:27], exec
	v_mov_b32_e32 v11, 0
	s_or_b64 s[22:23], s[22:23], s[26:27]
	s_or_b64 exec, exec, s[24:25]
	s_and_saveexec_b64 s[24:25], s[22:23]
	s_cbranch_execnz .LBB2_1441
	s_branch .LBB2_1442
.LBB2_1539:                             ;   in Loop: Header=BB2_49 Depth=1
	s_or_b64 exec, exec, s[94:95]
	buffer_load_dword v35, off, s[0:3], s33 offset:104 ; 4-byte Folded Reload
	buffer_load_dword v52, off, s[0:3], s33 offset:108 ; 4-byte Folded Reload
	;; [unrolled: 1-line block ×10, first 2 shown]
	v_mov_b32_e32 v53, 1
	v_mov_b32_e32 v54, 0xc8
	v_mov_b32_e32 v55, 0x90
.LBB2_1540:                             ;   in Loop: Header=BB2_49 Depth=1
	s_or_b64 exec, exec, s[92:93]
	v_cmp_lt_i32_e32 vcc, 0, v31
	v_cndmask_b32_e32 v0, 0, v59, vcc
	v_sub_u32_e32 v0, v0, v31
	s_mov_b64 s[22:23], exec
	s_waitcnt vmcnt(0)
	v_lshl_add_u32 v0, v0, 6, v13
.LBB2_1541:                             ;   in Loop: Header=BB2_49 Depth=1
	s_or_b64 exec, exec, s[28:29]
	s_and_saveexec_b64 s[26:27], s[22:23]
	s_cbranch_execz .LBB2_1982
.LBB2_1542:                             ;   in Loop: Header=BB2_49 Depth=1
	s_waitcnt vmcnt(0)
	v_ashrrev_i32_e32 v1, 31, v0
	v_lshrrev_b32_e32 v1, 26, v1
	v_add_u32_e32 v10, v0, v1
	v_ashrrev_i32_e32 v1, 6, v10
	v_mov_b32_e32 v58, v11
	v_lshrrev_b32_e32 v11, 9, v11
	v_sub_u32_e32 v30, v11, v1
	v_cmp_lt_i32_e32 vcc, 0, v30
	s_and_saveexec_b64 s[24:25], vcc
	s_cbranch_execz .LBB2_1930
; %bb.1543:                             ;   in Loop: Header=BB2_49 Depth=1
	v_and_b32_e32 v10, 0xffffffc0, v10
	v_sub_u32_e32 v10, v0, v10
	v_lshlrev_b32_e32 v11, 9, v1
	buffer_store_dword v40, off, s[0:3], s33 offset:96 ; 4-byte Folded Spill
	v_mov_b32_e32 v60, v12
	v_add3_u32 v14, v12, v10, v11
	s_trap 2
	ds_read_b64 v[12:13], v0
	v_ashrrev_i32_e32 v15, 31, v14
	v_add_co_u32_e32 v10, vcc, v14, v18
	v_addc_co_u32_e32 v11, vcc, v15, v19, vcc
	s_waitcnt lgkmcnt(0)
	v_add_co_u32_e32 v12, vcc, v12, v14
	v_addc_co_u32_e32 v13, vcc, v13, v15, vcc
	v_add_co_u32_e32 v16, vcc, 0x1c0, v16
	v_addc_co_u32_e32 v17, vcc, 0, v17, vcc
	s_bitcmp1_b32 s48, 0
	v_add_co_u32_e32 v14, vcc, v16, v14
	s_cselect_b64 s[28:29], -1, 0
	v_addc_co_u32_e32 v15, vcc, v17, v15, vcc
	s_mov_b64 s[92:93], 0
	s_branch .LBB2_1545
.LBB2_1544:                             ;   in Loop: Header=BB2_1545 Depth=2
	s_or_b64 exec, exec, s[20:21]
	v_add_co_u32_e32 v24, vcc, 0xfffffe40, v14
	v_addc_co_u32_e32 v25, vcc, -1, v15, vcc
	flat_store_byte v[24:25], v35 glc slc
	v_add_co_u32_e32 v24, vcc, 0xfffffe80, v14
	v_addc_co_u32_e32 v25, vcc, -1, v15, vcc
	flat_store_byte v[24:25], v54 glc slc
	;; [unrolled: 3-line block ×6, first 2 shown]
	v_add_co_u32_e32 v24, vcc, s66, v14
	v_addc_co_u32_e32 v25, vcc, -1, v15, vcc
	v_add_co_u32_e32 v10, vcc, v10, v62
	v_addc_co_u32_e32 v11, vcc, 0, v11, vcc
	v_add_co_u32_e32 v12, vcc, v12, v62
	v_addc_co_u32_e32 v13, vcc, 0, v13, vcc
	v_sub_u32_e32 v30, v30, v59
	v_cmp_gt_i32_e32 vcc, 1, v30
	flat_store_byte v[24:25], v19 glc slc
	flat_store_byte v[14:15], v17 glc slc
	s_or_b64 s[92:93], vcc, s[92:93]
	v_add_co_u32_e32 v14, vcc, v14, v62
	v_addc_co_u32_e32 v15, vcc, 0, v15, vcc
	s_andn2_b64 exec, exec, s[92:93]
	s_cbranch_execz .LBB2_1929
.LBB2_1545:                             ;   Parent Loop BB2_49 Depth=1
                                        ; =>  This Inner Loop Header: Depth=2
	flat_load_ubyte v35, v[10:11] glc slc
	flat_load_ubyte v45, v[10:11] offset:64 glc slc
	flat_load_ubyte v44, v[10:11] offset:128 glc slc
	;; [unrolled: 1-line block ×7, first 2 shown]
	flat_load_ubyte v17, v[12:13] glc slc
	flat_load_ubyte v54, v[12:13] offset:64 glc slc
	flat_load_ubyte v55, v[12:13] offset:128 glc slc
	;; [unrolled: 1-line block ×7, first 2 shown]
	s_mov_b64 s[22:23], -1
	s_and_b64 vcc, exec, s[28:29]
                                        ; implicit-def: $vgpr16
	s_waitcnt vmcnt(0) lgkmcnt(0)
	v_cmp_ne_u16_e64 s[20:21], 0, v35
	s_cbranch_vccz .LBB2_1559
; %bb.1546:                             ;   in Loop: Header=BB2_1545 Depth=2
	v_mov_b32_e32 v36, 0
	v_mov_b32_e32 v50, 0
	s_and_saveexec_b64 s[22:23], s[20:21]
	s_cbranch_execz .LBB2_1552
; %bb.1547:                             ;   in Loop: Header=BB2_1545 Depth=2
	v_cmp_ne_u16_e32 vcc, s55, v35
	v_bfrev_b32_e32 v50, 1
	s_and_saveexec_b64 s[94:95], vcc
	s_cbranch_execz .LBB2_1551
; %bb.1548:                             ;   in Loop: Header=BB2_1545 Depth=2
	v_and_b32_e32 v16, 0xffff, v35
	v_and_b32_e32 v51, 0x7f, v16
	v_cmp_ne_u32_e32 vcc, s53, v51
	v_mov_b32_e32 v50, 0x7f800001
	s_and_saveexec_b64 s[30:31], vcc
	s_cbranch_execz .LBB2_1550
; %bb.1549:                             ;   in Loop: Header=BB2_1545 Depth=2
	v_and_b32_e32 v50, 7, v16
	v_ffbh_u32_e32 v24, v50
	v_lshrrev_b32_e32 v46, 3, v51
	v_cmp_gt_u32_e32 vcc, 8, v51
	v_min_u32_e32 v51, 32, v24
	v_subrev_u32_e32 v24, 28, v51
	v_lshlrev_b64 v[24:25], v24, v[16:17]
	v_sub_u32_e32 v16, 29, v51
	v_and_b32_e32 v24, 7, v24
	v_cndmask_b32_e32 v16, v46, v16, vcc
	v_cndmask_b32_e32 v24, v50, v24, vcc
	v_lshlrev_b32_e32 v25, 24, v35
	v_lshlrev_b32_e32 v24, 20, v24
	v_and_b32_e32 v25, 0x80000000, v25
	v_lshl_add_u32 v16, v16, 23, v3
	v_or3_b32 v50, v25, v16, v24
.LBB2_1550:                             ;   in Loop: Header=BB2_1545 Depth=2
	s_or_b64 exec, exec, s[30:31]
.LBB2_1551:                             ;   in Loop: Header=BB2_1545 Depth=2
	s_or_b64 exec, exec, s[94:95]
.LBB2_1552:                             ;   in Loop: Header=BB2_1545 Depth=2
	s_or_b64 exec, exec, s[22:23]
	v_and_b32_e32 v16, 0xff, v17
	v_cmp_ne_u16_e32 vcc, 0, v16
	s_and_saveexec_b64 s[22:23], vcc
	s_cbranch_execz .LBB2_1558
; %bb.1553:                             ;   in Loop: Header=BB2_1545 Depth=2
	v_cmp_ne_u16_e32 vcc, s55, v16
	v_bfrev_b32_e32 v36, 1
	s_and_saveexec_b64 s[94:95], vcc
	s_cbranch_execz .LBB2_1557
; %bb.1554:                             ;   in Loop: Header=BB2_1545 Depth=2
	v_and_b32_e32 v51, 0x7f, v17
	v_cmp_ne_u32_e32 vcc, s53, v51
	v_mov_b32_e32 v36, 0x7f800001
	s_and_saveexec_b64 s[30:31], vcc
	s_cbranch_execz .LBB2_1556
; %bb.1555:                             ;   in Loop: Header=BB2_1545 Depth=2
	v_and_b32_e32 v36, 7, v16
	v_ffbh_u32_e32 v24, v36
	v_lshrrev_b32_e32 v46, 3, v51
	v_cmp_gt_u32_e32 vcc, 8, v51
	v_min_u32_e32 v51, 32, v24
	v_subrev_u32_e32 v24, 28, v51
	v_lshlrev_b64 v[24:25], v24, v[16:17]
	v_sub_u32_e32 v16, 29, v51
	v_and_b32_e32 v24, 7, v24
	v_cndmask_b32_e32 v16, v46, v16, vcc
	v_cndmask_b32_e32 v24, v36, v24, vcc
	v_lshlrev_b32_e32 v25, 24, v17
	v_lshlrev_b32_e32 v24, 20, v24
	v_and_b32_e32 v25, 0x80000000, v25
	v_lshl_add_u32 v16, v16, 23, v3
	v_or3_b32 v36, v25, v16, v24
.LBB2_1556:                             ;   in Loop: Header=BB2_1545 Depth=2
	s_or_b64 exec, exec, s[30:31]
.LBB2_1557:                             ;   in Loop: Header=BB2_1545 Depth=2
	s_or_b64 exec, exec, s[94:95]
.LBB2_1558:                             ;   in Loop: Header=BB2_1545 Depth=2
	s_or_b64 exec, exec, s[22:23]
	v_max_f32_e32 v16, v36, v36
	v_max_f32_e32 v24, v50, v50
	;; [unrolled: 1-line block ×3, first 2 shown]
	s_mov_b64 s[22:23], 0
.LBB2_1559:                             ;   in Loop: Header=BB2_1545 Depth=2
	s_and_b64 vcc, exec, s[22:23]
	s_cbranch_vccz .LBB2_1573
; %bb.1560:                             ;   in Loop: Header=BB2_1545 Depth=2
	v_mov_b32_e32 v36, 0
	v_mov_b32_e32 v50, 0
	s_and_saveexec_b64 s[22:23], s[20:21]
	s_cbranch_execz .LBB2_1566
; %bb.1561:                             ;   in Loop: Header=BB2_1545 Depth=2
	v_cmp_ne_u16_e32 vcc, s55, v35
	v_bfrev_b32_e32 v50, 1
	s_and_saveexec_b64 s[20:21], vcc
	s_cbranch_execz .LBB2_1565
; %bb.1562:                             ;   in Loop: Header=BB2_1545 Depth=2
	v_and_b32_e32 v16, 0xffff, v35
	v_and_b32_e32 v51, 0x7f, v16
	v_cmp_ne_u32_e32 vcc, s53, v51
	v_mov_b32_e32 v50, 0x7f800001
	s_and_saveexec_b64 s[94:95], vcc
	s_cbranch_execz .LBB2_1564
; %bb.1563:                             ;   in Loop: Header=BB2_1545 Depth=2
	v_and_b32_e32 v50, 7, v16
	v_ffbh_u32_e32 v24, v50
	v_lshrrev_b32_e32 v46, 3, v51
	v_cmp_gt_u32_e32 vcc, 8, v51
	v_min_u32_e32 v51, 32, v24
	v_subrev_u32_e32 v24, 28, v51
	v_lshlrev_b64 v[24:25], v24, v[16:17]
	v_sub_u32_e32 v16, 29, v51
	v_and_b32_e32 v24, 7, v24
	v_cndmask_b32_e32 v16, v46, v16, vcc
	v_cndmask_b32_e32 v24, v50, v24, vcc
	v_lshlrev_b32_e32 v25, 24, v35
	v_lshlrev_b32_e32 v24, 20, v24
	v_and_b32_e32 v25, 0x80000000, v25
	v_lshl_add_u32 v16, v16, 23, v3
	v_or3_b32 v50, v25, v16, v24
.LBB2_1564:                             ;   in Loop: Header=BB2_1545 Depth=2
	s_or_b64 exec, exec, s[94:95]
.LBB2_1565:                             ;   in Loop: Header=BB2_1545 Depth=2
	s_or_b64 exec, exec, s[20:21]
.LBB2_1566:                             ;   in Loop: Header=BB2_1545 Depth=2
	s_or_b64 exec, exec, s[22:23]
	v_and_b32_e32 v16, 0xff, v17
	v_cmp_ne_u16_e32 vcc, 0, v16
	s_and_saveexec_b64 s[20:21], vcc
	s_cbranch_execz .LBB2_1572
; %bb.1567:                             ;   in Loop: Header=BB2_1545 Depth=2
	v_cmp_ne_u16_e32 vcc, s55, v16
	v_bfrev_b32_e32 v36, 1
	s_and_saveexec_b64 s[22:23], vcc
	s_cbranch_execz .LBB2_1571
; %bb.1568:                             ;   in Loop: Header=BB2_1545 Depth=2
	v_and_b32_e32 v35, 0x7f, v17
	v_cmp_ne_u32_e32 vcc, s53, v35
	v_mov_b32_e32 v36, 0x7f800001
	s_and_saveexec_b64 s[94:95], vcc
	s_cbranch_execz .LBB2_1570
; %bb.1569:                             ;   in Loop: Header=BB2_1545 Depth=2
	v_and_b32_e32 v36, 7, v16
	v_ffbh_u32_e32 v24, v36
	v_lshrrev_b32_e32 v51, 3, v35
	v_cmp_gt_u32_e32 vcc, 8, v35
	v_min_u32_e32 v35, 32, v24
	v_subrev_u32_e32 v24, 28, v35
	v_lshlrev_b64 v[24:25], v24, v[16:17]
	v_sub_u32_e32 v16, 29, v35
	v_and_b32_e32 v24, 7, v24
	v_cndmask_b32_e32 v16, v51, v16, vcc
	v_cndmask_b32_e32 v24, v36, v24, vcc
	v_lshlrev_b32_e32 v17, 24, v17
	v_lshlrev_b32_e32 v24, 20, v24
	v_and_b32_e32 v17, 0x80000000, v17
	v_lshl_add_u32 v16, v16, 23, v3
	v_or3_b32 v36, v17, v16, v24
.LBB2_1570:                             ;   in Loop: Header=BB2_1545 Depth=2
	s_or_b64 exec, exec, s[94:95]
.LBB2_1571:                             ;   in Loop: Header=BB2_1545 Depth=2
	s_or_b64 exec, exec, s[22:23]
.LBB2_1572:                             ;   in Loop: Header=BB2_1545 Depth=2
	s_or_b64 exec, exec, s[20:21]
	v_max_f32_e32 v16, v36, v36
	v_max_f32_e32 v17, v50, v50
	v_min_f32_e32 v16, v17, v16
.LBB2_1573:                             ;   in Loop: Header=BB2_1545 Depth=2
	v_and_b32_e32 v36, 0x7f800000, v16
	v_cmp_ne_u64_e32 vcc, s[72:73], v[36:37]
                                        ; implicit-def: $vgpr35
	s_and_saveexec_b64 s[20:21], vcc
	s_xor_b64 s[22:23], exec, s[20:21]
	s_cbranch_execz .LBB2_1591
; %bb.1574:                             ;   in Loop: Header=BB2_1545 Depth=2
	v_and_b32_e32 v36, 0x7fffffff, v16
	v_cmp_gt_u64_e32 vcc, s[74:75], v[36:37]
	v_and_b32_sdwa v46, v16, s55 dst_sel:DWORD dst_unused:UNUSED_PAD src0_sel:BYTE_3 src1_sel:DWORD
                                        ; implicit-def: $vgpr35
	s_and_saveexec_b64 s[20:21], vcc
	s_xor_b64 s[94:95], exec, s[20:21]
	s_cbranch_execz .LBB2_1588
; %bb.1575:                             ;   in Loop: Header=BB2_1545 Depth=2
	v_cmp_ne_u32_e32 vcc, 0, v16
	v_mov_b32_e32 v35, 0
	s_and_saveexec_b64 s[30:31], vcc
	s_cbranch_execz .LBB2_1587
; %bb.1576:                             ;   in Loop: Header=BB2_1545 Depth=2
	v_bfe_u32 v35, v16, 23, 8
	v_and_b32_e32 v17, 0x7fffff, v16
	v_cmp_gt_u32_e64 s[20:21], s64, v35
	v_sub_u32_e32 v16, 0x79, v35
	v_cmp_eq_u32_e32 vcc, 0, v35
	v_cndmask_b32_e64 v16, 0, v16, s[20:21]
	v_cndmask_b32_e32 v47, v16, v2, vcc
	v_or_b32_e32 v24, 0x800000, v17
	v_add_u32_e32 v16, 20, v47
	v_cndmask_b32_e32 v36, v24, v17, vcc
	v_lshlrev_b64 v[16:17], v16, -1
	v_add_u32_e32 v24, 19, v47
	v_lshlrev_b64 v[24:25], v24, 1
	v_bfi_b32 v17, v17, 0, 0
	v_bfi_b32 v16, v16, 0, v36
	v_cmp_eq_u64_e64 s[20:21], v[16:17], v[24:25]
	v_lshrrev_b64 v[16:17], v47, v[36:37]
	v_mov_b32_e32 v51, v17
	v_mov_b32_e32 v50, v16
	s_and_saveexec_b64 s[34:35], s[20:21]
; %bb.1577:                             ;   in Loop: Header=BB2_1545 Depth=2
	v_bfe_u32 v17, v16, 20, 1
	v_add_co_u32_e64 v17, s[20:21], v16, v17
	v_add_co_u32_e64 v50, s[20:21], -1, v17
; %bb.1578:                             ;   in Loop: Header=BB2_1545 Depth=2
	s_or_b64 exec, exec, s[34:35]
	v_add_u32_e32 v17, 0xffffff81, v35
	v_cndmask_b32_e32 v17, v17, v20, vcc
	v_lshrrev_b32_e32 v24, 23, v16
	v_add3_u32 v51, v47, v17, v24
	v_add_u32_e32 v35, 6, v51
	v_and_b32_e32 v17, 0xfffff, v50
	v_add_u32_e32 v36, v17, v16
	v_cmp_ne_u32_e32 vcc, 0, v35
                                        ; implicit-def: $vgpr16_vgpr17
                                        ; implicit-def: $vgpr50
	s_and_saveexec_b64 s[20:21], vcc
	s_xor_b64 s[20:21], exec, s[20:21]
; %bb.1579:                             ;   in Loop: Header=BB2_1545 Depth=2
	v_cmp_lt_u64_e32 vcc, s[76:77], v[36:37]
	v_add_u32_e32 v16, 7, v51
	v_cndmask_b32_e32 v50, v35, v16, vcc
	v_cndmask_b32_e64 v16, 0, 1, vcc
	v_lshrrev_b64 v[16:17], v16, v[36:37]
; %bb.1580:                             ;   in Loop: Header=BB2_1545 Depth=2
	s_andn2_saveexec_b64 s[20:21], s[20:21]
; %bb.1581:                             ;   in Loop: Header=BB2_1545 Depth=2
	v_mov_b32_e32 v16, v36
	v_bfe_u32 v50, v36, 23, 1
	v_mov_b32_e32 v17, v37
; %bb.1582:                             ;   in Loop: Header=BB2_1545 Depth=2
	s_or_b64 exec, exec, s[20:21]
	v_lshrrev_b64 v[16:17], 20, v[16:17]
	v_cmp_gt_i32_e32 vcc, 16, v50
	v_cndmask_b32_e32 v17, 0, v17, vcc
	v_cndmask_b32_e32 v16, 7, v16, vcc
	v_cmp_ne_u64_e32 vcc, 0, v[16:17]
	v_cmp_ne_u32_e64 s[20:21], 0, v50
	s_or_b64 s[20:21], s[20:21], vcc
                                        ; implicit-def: $vgpr35
	s_and_saveexec_b64 vcc, s[20:21]
	s_xor_b64 s[20:21], exec, vcc
; %bb.1583:                             ;   in Loop: Header=BB2_1545 Depth=2
	v_min_i32_e32 v17, 15, v50
	v_lshl_or_b32 v17, v17, 3, v46
	v_and_or_b32 v35, v16, 7, v17
                                        ; implicit-def: $vgpr46
; %bb.1584:                             ;   in Loop: Header=BB2_1545 Depth=2
	s_andn2_saveexec_b64 s[20:21], s[20:21]
; %bb.1585:                             ;   in Loop: Header=BB2_1545 Depth=2
	v_mov_b32_e32 v35, v46
; %bb.1586:                             ;   in Loop: Header=BB2_1545 Depth=2
	s_or_b64 exec, exec, s[20:21]
.LBB2_1587:                             ;   in Loop: Header=BB2_1545 Depth=2
	s_or_b64 exec, exec, s[30:31]
                                        ; implicit-def: $vgpr46
.LBB2_1588:                             ;   in Loop: Header=BB2_1545 Depth=2
	s_andn2_saveexec_b64 s[20:21], s[94:95]
; %bb.1589:                             ;   in Loop: Header=BB2_1545 Depth=2
	v_or_b32_e32 v35, 0x7e, v46
; %bb.1590:                             ;   in Loop: Header=BB2_1545 Depth=2
	s_or_b64 exec, exec, s[20:21]
                                        ; implicit-def: $vgpr16
.LBB2_1591:                             ;   in Loop: Header=BB2_1545 Depth=2
	s_andn2_saveexec_b64 s[20:21], s[22:23]
; %bb.1592:                             ;   in Loop: Header=BB2_1545 Depth=2
	v_or_b32_sdwa v35, v16, s53 dst_sel:DWORD dst_unused:UNUSED_PAD src0_sel:BYTE_3 src1_sel:DWORD
; %bb.1593:                             ;   in Loop: Header=BB2_1545 Depth=2
	s_or_b64 exec, exec, s[20:21]
	v_and_b32_e32 v16, 0xff, v45
	v_cndmask_b32_e64 v17, 0, 1, s[28:29]
	v_cmp_ne_u16_e64 s[22:23], 0, v16
	v_cmp_ne_u32_e64 s[20:21], 1, v17
	s_andn2_b64 vcc, exec, s[28:29]
	s_mov_b64 s[94:95], -1
                                        ; implicit-def: $vgpr17
	s_cbranch_vccnz .LBB2_1607
; %bb.1594:                             ;   in Loop: Header=BB2_1545 Depth=2
	v_mov_b32_e32 v50, 0
	v_mov_b32_e32 v36, 0
	s_and_saveexec_b64 s[94:95], s[22:23]
	s_cbranch_execz .LBB2_1600
; %bb.1595:                             ;   in Loop: Header=BB2_1545 Depth=2
	v_cmp_ne_u16_e32 vcc, s55, v16
	v_bfrev_b32_e32 v36, 1
	s_and_saveexec_b64 s[30:31], vcc
	s_cbranch_execz .LBB2_1599
; %bb.1596:                             ;   in Loop: Header=BB2_1545 Depth=2
	v_and_b32_e32 v17, 0x7f, v45
	v_cmp_ne_u32_e32 vcc, s53, v17
	v_mov_b32_e32 v36, 0x7f800001
	s_and_saveexec_b64 s[34:35], vcc
	s_cbranch_execz .LBB2_1598
; %bb.1597:                             ;   in Loop: Header=BB2_1545 Depth=2
	v_and_b32_e32 v36, 7, v16
	v_lshrrev_b32_e32 v51, 3, v17
	v_cmp_gt_u32_e32 vcc, 8, v17
	v_ffbh_u32_e32 v17, v36
	v_min_u32_e32 v17, 32, v17
	v_subrev_u32_e32 v24, 28, v17
	v_lshlrev_b64 v[24:25], v24, v[16:17]
	v_sub_u32_e32 v17, 29, v17
	v_and_b32_e32 v24, 7, v24
	v_cndmask_b32_e32 v17, v51, v17, vcc
	v_cndmask_b32_e32 v24, v36, v24, vcc
	v_lshlrev_b32_e32 v25, 24, v45
	v_lshlrev_b32_e32 v24, 20, v24
	v_and_b32_e32 v25, 0x80000000, v25
	v_lshl_add_u32 v17, v17, 23, v3
	v_or3_b32 v36, v25, v17, v24
.LBB2_1598:                             ;   in Loop: Header=BB2_1545 Depth=2
	s_or_b64 exec, exec, s[34:35]
.LBB2_1599:                             ;   in Loop: Header=BB2_1545 Depth=2
	s_or_b64 exec, exec, s[30:31]
.LBB2_1600:                             ;   in Loop: Header=BB2_1545 Depth=2
	s_or_b64 exec, exec, s[94:95]
	v_and_b32_e32 v17, 0xff, v54
	v_cmp_ne_u16_e32 vcc, 0, v17
	s_and_saveexec_b64 s[94:95], vcc
	s_cbranch_execz .LBB2_1606
; %bb.1601:                             ;   in Loop: Header=BB2_1545 Depth=2
	v_cmp_ne_u16_e32 vcc, s55, v17
	v_bfrev_b32_e32 v50, 1
	s_and_saveexec_b64 s[30:31], vcc
	s_cbranch_execz .LBB2_1605
; %bb.1602:                             ;   in Loop: Header=BB2_1545 Depth=2
	v_and_b32_e32 v51, 0x7f, v54
	v_cmp_ne_u32_e32 vcc, s53, v51
	v_mov_b32_e32 v50, 0x7f800001
	s_and_saveexec_b64 s[34:35], vcc
	s_cbranch_execz .LBB2_1604
; %bb.1603:                             ;   in Loop: Header=BB2_1545 Depth=2
	v_and_b32_e32 v50, 7, v17
	v_ffbh_u32_e32 v24, v50
	v_lshrrev_b32_e32 v46, 3, v51
	v_cmp_gt_u32_e32 vcc, 8, v51
	v_min_u32_e32 v51, 32, v24
	v_subrev_u32_e32 v24, 28, v51
	v_lshlrev_b64 v[24:25], v24, v[17:18]
	v_sub_u32_e32 v17, 29, v51
	v_and_b32_e32 v24, 7, v24
	v_cndmask_b32_e32 v17, v46, v17, vcc
	v_cndmask_b32_e32 v24, v50, v24, vcc
	v_lshlrev_b32_e32 v25, 24, v54
	v_lshlrev_b32_e32 v24, 20, v24
	v_and_b32_e32 v25, 0x80000000, v25
	v_lshl_add_u32 v17, v17, 23, v3
	v_or3_b32 v50, v25, v17, v24
.LBB2_1604:                             ;   in Loop: Header=BB2_1545 Depth=2
	s_or_b64 exec, exec, s[34:35]
.LBB2_1605:                             ;   in Loop: Header=BB2_1545 Depth=2
	s_or_b64 exec, exec, s[30:31]
.LBB2_1606:                             ;   in Loop: Header=BB2_1545 Depth=2
	s_or_b64 exec, exec, s[94:95]
	v_max_f32_e32 v17, v50, v50
	v_max_f32_e32 v24, v36, v36
	;; [unrolled: 1-line block ×3, first 2 shown]
	s_mov_b64 s[94:95], 0
.LBB2_1607:                             ;   in Loop: Header=BB2_1545 Depth=2
	s_and_b64 vcc, exec, s[94:95]
	s_cbranch_vccz .LBB2_1621
; %bb.1608:                             ;   in Loop: Header=BB2_1545 Depth=2
	v_mov_b32_e32 v36, 0
	v_mov_b32_e32 v17, 0
	s_and_saveexec_b64 s[94:95], s[22:23]
	s_cbranch_execz .LBB2_1614
; %bb.1609:                             ;   in Loop: Header=BB2_1545 Depth=2
	v_cmp_ne_u16_e32 vcc, s55, v16
	v_bfrev_b32_e32 v17, 1
	s_and_saveexec_b64 s[22:23], vcc
	s_cbranch_execz .LBB2_1613
; %bb.1610:                             ;   in Loop: Header=BB2_1545 Depth=2
	v_and_b32_e32 v50, 0x7f, v45
	v_cmp_ne_u32_e32 vcc, s53, v50
	v_mov_b32_e32 v17, 0x7f800001
	s_and_saveexec_b64 s[30:31], vcc
	s_cbranch_execz .LBB2_1612
; %bb.1611:                             ;   in Loop: Header=BB2_1545 Depth=2
	v_and_b32_e32 v24, 7, v16
	v_ffbh_u32_e32 v17, v24
	v_lshrrev_b32_e32 v25, 3, v50
	v_cmp_gt_u32_e32 vcc, 8, v50
	v_min_u32_e32 v50, 32, v17
	v_subrev_u32_e32 v17, 28, v50
	v_lshlrev_b64 v[16:17], v17, v[16:17]
	v_sub_u32_e32 v17, 29, v50
	v_and_b32_e32 v16, 7, v16
	v_cndmask_b32_e32 v17, v25, v17, vcc
	v_cndmask_b32_e32 v16, v24, v16, vcc
	v_lshlrev_b32_e32 v24, 24, v45
	v_lshlrev_b32_e32 v16, 20, v16
	v_and_b32_e32 v24, 0x80000000, v24
	v_lshl_add_u32 v17, v17, 23, v3
	v_or3_b32 v17, v24, v17, v16
.LBB2_1612:                             ;   in Loop: Header=BB2_1545 Depth=2
	s_or_b64 exec, exec, s[30:31]
.LBB2_1613:                             ;   in Loop: Header=BB2_1545 Depth=2
	s_or_b64 exec, exec, s[22:23]
.LBB2_1614:                             ;   in Loop: Header=BB2_1545 Depth=2
	s_or_b64 exec, exec, s[94:95]
	v_and_b32_e32 v16, 0xff, v54
	v_cmp_ne_u16_e32 vcc, 0, v16
	s_and_saveexec_b64 s[22:23], vcc
	s_cbranch_execz .LBB2_1620
; %bb.1615:                             ;   in Loop: Header=BB2_1545 Depth=2
	v_cmp_ne_u16_e32 vcc, s55, v16
	v_bfrev_b32_e32 v36, 1
	s_and_saveexec_b64 s[94:95], vcc
	s_cbranch_execz .LBB2_1619
; %bb.1616:                             ;   in Loop: Header=BB2_1545 Depth=2
	v_and_b32_e32 v50, 0x7f, v54
	v_cmp_ne_u32_e32 vcc, s53, v50
	v_mov_b32_e32 v36, 0x7f800001
	s_and_saveexec_b64 s[30:31], vcc
	s_cbranch_execz .LBB2_1618
; %bb.1617:                             ;   in Loop: Header=BB2_1545 Depth=2
	v_and_b32_e32 v36, 7, v16
	v_ffbh_u32_e32 v24, v36
	v_lshrrev_b32_e32 v51, 3, v50
	v_cmp_gt_u32_e32 vcc, 8, v50
	v_min_u32_e32 v50, 32, v24
	v_subrev_u32_e32 v24, 28, v50
	v_lshlrev_b64 v[24:25], v24, v[16:17]
	v_sub_u32_e32 v16, 29, v50
	v_and_b32_e32 v24, 7, v24
	v_cndmask_b32_e32 v16, v51, v16, vcc
	v_cndmask_b32_e32 v24, v36, v24, vcc
	v_lshlrev_b32_e32 v25, 24, v54
	v_lshlrev_b32_e32 v24, 20, v24
	v_and_b32_e32 v25, 0x80000000, v25
	v_lshl_add_u32 v16, v16, 23, v3
	v_or3_b32 v36, v25, v16, v24
.LBB2_1618:                             ;   in Loop: Header=BB2_1545 Depth=2
	s_or_b64 exec, exec, s[30:31]
.LBB2_1619:                             ;   in Loop: Header=BB2_1545 Depth=2
	s_or_b64 exec, exec, s[94:95]
.LBB2_1620:                             ;   in Loop: Header=BB2_1545 Depth=2
	s_or_b64 exec, exec, s[22:23]
	v_max_f32_e32 v16, v36, v36
	v_max_f32_e32 v17, v17, v17
	v_min_f32_e32 v17, v17, v16
.LBB2_1621:                             ;   in Loop: Header=BB2_1545 Depth=2
	v_and_b32_e32 v36, 0x7f800000, v17
	v_cmp_ne_u64_e32 vcc, s[72:73], v[36:37]
                                        ; implicit-def: $vgpr54
	s_and_saveexec_b64 s[22:23], vcc
	s_xor_b64 s[94:95], exec, s[22:23]
	s_cbranch_execz .LBB2_1639
; %bb.1622:                             ;   in Loop: Header=BB2_1545 Depth=2
	v_and_b32_e32 v36, 0x7fffffff, v17
	v_cmp_gt_u64_e32 vcc, s[74:75], v[36:37]
	v_and_b32_sdwa v45, v17, s55 dst_sel:DWORD dst_unused:UNUSED_PAD src0_sel:BYTE_3 src1_sel:DWORD
                                        ; implicit-def: $vgpr54
	s_and_saveexec_b64 s[22:23], vcc
	s_xor_b64 s[30:31], exec, s[22:23]
	s_cbranch_execz .LBB2_1636
; %bb.1623:                             ;   in Loop: Header=BB2_1545 Depth=2
	v_cmp_ne_u32_e32 vcc, 0, v17
	v_mov_b32_e32 v54, 0
	s_and_saveexec_b64 s[34:35], vcc
	s_cbranch_execz .LBB2_1635
; %bb.1624:                             ;   in Loop: Header=BB2_1545 Depth=2
	v_bfe_u32 v54, v17, 23, 8
	v_and_b32_e32 v16, 0x7fffff, v17
	v_cmp_gt_u32_e64 s[22:23], s64, v54
	v_sub_u32_e32 v17, 0x79, v54
	v_cmp_eq_u32_e32 vcc, 0, v54
	v_cndmask_b32_e64 v17, 0, v17, s[22:23]
	v_or_b32_e32 v24, 0x800000, v16
	v_cndmask_b32_e32 v46, v17, v2, vcc
	v_cndmask_b32_e32 v36, v24, v16, vcc
	v_add_u32_e32 v16, 20, v46
	v_lshlrev_b64 v[16:17], v16, -1
	v_add_u32_e32 v24, 19, v46
	v_lshlrev_b64 v[24:25], v24, 1
	v_bfi_b32 v17, v17, 0, 0
	v_bfi_b32 v16, v16, 0, v36
	v_cmp_eq_u64_e64 s[22:23], v[16:17], v[24:25]
	v_lshrrev_b64 v[16:17], v46, v[36:37]
	v_mov_b32_e32 v51, v17
	v_mov_b32_e32 v50, v16
	s_and_saveexec_b64 s[36:37], s[22:23]
; %bb.1625:                             ;   in Loop: Header=BB2_1545 Depth=2
	v_bfe_u32 v17, v16, 20, 1
	v_add_co_u32_e64 v17, s[22:23], v16, v17
	v_add_co_u32_e64 v50, s[22:23], -1, v17
; %bb.1626:                             ;   in Loop: Header=BB2_1545 Depth=2
	s_or_b64 exec, exec, s[36:37]
	v_add_u32_e32 v17, 0xffffff81, v54
	v_cndmask_b32_e32 v17, v17, v20, vcc
	v_lshrrev_b32_e32 v24, 23, v16
	v_add3_u32 v54, v46, v17, v24
	v_add_u32_e32 v51, 6, v54
	v_and_b32_e32 v17, 0xfffff, v50
	v_add_u32_e32 v36, v17, v16
	v_cmp_ne_u32_e32 vcc, 0, v51
                                        ; implicit-def: $vgpr16_vgpr17
                                        ; implicit-def: $vgpr50
	s_and_saveexec_b64 s[22:23], vcc
	s_xor_b64 s[22:23], exec, s[22:23]
; %bb.1627:                             ;   in Loop: Header=BB2_1545 Depth=2
	v_cmp_lt_u64_e32 vcc, s[76:77], v[36:37]
	v_add_u32_e32 v16, 7, v54
	v_cndmask_b32_e32 v50, v51, v16, vcc
	v_cndmask_b32_e64 v16, 0, 1, vcc
	v_lshrrev_b64 v[16:17], v16, v[36:37]
; %bb.1628:                             ;   in Loop: Header=BB2_1545 Depth=2
	s_andn2_saveexec_b64 s[22:23], s[22:23]
; %bb.1629:                             ;   in Loop: Header=BB2_1545 Depth=2
	v_mov_b32_e32 v16, v36
	v_bfe_u32 v50, v36, 23, 1
	v_mov_b32_e32 v17, v37
; %bb.1630:                             ;   in Loop: Header=BB2_1545 Depth=2
	s_or_b64 exec, exec, s[22:23]
	v_lshrrev_b64 v[16:17], 20, v[16:17]
	v_cmp_gt_i32_e32 vcc, 16, v50
	v_cndmask_b32_e32 v17, 0, v17, vcc
	v_cndmask_b32_e32 v16, 7, v16, vcc
	v_cmp_ne_u64_e32 vcc, 0, v[16:17]
	v_cmp_ne_u32_e64 s[22:23], 0, v50
	s_or_b64 s[22:23], s[22:23], vcc
                                        ; implicit-def: $vgpr54
	s_and_saveexec_b64 vcc, s[22:23]
	s_xor_b64 s[22:23], exec, vcc
; %bb.1631:                             ;   in Loop: Header=BB2_1545 Depth=2
	v_min_i32_e32 v17, 15, v50
	v_lshl_or_b32 v17, v17, 3, v45
	v_and_or_b32 v54, v16, 7, v17
                                        ; implicit-def: $vgpr45
; %bb.1632:                             ;   in Loop: Header=BB2_1545 Depth=2
	s_andn2_saveexec_b64 s[22:23], s[22:23]
; %bb.1633:                             ;   in Loop: Header=BB2_1545 Depth=2
	v_mov_b32_e32 v54, v45
; %bb.1634:                             ;   in Loop: Header=BB2_1545 Depth=2
	s_or_b64 exec, exec, s[22:23]
.LBB2_1635:                             ;   in Loop: Header=BB2_1545 Depth=2
	s_or_b64 exec, exec, s[34:35]
                                        ; implicit-def: $vgpr45
.LBB2_1636:                             ;   in Loop: Header=BB2_1545 Depth=2
	s_andn2_saveexec_b64 s[22:23], s[30:31]
; %bb.1637:                             ;   in Loop: Header=BB2_1545 Depth=2
	v_or_b32_e32 v54, 0x7e, v45
; %bb.1638:                             ;   in Loop: Header=BB2_1545 Depth=2
	s_or_b64 exec, exec, s[22:23]
                                        ; implicit-def: $vgpr17
.LBB2_1639:                             ;   in Loop: Header=BB2_1545 Depth=2
	s_andn2_saveexec_b64 s[22:23], s[94:95]
; %bb.1640:                             ;   in Loop: Header=BB2_1545 Depth=2
	v_or_b32_sdwa v54, v17, s53 dst_sel:DWORD dst_unused:UNUSED_PAD src0_sel:BYTE_3 src1_sel:DWORD
; %bb.1641:                             ;   in Loop: Header=BB2_1545 Depth=2
	s_or_b64 exec, exec, s[22:23]
	v_and_b32_e32 v16, 0xff, v44
	v_cmp_ne_u16_e64 s[22:23], 0, v16
	s_and_b64 vcc, exec, s[20:21]
	s_mov_b64 s[94:95], -1
                                        ; implicit-def: $vgpr17
	s_cbranch_vccnz .LBB2_1655
; %bb.1642:                             ;   in Loop: Header=BB2_1545 Depth=2
	v_mov_b32_e32 v50, 0
	v_mov_b32_e32 v36, 0
	s_and_saveexec_b64 s[94:95], s[22:23]
	s_cbranch_execz .LBB2_1648
; %bb.1643:                             ;   in Loop: Header=BB2_1545 Depth=2
	v_cmp_ne_u16_e32 vcc, s55, v16
	v_bfrev_b32_e32 v36, 1
	s_and_saveexec_b64 s[30:31], vcc
	s_cbranch_execz .LBB2_1647
; %bb.1644:                             ;   in Loop: Header=BB2_1545 Depth=2
	v_and_b32_e32 v17, 0x7f, v44
	v_cmp_ne_u32_e32 vcc, s53, v17
	v_mov_b32_e32 v36, 0x7f800001
	s_and_saveexec_b64 s[34:35], vcc
	s_cbranch_execz .LBB2_1646
; %bb.1645:                             ;   in Loop: Header=BB2_1545 Depth=2
	v_and_b32_e32 v36, 7, v16
	v_lshrrev_b32_e32 v51, 3, v17
	v_cmp_gt_u32_e32 vcc, 8, v17
	v_ffbh_u32_e32 v17, v36
	v_min_u32_e32 v17, 32, v17
	v_subrev_u32_e32 v24, 28, v17
	v_lshlrev_b64 v[24:25], v24, v[16:17]
	v_sub_u32_e32 v17, 29, v17
	v_and_b32_e32 v24, 7, v24
	v_cndmask_b32_e32 v17, v51, v17, vcc
	v_cndmask_b32_e32 v24, v36, v24, vcc
	v_lshlrev_b32_e32 v25, 24, v44
	v_lshlrev_b32_e32 v24, 20, v24
	v_and_b32_e32 v25, 0x80000000, v25
	v_lshl_add_u32 v17, v17, 23, v3
	v_or3_b32 v36, v25, v17, v24
.LBB2_1646:                             ;   in Loop: Header=BB2_1545 Depth=2
	s_or_b64 exec, exec, s[34:35]
.LBB2_1647:                             ;   in Loop: Header=BB2_1545 Depth=2
	s_or_b64 exec, exec, s[30:31]
.LBB2_1648:                             ;   in Loop: Header=BB2_1545 Depth=2
	s_or_b64 exec, exec, s[94:95]
	v_and_b32_e32 v17, 0xff, v55
	v_cmp_ne_u16_e32 vcc, 0, v17
	s_and_saveexec_b64 s[94:95], vcc
	s_cbranch_execz .LBB2_1654
; %bb.1649:                             ;   in Loop: Header=BB2_1545 Depth=2
	v_cmp_ne_u16_e32 vcc, s55, v17
	v_bfrev_b32_e32 v50, 1
	s_and_saveexec_b64 s[30:31], vcc
	s_cbranch_execz .LBB2_1653
; %bb.1650:                             ;   in Loop: Header=BB2_1545 Depth=2
	v_and_b32_e32 v51, 0x7f, v55
	v_cmp_ne_u32_e32 vcc, s53, v51
	v_mov_b32_e32 v50, 0x7f800001
	s_and_saveexec_b64 s[34:35], vcc
	s_cbranch_execz .LBB2_1652
; %bb.1651:                             ;   in Loop: Header=BB2_1545 Depth=2
	v_and_b32_e32 v50, 7, v17
	v_ffbh_u32_e32 v24, v50
	v_lshrrev_b32_e32 v45, 3, v51
	v_cmp_gt_u32_e32 vcc, 8, v51
	v_min_u32_e32 v51, 32, v24
	v_subrev_u32_e32 v24, 28, v51
	v_lshlrev_b64 v[24:25], v24, v[17:18]
	v_sub_u32_e32 v17, 29, v51
	v_and_b32_e32 v24, 7, v24
	v_cndmask_b32_e32 v17, v45, v17, vcc
	v_cndmask_b32_e32 v24, v50, v24, vcc
	v_lshlrev_b32_e32 v25, 24, v55
	v_lshlrev_b32_e32 v24, 20, v24
	v_and_b32_e32 v25, 0x80000000, v25
	v_lshl_add_u32 v17, v17, 23, v3
	v_or3_b32 v50, v25, v17, v24
.LBB2_1652:                             ;   in Loop: Header=BB2_1545 Depth=2
	s_or_b64 exec, exec, s[34:35]
.LBB2_1653:                             ;   in Loop: Header=BB2_1545 Depth=2
	s_or_b64 exec, exec, s[30:31]
.LBB2_1654:                             ;   in Loop: Header=BB2_1545 Depth=2
	s_or_b64 exec, exec, s[94:95]
	v_max_f32_e32 v17, v50, v50
	v_max_f32_e32 v24, v36, v36
	;; [unrolled: 1-line block ×3, first 2 shown]
	s_mov_b64 s[94:95], 0
.LBB2_1655:                             ;   in Loop: Header=BB2_1545 Depth=2
	s_and_b64 vcc, exec, s[94:95]
	s_cbranch_vccz .LBB2_1669
; %bb.1656:                             ;   in Loop: Header=BB2_1545 Depth=2
	v_mov_b32_e32 v36, 0
	v_mov_b32_e32 v17, 0
	s_and_saveexec_b64 s[94:95], s[22:23]
	s_cbranch_execz .LBB2_1662
; %bb.1657:                             ;   in Loop: Header=BB2_1545 Depth=2
	v_cmp_ne_u16_e32 vcc, s55, v16
	v_bfrev_b32_e32 v17, 1
	s_and_saveexec_b64 s[22:23], vcc
	s_cbranch_execz .LBB2_1661
; %bb.1658:                             ;   in Loop: Header=BB2_1545 Depth=2
	v_and_b32_e32 v50, 0x7f, v44
	v_cmp_ne_u32_e32 vcc, s53, v50
	v_mov_b32_e32 v17, 0x7f800001
	s_and_saveexec_b64 s[30:31], vcc
	s_cbranch_execz .LBB2_1660
; %bb.1659:                             ;   in Loop: Header=BB2_1545 Depth=2
	v_and_b32_e32 v24, 7, v16
	v_ffbh_u32_e32 v17, v24
	v_lshrrev_b32_e32 v25, 3, v50
	v_cmp_gt_u32_e32 vcc, 8, v50
	v_min_u32_e32 v50, 32, v17
	v_subrev_u32_e32 v17, 28, v50
	v_lshlrev_b64 v[16:17], v17, v[16:17]
	v_sub_u32_e32 v17, 29, v50
	v_and_b32_e32 v16, 7, v16
	v_cndmask_b32_e32 v17, v25, v17, vcc
	v_cndmask_b32_e32 v16, v24, v16, vcc
	v_lshlrev_b32_e32 v24, 24, v44
	v_lshlrev_b32_e32 v16, 20, v16
	v_and_b32_e32 v24, 0x80000000, v24
	v_lshl_add_u32 v17, v17, 23, v3
	v_or3_b32 v17, v24, v17, v16
.LBB2_1660:                             ;   in Loop: Header=BB2_1545 Depth=2
	s_or_b64 exec, exec, s[30:31]
.LBB2_1661:                             ;   in Loop: Header=BB2_1545 Depth=2
	s_or_b64 exec, exec, s[22:23]
.LBB2_1662:                             ;   in Loop: Header=BB2_1545 Depth=2
	s_or_b64 exec, exec, s[94:95]
	v_and_b32_e32 v16, 0xff, v55
	v_cmp_ne_u16_e32 vcc, 0, v16
	s_and_saveexec_b64 s[22:23], vcc
	s_cbranch_execz .LBB2_1668
; %bb.1663:                             ;   in Loop: Header=BB2_1545 Depth=2
	v_cmp_ne_u16_e32 vcc, s55, v16
	v_bfrev_b32_e32 v36, 1
	s_and_saveexec_b64 s[94:95], vcc
	s_cbranch_execz .LBB2_1667
; %bb.1664:                             ;   in Loop: Header=BB2_1545 Depth=2
	v_and_b32_e32 v50, 0x7f, v55
	v_cmp_ne_u32_e32 vcc, s53, v50
	v_mov_b32_e32 v36, 0x7f800001
	s_and_saveexec_b64 s[30:31], vcc
	s_cbranch_execz .LBB2_1666
; %bb.1665:                             ;   in Loop: Header=BB2_1545 Depth=2
	v_and_b32_e32 v36, 7, v16
	v_ffbh_u32_e32 v24, v36
	v_lshrrev_b32_e32 v51, 3, v50
	v_cmp_gt_u32_e32 vcc, 8, v50
	v_min_u32_e32 v50, 32, v24
	v_subrev_u32_e32 v24, 28, v50
	v_lshlrev_b64 v[24:25], v24, v[16:17]
	v_sub_u32_e32 v16, 29, v50
	v_and_b32_e32 v24, 7, v24
	v_cndmask_b32_e32 v16, v51, v16, vcc
	v_cndmask_b32_e32 v24, v36, v24, vcc
	v_lshlrev_b32_e32 v25, 24, v55
	v_lshlrev_b32_e32 v24, 20, v24
	v_and_b32_e32 v25, 0x80000000, v25
	v_lshl_add_u32 v16, v16, 23, v3
	v_or3_b32 v36, v25, v16, v24
.LBB2_1666:                             ;   in Loop: Header=BB2_1545 Depth=2
	s_or_b64 exec, exec, s[30:31]
.LBB2_1667:                             ;   in Loop: Header=BB2_1545 Depth=2
	s_or_b64 exec, exec, s[94:95]
.LBB2_1668:                             ;   in Loop: Header=BB2_1545 Depth=2
	s_or_b64 exec, exec, s[22:23]
	v_max_f32_e32 v16, v36, v36
	v_max_f32_e32 v17, v17, v17
	v_min_f32_e32 v17, v17, v16
.LBB2_1669:                             ;   in Loop: Header=BB2_1545 Depth=2
	v_and_b32_e32 v36, 0x7f800000, v17
	v_cmp_ne_u64_e32 vcc, s[72:73], v[36:37]
                                        ; implicit-def: $vgpr55
	s_and_saveexec_b64 s[22:23], vcc
	s_xor_b64 s[94:95], exec, s[22:23]
	s_cbranch_execz .LBB2_1687
; %bb.1670:                             ;   in Loop: Header=BB2_1545 Depth=2
	v_and_b32_e32 v36, 0x7fffffff, v17
	v_cmp_gt_u64_e32 vcc, s[74:75], v[36:37]
	v_and_b32_sdwa v44, v17, s55 dst_sel:DWORD dst_unused:UNUSED_PAD src0_sel:BYTE_3 src1_sel:DWORD
                                        ; implicit-def: $vgpr55
	s_and_saveexec_b64 s[22:23], vcc
	s_xor_b64 s[30:31], exec, s[22:23]
	s_cbranch_execz .LBB2_1684
; %bb.1671:                             ;   in Loop: Header=BB2_1545 Depth=2
	v_cmp_ne_u32_e32 vcc, 0, v17
	v_mov_b32_e32 v55, 0
	s_and_saveexec_b64 s[34:35], vcc
	s_cbranch_execz .LBB2_1683
; %bb.1672:                             ;   in Loop: Header=BB2_1545 Depth=2
	v_bfe_u32 v55, v17, 23, 8
	v_and_b32_e32 v16, 0x7fffff, v17
	v_cmp_gt_u32_e64 s[22:23], s64, v55
	v_sub_u32_e32 v17, 0x79, v55
	v_cmp_eq_u32_e32 vcc, 0, v55
	v_cndmask_b32_e64 v17, 0, v17, s[22:23]
	v_or_b32_e32 v24, 0x800000, v16
	v_cndmask_b32_e32 v45, v17, v2, vcc
	v_cndmask_b32_e32 v36, v24, v16, vcc
	v_add_u32_e32 v16, 20, v45
	v_lshlrev_b64 v[16:17], v16, -1
	v_add_u32_e32 v24, 19, v45
	v_lshlrev_b64 v[24:25], v24, 1
	v_bfi_b32 v17, v17, 0, 0
	v_bfi_b32 v16, v16, 0, v36
	v_cmp_eq_u64_e64 s[22:23], v[16:17], v[24:25]
	v_lshrrev_b64 v[16:17], v45, v[36:37]
	v_mov_b32_e32 v51, v17
	v_mov_b32_e32 v50, v16
	s_and_saveexec_b64 s[36:37], s[22:23]
; %bb.1673:                             ;   in Loop: Header=BB2_1545 Depth=2
	v_bfe_u32 v17, v16, 20, 1
	v_add_co_u32_e64 v17, s[22:23], v16, v17
	v_add_co_u32_e64 v50, s[22:23], -1, v17
; %bb.1674:                             ;   in Loop: Header=BB2_1545 Depth=2
	s_or_b64 exec, exec, s[36:37]
	v_add_u32_e32 v17, 0xffffff81, v55
	v_cndmask_b32_e32 v17, v17, v20, vcc
	v_lshrrev_b32_e32 v24, 23, v16
	v_add3_u32 v55, v45, v17, v24
	v_add_u32_e32 v51, 6, v55
	v_and_b32_e32 v17, 0xfffff, v50
	v_add_u32_e32 v36, v17, v16
	v_cmp_ne_u32_e32 vcc, 0, v51
                                        ; implicit-def: $vgpr16_vgpr17
                                        ; implicit-def: $vgpr50
	s_and_saveexec_b64 s[22:23], vcc
	s_xor_b64 s[22:23], exec, s[22:23]
; %bb.1675:                             ;   in Loop: Header=BB2_1545 Depth=2
	v_cmp_lt_u64_e32 vcc, s[76:77], v[36:37]
	v_add_u32_e32 v16, 7, v55
	v_cndmask_b32_e32 v50, v51, v16, vcc
	v_cndmask_b32_e64 v16, 0, 1, vcc
	v_lshrrev_b64 v[16:17], v16, v[36:37]
; %bb.1676:                             ;   in Loop: Header=BB2_1545 Depth=2
	s_andn2_saveexec_b64 s[22:23], s[22:23]
; %bb.1677:                             ;   in Loop: Header=BB2_1545 Depth=2
	v_mov_b32_e32 v16, v36
	v_bfe_u32 v50, v36, 23, 1
	v_mov_b32_e32 v17, v37
; %bb.1678:                             ;   in Loop: Header=BB2_1545 Depth=2
	s_or_b64 exec, exec, s[22:23]
	v_lshrrev_b64 v[16:17], 20, v[16:17]
	v_cmp_gt_i32_e32 vcc, 16, v50
	v_cndmask_b32_e32 v17, 0, v17, vcc
	v_cndmask_b32_e32 v16, 7, v16, vcc
	v_cmp_ne_u64_e32 vcc, 0, v[16:17]
	v_cmp_ne_u32_e64 s[22:23], 0, v50
	s_or_b64 s[22:23], s[22:23], vcc
                                        ; implicit-def: $vgpr55
	s_and_saveexec_b64 vcc, s[22:23]
	s_xor_b64 s[22:23], exec, vcc
; %bb.1679:                             ;   in Loop: Header=BB2_1545 Depth=2
	v_min_i32_e32 v17, 15, v50
	v_lshl_or_b32 v17, v17, 3, v44
	v_and_or_b32 v55, v16, 7, v17
                                        ; implicit-def: $vgpr44
; %bb.1680:                             ;   in Loop: Header=BB2_1545 Depth=2
	s_andn2_saveexec_b64 s[22:23], s[22:23]
; %bb.1681:                             ;   in Loop: Header=BB2_1545 Depth=2
	v_mov_b32_e32 v55, v44
; %bb.1682:                             ;   in Loop: Header=BB2_1545 Depth=2
	s_or_b64 exec, exec, s[22:23]
.LBB2_1683:                             ;   in Loop: Header=BB2_1545 Depth=2
	s_or_b64 exec, exec, s[34:35]
                                        ; implicit-def: $vgpr44
.LBB2_1684:                             ;   in Loop: Header=BB2_1545 Depth=2
	s_andn2_saveexec_b64 s[22:23], s[30:31]
; %bb.1685:                             ;   in Loop: Header=BB2_1545 Depth=2
	v_or_b32_e32 v55, 0x7e, v44
; %bb.1686:                             ;   in Loop: Header=BB2_1545 Depth=2
	s_or_b64 exec, exec, s[22:23]
                                        ; implicit-def: $vgpr17
.LBB2_1687:                             ;   in Loop: Header=BB2_1545 Depth=2
	s_andn2_saveexec_b64 s[22:23], s[94:95]
; %bb.1688:                             ;   in Loop: Header=BB2_1545 Depth=2
	v_or_b32_sdwa v55, v17, s53 dst_sel:DWORD dst_unused:UNUSED_PAD src0_sel:BYTE_3 src1_sel:DWORD
; %bb.1689:                             ;   in Loop: Header=BB2_1545 Depth=2
	s_or_b64 exec, exec, s[22:23]
	v_and_b32_e32 v16, 0xff, v43
	v_cmp_ne_u16_e64 s[22:23], 0, v16
	s_and_b64 vcc, exec, s[20:21]
	s_mov_b64 s[94:95], -1
                                        ; implicit-def: $vgpr17
	s_cbranch_vccnz .LBB2_1703
; %bb.1690:                             ;   in Loop: Header=BB2_1545 Depth=2
	v_mov_b32_e32 v50, 0
	v_mov_b32_e32 v36, 0
	s_and_saveexec_b64 s[94:95], s[22:23]
	s_cbranch_execz .LBB2_1696
; %bb.1691:                             ;   in Loop: Header=BB2_1545 Depth=2
	v_cmp_ne_u16_e32 vcc, s55, v16
	v_bfrev_b32_e32 v36, 1
	s_and_saveexec_b64 s[30:31], vcc
	s_cbranch_execz .LBB2_1695
; %bb.1692:                             ;   in Loop: Header=BB2_1545 Depth=2
	v_and_b32_e32 v17, 0x7f, v43
	v_cmp_ne_u32_e32 vcc, s53, v17
	v_mov_b32_e32 v36, 0x7f800001
	s_and_saveexec_b64 s[34:35], vcc
	s_cbranch_execz .LBB2_1694
; %bb.1693:                             ;   in Loop: Header=BB2_1545 Depth=2
	v_and_b32_e32 v36, 7, v16
	v_lshrrev_b32_e32 v51, 3, v17
	v_cmp_gt_u32_e32 vcc, 8, v17
	v_ffbh_u32_e32 v17, v36
	v_min_u32_e32 v17, 32, v17
	v_subrev_u32_e32 v24, 28, v17
	v_lshlrev_b64 v[24:25], v24, v[16:17]
	v_sub_u32_e32 v17, 29, v17
	v_and_b32_e32 v24, 7, v24
	v_cndmask_b32_e32 v17, v51, v17, vcc
	v_cndmask_b32_e32 v24, v36, v24, vcc
	v_lshlrev_b32_e32 v25, 24, v43
	v_lshlrev_b32_e32 v24, 20, v24
	v_and_b32_e32 v25, 0x80000000, v25
	v_lshl_add_u32 v17, v17, 23, v3
	v_or3_b32 v36, v25, v17, v24
.LBB2_1694:                             ;   in Loop: Header=BB2_1545 Depth=2
	s_or_b64 exec, exec, s[34:35]
.LBB2_1695:                             ;   in Loop: Header=BB2_1545 Depth=2
	s_or_b64 exec, exec, s[30:31]
.LBB2_1696:                             ;   in Loop: Header=BB2_1545 Depth=2
	s_or_b64 exec, exec, s[94:95]
	v_and_b32_e32 v17, 0xff, v42
	v_cmp_ne_u16_e32 vcc, 0, v17
	s_and_saveexec_b64 s[94:95], vcc
	s_cbranch_execz .LBB2_1702
; %bb.1697:                             ;   in Loop: Header=BB2_1545 Depth=2
	v_cmp_ne_u16_e32 vcc, s55, v17
	v_bfrev_b32_e32 v50, 1
	s_and_saveexec_b64 s[30:31], vcc
	s_cbranch_execz .LBB2_1701
; %bb.1698:                             ;   in Loop: Header=BB2_1545 Depth=2
	v_and_b32_e32 v51, 0x7f, v42
	v_cmp_ne_u32_e32 vcc, s53, v51
	v_mov_b32_e32 v50, 0x7f800001
	s_and_saveexec_b64 s[34:35], vcc
	s_cbranch_execz .LBB2_1700
; %bb.1699:                             ;   in Loop: Header=BB2_1545 Depth=2
	v_and_b32_e32 v50, 7, v17
	v_ffbh_u32_e32 v24, v50
	v_lshrrev_b32_e32 v44, 3, v51
	v_cmp_gt_u32_e32 vcc, 8, v51
	v_min_u32_e32 v51, 32, v24
	v_subrev_u32_e32 v24, 28, v51
	v_lshlrev_b64 v[24:25], v24, v[17:18]
	v_sub_u32_e32 v17, 29, v51
	v_and_b32_e32 v24, 7, v24
	v_cndmask_b32_e32 v17, v44, v17, vcc
	v_cndmask_b32_e32 v24, v50, v24, vcc
	v_lshlrev_b32_e32 v25, 24, v42
	v_lshlrev_b32_e32 v24, 20, v24
	v_and_b32_e32 v25, 0x80000000, v25
	v_lshl_add_u32 v17, v17, 23, v3
	v_or3_b32 v50, v25, v17, v24
.LBB2_1700:                             ;   in Loop: Header=BB2_1545 Depth=2
	s_or_b64 exec, exec, s[34:35]
.LBB2_1701:                             ;   in Loop: Header=BB2_1545 Depth=2
	s_or_b64 exec, exec, s[30:31]
.LBB2_1702:                             ;   in Loop: Header=BB2_1545 Depth=2
	s_or_b64 exec, exec, s[94:95]
	v_max_f32_e32 v17, v50, v50
	v_max_f32_e32 v24, v36, v36
	;; [unrolled: 1-line block ×3, first 2 shown]
	s_mov_b64 s[94:95], 0
.LBB2_1703:                             ;   in Loop: Header=BB2_1545 Depth=2
	s_and_b64 vcc, exec, s[94:95]
	s_cbranch_vccz .LBB2_1717
; %bb.1704:                             ;   in Loop: Header=BB2_1545 Depth=2
	v_mov_b32_e32 v36, 0
	v_mov_b32_e32 v17, 0
	s_and_saveexec_b64 s[94:95], s[22:23]
	s_cbranch_execz .LBB2_1710
; %bb.1705:                             ;   in Loop: Header=BB2_1545 Depth=2
	v_cmp_ne_u16_e32 vcc, s55, v16
	v_bfrev_b32_e32 v17, 1
	s_and_saveexec_b64 s[22:23], vcc
	s_cbranch_execz .LBB2_1709
; %bb.1706:                             ;   in Loop: Header=BB2_1545 Depth=2
	v_and_b32_e32 v50, 0x7f, v43
	v_cmp_ne_u32_e32 vcc, s53, v50
	v_mov_b32_e32 v17, 0x7f800001
	s_and_saveexec_b64 s[30:31], vcc
	s_cbranch_execz .LBB2_1708
; %bb.1707:                             ;   in Loop: Header=BB2_1545 Depth=2
	v_and_b32_e32 v24, 7, v16
	v_ffbh_u32_e32 v17, v24
	v_lshrrev_b32_e32 v25, 3, v50
	v_cmp_gt_u32_e32 vcc, 8, v50
	v_min_u32_e32 v50, 32, v17
	v_subrev_u32_e32 v17, 28, v50
	v_lshlrev_b64 v[16:17], v17, v[16:17]
	v_sub_u32_e32 v17, 29, v50
	v_and_b32_e32 v16, 7, v16
	v_cndmask_b32_e32 v17, v25, v17, vcc
	v_cndmask_b32_e32 v16, v24, v16, vcc
	v_lshlrev_b32_e32 v24, 24, v43
	v_lshlrev_b32_e32 v16, 20, v16
	v_and_b32_e32 v24, 0x80000000, v24
	v_lshl_add_u32 v17, v17, 23, v3
	v_or3_b32 v17, v24, v17, v16
.LBB2_1708:                             ;   in Loop: Header=BB2_1545 Depth=2
	s_or_b64 exec, exec, s[30:31]
.LBB2_1709:                             ;   in Loop: Header=BB2_1545 Depth=2
	s_or_b64 exec, exec, s[22:23]
.LBB2_1710:                             ;   in Loop: Header=BB2_1545 Depth=2
	s_or_b64 exec, exec, s[94:95]
	v_and_b32_e32 v16, 0xff, v42
	v_cmp_ne_u16_e32 vcc, 0, v16
	s_and_saveexec_b64 s[22:23], vcc
	s_cbranch_execz .LBB2_1716
; %bb.1711:                             ;   in Loop: Header=BB2_1545 Depth=2
	v_cmp_ne_u16_e32 vcc, s55, v16
	v_bfrev_b32_e32 v36, 1
	s_and_saveexec_b64 s[94:95], vcc
	s_cbranch_execz .LBB2_1715
; %bb.1712:                             ;   in Loop: Header=BB2_1545 Depth=2
	v_and_b32_e32 v50, 0x7f, v42
	v_cmp_ne_u32_e32 vcc, s53, v50
	v_mov_b32_e32 v36, 0x7f800001
	s_and_saveexec_b64 s[30:31], vcc
	s_cbranch_execz .LBB2_1714
; %bb.1713:                             ;   in Loop: Header=BB2_1545 Depth=2
	v_and_b32_e32 v36, 7, v16
	v_ffbh_u32_e32 v24, v36
	v_lshrrev_b32_e32 v51, 3, v50
	v_cmp_gt_u32_e32 vcc, 8, v50
	v_min_u32_e32 v50, 32, v24
	v_subrev_u32_e32 v24, 28, v50
	v_lshlrev_b64 v[24:25], v24, v[16:17]
	v_sub_u32_e32 v16, 29, v50
	v_and_b32_e32 v24, 7, v24
	v_cndmask_b32_e32 v16, v51, v16, vcc
	v_cndmask_b32_e32 v24, v36, v24, vcc
	v_lshlrev_b32_e32 v25, 24, v42
	v_lshlrev_b32_e32 v24, 20, v24
	v_and_b32_e32 v25, 0x80000000, v25
	v_lshl_add_u32 v16, v16, 23, v3
	v_or3_b32 v36, v25, v16, v24
.LBB2_1714:                             ;   in Loop: Header=BB2_1545 Depth=2
	s_or_b64 exec, exec, s[30:31]
.LBB2_1715:                             ;   in Loop: Header=BB2_1545 Depth=2
	s_or_b64 exec, exec, s[94:95]
.LBB2_1716:                             ;   in Loop: Header=BB2_1545 Depth=2
	s_or_b64 exec, exec, s[22:23]
	v_max_f32_e32 v16, v36, v36
	v_max_f32_e32 v17, v17, v17
	v_min_f32_e32 v17, v17, v16
.LBB2_1717:                             ;   in Loop: Header=BB2_1545 Depth=2
	v_and_b32_e32 v36, 0x7f800000, v17
	v_cmp_ne_u64_e32 vcc, s[72:73], v[36:37]
                                        ; implicit-def: $vgpr42
	s_and_saveexec_b64 s[22:23], vcc
	s_xor_b64 s[94:95], exec, s[22:23]
	s_cbranch_execz .LBB2_1735
; %bb.1718:                             ;   in Loop: Header=BB2_1545 Depth=2
	v_and_b32_e32 v36, 0x7fffffff, v17
	v_cmp_gt_u64_e32 vcc, s[74:75], v[36:37]
	v_and_b32_sdwa v43, v17, s55 dst_sel:DWORD dst_unused:UNUSED_PAD src0_sel:BYTE_3 src1_sel:DWORD
                                        ; implicit-def: $vgpr42
	s_and_saveexec_b64 s[22:23], vcc
	s_xor_b64 s[30:31], exec, s[22:23]
	s_cbranch_execz .LBB2_1732
; %bb.1719:                             ;   in Loop: Header=BB2_1545 Depth=2
	v_cmp_ne_u32_e32 vcc, 0, v17
	v_mov_b32_e32 v42, 0
	s_and_saveexec_b64 s[34:35], vcc
	s_cbranch_execz .LBB2_1731
; %bb.1720:                             ;   in Loop: Header=BB2_1545 Depth=2
	v_bfe_u32 v42, v17, 23, 8
	v_and_b32_e32 v16, 0x7fffff, v17
	v_cmp_gt_u32_e64 s[22:23], s64, v42
	v_sub_u32_e32 v17, 0x79, v42
	v_cmp_eq_u32_e32 vcc, 0, v42
	v_cndmask_b32_e64 v17, 0, v17, s[22:23]
	v_or_b32_e32 v24, 0x800000, v16
	v_cndmask_b32_e32 v44, v17, v2, vcc
	v_cndmask_b32_e32 v36, v24, v16, vcc
	v_add_u32_e32 v16, 20, v44
	v_lshlrev_b64 v[16:17], v16, -1
	v_add_u32_e32 v24, 19, v44
	v_lshlrev_b64 v[24:25], v24, 1
	v_bfi_b32 v17, v17, 0, 0
	v_bfi_b32 v16, v16, 0, v36
	v_cmp_eq_u64_e64 s[22:23], v[16:17], v[24:25]
	v_lshrrev_b64 v[16:17], v44, v[36:37]
	v_mov_b32_e32 v51, v17
	v_mov_b32_e32 v50, v16
	s_and_saveexec_b64 s[36:37], s[22:23]
; %bb.1721:                             ;   in Loop: Header=BB2_1545 Depth=2
	v_bfe_u32 v17, v16, 20, 1
	v_add_co_u32_e64 v17, s[22:23], v16, v17
	v_add_co_u32_e64 v50, s[22:23], -1, v17
; %bb.1722:                             ;   in Loop: Header=BB2_1545 Depth=2
	s_or_b64 exec, exec, s[36:37]
	v_add_u32_e32 v17, 0xffffff81, v42
	v_cndmask_b32_e32 v17, v17, v20, vcc
	v_lshrrev_b32_e32 v24, 23, v16
	v_add3_u32 v42, v44, v17, v24
	v_add_u32_e32 v51, 6, v42
	v_and_b32_e32 v17, 0xfffff, v50
	v_add_u32_e32 v36, v17, v16
	v_cmp_ne_u32_e32 vcc, 0, v51
                                        ; implicit-def: $vgpr16_vgpr17
                                        ; implicit-def: $vgpr50
	s_and_saveexec_b64 s[22:23], vcc
	s_xor_b64 s[22:23], exec, s[22:23]
; %bb.1723:                             ;   in Loop: Header=BB2_1545 Depth=2
	v_cmp_lt_u64_e32 vcc, s[76:77], v[36:37]
	v_add_u32_e32 v16, 7, v42
	v_cndmask_b32_e32 v50, v51, v16, vcc
	v_cndmask_b32_e64 v16, 0, 1, vcc
	v_lshrrev_b64 v[16:17], v16, v[36:37]
; %bb.1724:                             ;   in Loop: Header=BB2_1545 Depth=2
	s_andn2_saveexec_b64 s[22:23], s[22:23]
; %bb.1725:                             ;   in Loop: Header=BB2_1545 Depth=2
	v_mov_b32_e32 v16, v36
	v_bfe_u32 v50, v36, 23, 1
	v_mov_b32_e32 v17, v37
; %bb.1726:                             ;   in Loop: Header=BB2_1545 Depth=2
	s_or_b64 exec, exec, s[22:23]
	v_lshrrev_b64 v[16:17], 20, v[16:17]
	v_cmp_gt_i32_e32 vcc, 16, v50
	v_cndmask_b32_e32 v17, 0, v17, vcc
	v_cndmask_b32_e32 v16, 7, v16, vcc
	v_cmp_ne_u64_e32 vcc, 0, v[16:17]
	v_cmp_ne_u32_e64 s[22:23], 0, v50
	s_or_b64 s[22:23], s[22:23], vcc
                                        ; implicit-def: $vgpr42
	s_and_saveexec_b64 vcc, s[22:23]
	s_xor_b64 s[22:23], exec, vcc
; %bb.1727:                             ;   in Loop: Header=BB2_1545 Depth=2
	v_min_i32_e32 v17, 15, v50
	v_lshl_or_b32 v17, v17, 3, v43
	v_and_or_b32 v42, v16, 7, v17
                                        ; implicit-def: $vgpr43
; %bb.1728:                             ;   in Loop: Header=BB2_1545 Depth=2
	s_andn2_saveexec_b64 s[22:23], s[22:23]
; %bb.1729:                             ;   in Loop: Header=BB2_1545 Depth=2
	v_mov_b32_e32 v42, v43
; %bb.1730:                             ;   in Loop: Header=BB2_1545 Depth=2
	s_or_b64 exec, exec, s[22:23]
.LBB2_1731:                             ;   in Loop: Header=BB2_1545 Depth=2
	s_or_b64 exec, exec, s[34:35]
                                        ; implicit-def: $vgpr43
.LBB2_1732:                             ;   in Loop: Header=BB2_1545 Depth=2
	s_andn2_saveexec_b64 s[22:23], s[30:31]
; %bb.1733:                             ;   in Loop: Header=BB2_1545 Depth=2
	v_or_b32_e32 v42, 0x7e, v43
; %bb.1734:                             ;   in Loop: Header=BB2_1545 Depth=2
	s_or_b64 exec, exec, s[22:23]
                                        ; implicit-def: $vgpr17
.LBB2_1735:                             ;   in Loop: Header=BB2_1545 Depth=2
	s_andn2_saveexec_b64 s[22:23], s[94:95]
; %bb.1736:                             ;   in Loop: Header=BB2_1545 Depth=2
	v_or_b32_sdwa v42, v17, s53 dst_sel:DWORD dst_unused:UNUSED_PAD src0_sel:BYTE_3 src1_sel:DWORD
; %bb.1737:                             ;   in Loop: Header=BB2_1545 Depth=2
	s_or_b64 exec, exec, s[22:23]
	v_and_b32_e32 v16, 0xff, v41
	v_cmp_ne_u16_e64 s[22:23], 0, v16
	s_and_b64 vcc, exec, s[20:21]
	s_mov_b64 s[94:95], -1
                                        ; implicit-def: $vgpr17
	s_cbranch_vccnz .LBB2_1751
; %bb.1738:                             ;   in Loop: Header=BB2_1545 Depth=2
	v_mov_b32_e32 v50, 0
	v_mov_b32_e32 v36, 0
	s_and_saveexec_b64 s[94:95], s[22:23]
	s_cbranch_execz .LBB2_1744
; %bb.1739:                             ;   in Loop: Header=BB2_1545 Depth=2
	v_cmp_ne_u16_e32 vcc, s55, v16
	v_bfrev_b32_e32 v36, 1
	s_and_saveexec_b64 s[30:31], vcc
	s_cbranch_execz .LBB2_1743
; %bb.1740:                             ;   in Loop: Header=BB2_1545 Depth=2
	v_and_b32_e32 v17, 0x7f, v41
	v_cmp_ne_u32_e32 vcc, s53, v17
	v_mov_b32_e32 v36, 0x7f800001
	s_and_saveexec_b64 s[34:35], vcc
	s_cbranch_execz .LBB2_1742
; %bb.1741:                             ;   in Loop: Header=BB2_1545 Depth=2
	v_and_b32_e32 v36, 7, v16
	v_lshrrev_b32_e32 v51, 3, v17
	v_cmp_gt_u32_e32 vcc, 8, v17
	v_ffbh_u32_e32 v17, v36
	v_min_u32_e32 v17, 32, v17
	v_subrev_u32_e32 v24, 28, v17
	v_lshlrev_b64 v[24:25], v24, v[16:17]
	v_sub_u32_e32 v17, 29, v17
	v_and_b32_e32 v24, 7, v24
	v_cndmask_b32_e32 v17, v51, v17, vcc
	v_cndmask_b32_e32 v24, v36, v24, vcc
	v_lshlrev_b32_e32 v25, 24, v41
	v_lshlrev_b32_e32 v24, 20, v24
	v_and_b32_e32 v25, 0x80000000, v25
	v_lshl_add_u32 v17, v17, 23, v3
	v_or3_b32 v36, v25, v17, v24
.LBB2_1742:                             ;   in Loop: Header=BB2_1545 Depth=2
	s_or_b64 exec, exec, s[34:35]
.LBB2_1743:                             ;   in Loop: Header=BB2_1545 Depth=2
	s_or_b64 exec, exec, s[30:31]
.LBB2_1744:                             ;   in Loop: Header=BB2_1545 Depth=2
	s_or_b64 exec, exec, s[94:95]
	v_and_b32_e32 v17, 0xff, v40
	v_cmp_ne_u16_e32 vcc, 0, v17
	s_and_saveexec_b64 s[94:95], vcc
	s_cbranch_execz .LBB2_1750
; %bb.1745:                             ;   in Loop: Header=BB2_1545 Depth=2
	v_cmp_ne_u16_e32 vcc, s55, v17
	v_bfrev_b32_e32 v50, 1
	s_and_saveexec_b64 s[30:31], vcc
	s_cbranch_execz .LBB2_1749
; %bb.1746:                             ;   in Loop: Header=BB2_1545 Depth=2
	v_and_b32_e32 v51, 0x7f, v40
	v_cmp_ne_u32_e32 vcc, s53, v51
	v_mov_b32_e32 v50, 0x7f800001
	s_and_saveexec_b64 s[34:35], vcc
	s_cbranch_execz .LBB2_1748
; %bb.1747:                             ;   in Loop: Header=BB2_1545 Depth=2
	v_and_b32_e32 v50, 7, v17
	v_ffbh_u32_e32 v24, v50
	v_lshrrev_b32_e32 v43, 3, v51
	v_cmp_gt_u32_e32 vcc, 8, v51
	v_min_u32_e32 v51, 32, v24
	v_subrev_u32_e32 v24, 28, v51
	v_lshlrev_b64 v[24:25], v24, v[17:18]
	v_sub_u32_e32 v17, 29, v51
	v_and_b32_e32 v24, 7, v24
	v_cndmask_b32_e32 v17, v43, v17, vcc
	v_cndmask_b32_e32 v24, v50, v24, vcc
	v_lshlrev_b32_e32 v25, 24, v40
	v_lshlrev_b32_e32 v24, 20, v24
	v_and_b32_e32 v25, 0x80000000, v25
	v_lshl_add_u32 v17, v17, 23, v3
	v_or3_b32 v50, v25, v17, v24
.LBB2_1748:                             ;   in Loop: Header=BB2_1545 Depth=2
	s_or_b64 exec, exec, s[34:35]
.LBB2_1749:                             ;   in Loop: Header=BB2_1545 Depth=2
	s_or_b64 exec, exec, s[30:31]
.LBB2_1750:                             ;   in Loop: Header=BB2_1545 Depth=2
	s_or_b64 exec, exec, s[94:95]
	v_max_f32_e32 v17, v50, v50
	v_max_f32_e32 v24, v36, v36
	;; [unrolled: 1-line block ×3, first 2 shown]
	s_mov_b64 s[94:95], 0
.LBB2_1751:                             ;   in Loop: Header=BB2_1545 Depth=2
	s_and_b64 vcc, exec, s[94:95]
	s_cbranch_vccz .LBB2_1765
; %bb.1752:                             ;   in Loop: Header=BB2_1545 Depth=2
	v_mov_b32_e32 v36, 0
	v_mov_b32_e32 v17, 0
	s_and_saveexec_b64 s[94:95], s[22:23]
	s_cbranch_execz .LBB2_1758
; %bb.1753:                             ;   in Loop: Header=BB2_1545 Depth=2
	v_cmp_ne_u16_e32 vcc, s55, v16
	v_bfrev_b32_e32 v17, 1
	s_and_saveexec_b64 s[22:23], vcc
	s_cbranch_execz .LBB2_1757
; %bb.1754:                             ;   in Loop: Header=BB2_1545 Depth=2
	v_and_b32_e32 v50, 0x7f, v41
	v_cmp_ne_u32_e32 vcc, s53, v50
	v_mov_b32_e32 v17, 0x7f800001
	s_and_saveexec_b64 s[30:31], vcc
	s_cbranch_execz .LBB2_1756
; %bb.1755:                             ;   in Loop: Header=BB2_1545 Depth=2
	v_and_b32_e32 v24, 7, v16
	v_ffbh_u32_e32 v17, v24
	v_lshrrev_b32_e32 v25, 3, v50
	v_cmp_gt_u32_e32 vcc, 8, v50
	v_min_u32_e32 v50, 32, v17
	v_subrev_u32_e32 v17, 28, v50
	v_lshlrev_b64 v[16:17], v17, v[16:17]
	v_sub_u32_e32 v17, 29, v50
	v_and_b32_e32 v16, 7, v16
	v_cndmask_b32_e32 v17, v25, v17, vcc
	v_cndmask_b32_e32 v16, v24, v16, vcc
	v_lshlrev_b32_e32 v24, 24, v41
	v_lshlrev_b32_e32 v16, 20, v16
	v_and_b32_e32 v24, 0x80000000, v24
	v_lshl_add_u32 v17, v17, 23, v3
	v_or3_b32 v17, v24, v17, v16
.LBB2_1756:                             ;   in Loop: Header=BB2_1545 Depth=2
	s_or_b64 exec, exec, s[30:31]
.LBB2_1757:                             ;   in Loop: Header=BB2_1545 Depth=2
	s_or_b64 exec, exec, s[22:23]
.LBB2_1758:                             ;   in Loop: Header=BB2_1545 Depth=2
	s_or_b64 exec, exec, s[94:95]
	v_and_b32_e32 v16, 0xff, v40
	v_cmp_ne_u16_e32 vcc, 0, v16
	s_and_saveexec_b64 s[22:23], vcc
	s_cbranch_execz .LBB2_1764
; %bb.1759:                             ;   in Loop: Header=BB2_1545 Depth=2
	v_cmp_ne_u16_e32 vcc, s55, v16
	v_bfrev_b32_e32 v36, 1
	s_and_saveexec_b64 s[94:95], vcc
	s_cbranch_execz .LBB2_1763
; %bb.1760:                             ;   in Loop: Header=BB2_1545 Depth=2
	v_and_b32_e32 v50, 0x7f, v40
	v_cmp_ne_u32_e32 vcc, s53, v50
	v_mov_b32_e32 v36, 0x7f800001
	s_and_saveexec_b64 s[30:31], vcc
	s_cbranch_execz .LBB2_1762
; %bb.1761:                             ;   in Loop: Header=BB2_1545 Depth=2
	v_and_b32_e32 v36, 7, v16
	v_ffbh_u32_e32 v24, v36
	v_lshrrev_b32_e32 v51, 3, v50
	v_cmp_gt_u32_e32 vcc, 8, v50
	v_min_u32_e32 v50, 32, v24
	v_subrev_u32_e32 v24, 28, v50
	v_lshlrev_b64 v[24:25], v24, v[16:17]
	v_sub_u32_e32 v16, 29, v50
	v_and_b32_e32 v24, 7, v24
	v_cndmask_b32_e32 v16, v51, v16, vcc
	v_cndmask_b32_e32 v24, v36, v24, vcc
	v_lshlrev_b32_e32 v25, 24, v40
	v_lshlrev_b32_e32 v24, 20, v24
	v_and_b32_e32 v25, 0x80000000, v25
	v_lshl_add_u32 v16, v16, 23, v3
	v_or3_b32 v36, v25, v16, v24
.LBB2_1762:                             ;   in Loop: Header=BB2_1545 Depth=2
	s_or_b64 exec, exec, s[30:31]
.LBB2_1763:                             ;   in Loop: Header=BB2_1545 Depth=2
	s_or_b64 exec, exec, s[94:95]
.LBB2_1764:                             ;   in Loop: Header=BB2_1545 Depth=2
	s_or_b64 exec, exec, s[22:23]
	v_max_f32_e32 v16, v36, v36
	v_max_f32_e32 v17, v17, v17
	v_min_f32_e32 v17, v17, v16
.LBB2_1765:                             ;   in Loop: Header=BB2_1545 Depth=2
	v_and_b32_e32 v36, 0x7f800000, v17
	v_cmp_ne_u64_e32 vcc, s[72:73], v[36:37]
                                        ; implicit-def: $vgpr40
	s_and_saveexec_b64 s[22:23], vcc
	s_xor_b64 s[94:95], exec, s[22:23]
	s_cbranch_execz .LBB2_1783
; %bb.1766:                             ;   in Loop: Header=BB2_1545 Depth=2
	v_and_b32_e32 v36, 0x7fffffff, v17
	v_cmp_gt_u64_e32 vcc, s[74:75], v[36:37]
	v_and_b32_sdwa v41, v17, s55 dst_sel:DWORD dst_unused:UNUSED_PAD src0_sel:BYTE_3 src1_sel:DWORD
                                        ; implicit-def: $vgpr40
	s_and_saveexec_b64 s[22:23], vcc
	s_xor_b64 s[30:31], exec, s[22:23]
	s_cbranch_execz .LBB2_1780
; %bb.1767:                             ;   in Loop: Header=BB2_1545 Depth=2
	v_cmp_ne_u32_e32 vcc, 0, v17
	v_mov_b32_e32 v40, 0
	s_and_saveexec_b64 s[34:35], vcc
	s_cbranch_execz .LBB2_1779
; %bb.1768:                             ;   in Loop: Header=BB2_1545 Depth=2
	v_bfe_u32 v40, v17, 23, 8
	v_and_b32_e32 v16, 0x7fffff, v17
	v_cmp_gt_u32_e64 s[22:23], s64, v40
	v_sub_u32_e32 v17, 0x79, v40
	v_cmp_eq_u32_e32 vcc, 0, v40
	v_cndmask_b32_e64 v17, 0, v17, s[22:23]
	v_or_b32_e32 v24, 0x800000, v16
	v_cndmask_b32_e32 v43, v17, v2, vcc
	v_cndmask_b32_e32 v36, v24, v16, vcc
	v_add_u32_e32 v16, 20, v43
	v_lshlrev_b64 v[16:17], v16, -1
	v_add_u32_e32 v24, 19, v43
	v_lshlrev_b64 v[24:25], v24, 1
	v_bfi_b32 v17, v17, 0, 0
	v_bfi_b32 v16, v16, 0, v36
	v_cmp_eq_u64_e64 s[22:23], v[16:17], v[24:25]
	v_lshrrev_b64 v[16:17], v43, v[36:37]
	v_mov_b32_e32 v51, v17
	v_mov_b32_e32 v50, v16
	s_and_saveexec_b64 s[36:37], s[22:23]
; %bb.1769:                             ;   in Loop: Header=BB2_1545 Depth=2
	v_bfe_u32 v17, v16, 20, 1
	v_add_co_u32_e64 v17, s[22:23], v16, v17
	v_add_co_u32_e64 v50, s[22:23], -1, v17
; %bb.1770:                             ;   in Loop: Header=BB2_1545 Depth=2
	s_or_b64 exec, exec, s[36:37]
	v_add_u32_e32 v17, 0xffffff81, v40
	v_cndmask_b32_e32 v17, v17, v20, vcc
	v_lshrrev_b32_e32 v24, 23, v16
	v_add3_u32 v40, v43, v17, v24
	v_add_u32_e32 v51, 6, v40
	v_and_b32_e32 v17, 0xfffff, v50
	v_add_u32_e32 v36, v17, v16
	v_cmp_ne_u32_e32 vcc, 0, v51
                                        ; implicit-def: $vgpr16_vgpr17
                                        ; implicit-def: $vgpr50
	s_and_saveexec_b64 s[22:23], vcc
	s_xor_b64 s[22:23], exec, s[22:23]
; %bb.1771:                             ;   in Loop: Header=BB2_1545 Depth=2
	v_cmp_lt_u64_e32 vcc, s[76:77], v[36:37]
	v_add_u32_e32 v16, 7, v40
	v_cndmask_b32_e32 v50, v51, v16, vcc
	v_cndmask_b32_e64 v16, 0, 1, vcc
	v_lshrrev_b64 v[16:17], v16, v[36:37]
; %bb.1772:                             ;   in Loop: Header=BB2_1545 Depth=2
	s_andn2_saveexec_b64 s[22:23], s[22:23]
; %bb.1773:                             ;   in Loop: Header=BB2_1545 Depth=2
	v_mov_b32_e32 v16, v36
	v_bfe_u32 v50, v36, 23, 1
	v_mov_b32_e32 v17, v37
; %bb.1774:                             ;   in Loop: Header=BB2_1545 Depth=2
	s_or_b64 exec, exec, s[22:23]
	v_lshrrev_b64 v[16:17], 20, v[16:17]
	v_cmp_gt_i32_e32 vcc, 16, v50
	v_cndmask_b32_e32 v17, 0, v17, vcc
	v_cndmask_b32_e32 v16, 7, v16, vcc
	v_cmp_ne_u64_e32 vcc, 0, v[16:17]
	v_cmp_ne_u32_e64 s[22:23], 0, v50
	s_or_b64 s[22:23], s[22:23], vcc
                                        ; implicit-def: $vgpr40
	s_and_saveexec_b64 vcc, s[22:23]
	s_xor_b64 s[22:23], exec, vcc
; %bb.1775:                             ;   in Loop: Header=BB2_1545 Depth=2
	v_min_i32_e32 v17, 15, v50
	v_lshl_or_b32 v17, v17, 3, v41
	v_and_or_b32 v40, v16, 7, v17
                                        ; implicit-def: $vgpr41
; %bb.1776:                             ;   in Loop: Header=BB2_1545 Depth=2
	s_andn2_saveexec_b64 s[22:23], s[22:23]
; %bb.1777:                             ;   in Loop: Header=BB2_1545 Depth=2
	v_mov_b32_e32 v40, v41
; %bb.1778:                             ;   in Loop: Header=BB2_1545 Depth=2
	s_or_b64 exec, exec, s[22:23]
.LBB2_1779:                             ;   in Loop: Header=BB2_1545 Depth=2
	s_or_b64 exec, exec, s[34:35]
                                        ; implicit-def: $vgpr41
.LBB2_1780:                             ;   in Loop: Header=BB2_1545 Depth=2
	s_andn2_saveexec_b64 s[22:23], s[30:31]
; %bb.1781:                             ;   in Loop: Header=BB2_1545 Depth=2
	v_or_b32_e32 v40, 0x7e, v41
; %bb.1782:                             ;   in Loop: Header=BB2_1545 Depth=2
	s_or_b64 exec, exec, s[22:23]
                                        ; implicit-def: $vgpr17
.LBB2_1783:                             ;   in Loop: Header=BB2_1545 Depth=2
	s_andn2_saveexec_b64 s[22:23], s[94:95]
; %bb.1784:                             ;   in Loop: Header=BB2_1545 Depth=2
	v_or_b32_sdwa v40, v17, s53 dst_sel:DWORD dst_unused:UNUSED_PAD src0_sel:BYTE_3 src1_sel:DWORD
; %bb.1785:                             ;   in Loop: Header=BB2_1545 Depth=2
	s_or_b64 exec, exec, s[22:23]
	v_and_b32_e32 v16, 0xff, v19
	v_cmp_ne_u16_e64 s[22:23], 0, v16
	s_and_b64 vcc, exec, s[20:21]
	s_mov_b64 s[94:95], -1
                                        ; implicit-def: $vgpr17
	s_cbranch_vccnz .LBB2_1799
; %bb.1786:                             ;   in Loop: Header=BB2_1545 Depth=2
	v_mov_b32_e32 v50, 0
	v_mov_b32_e32 v36, 0
	s_and_saveexec_b64 s[94:95], s[22:23]
	s_cbranch_execz .LBB2_1792
; %bb.1787:                             ;   in Loop: Header=BB2_1545 Depth=2
	v_cmp_ne_u16_e32 vcc, s55, v16
	v_bfrev_b32_e32 v36, 1
	s_and_saveexec_b64 s[30:31], vcc
	s_cbranch_execz .LBB2_1791
; %bb.1788:                             ;   in Loop: Header=BB2_1545 Depth=2
	v_and_b32_e32 v17, 0x7f, v19
	v_cmp_ne_u32_e32 vcc, s53, v17
	v_mov_b32_e32 v36, 0x7f800001
	s_and_saveexec_b64 s[34:35], vcc
	s_cbranch_execz .LBB2_1790
; %bb.1789:                             ;   in Loop: Header=BB2_1545 Depth=2
	v_and_b32_e32 v36, 7, v16
	v_lshrrev_b32_e32 v51, 3, v17
	v_cmp_gt_u32_e32 vcc, 8, v17
	v_ffbh_u32_e32 v17, v36
	v_min_u32_e32 v17, 32, v17
	v_subrev_u32_e32 v24, 28, v17
	v_lshlrev_b64 v[24:25], v24, v[16:17]
	v_sub_u32_e32 v17, 29, v17
	v_and_b32_e32 v24, 7, v24
	v_cndmask_b32_e32 v17, v51, v17, vcc
	v_cndmask_b32_e32 v24, v36, v24, vcc
	v_lshlrev_b32_e32 v25, 24, v19
	v_lshlrev_b32_e32 v24, 20, v24
	v_and_b32_e32 v25, 0x80000000, v25
	v_lshl_add_u32 v17, v17, 23, v3
	v_or3_b32 v36, v25, v17, v24
.LBB2_1790:                             ;   in Loop: Header=BB2_1545 Depth=2
	s_or_b64 exec, exec, s[34:35]
.LBB2_1791:                             ;   in Loop: Header=BB2_1545 Depth=2
	s_or_b64 exec, exec, s[30:31]
.LBB2_1792:                             ;   in Loop: Header=BB2_1545 Depth=2
	s_or_b64 exec, exec, s[94:95]
	v_and_b32_e32 v17, 0xff, v18
	v_cmp_ne_u16_e32 vcc, 0, v17
	s_and_saveexec_b64 s[94:95], vcc
	s_cbranch_execz .LBB2_1798
; %bb.1793:                             ;   in Loop: Header=BB2_1545 Depth=2
	v_cmp_ne_u16_e32 vcc, s55, v17
	v_bfrev_b32_e32 v50, 1
	s_and_saveexec_b64 s[30:31], vcc
	s_cbranch_execz .LBB2_1797
; %bb.1794:                             ;   in Loop: Header=BB2_1545 Depth=2
	v_and_b32_e32 v51, 0x7f, v18
	v_cmp_ne_u32_e32 vcc, s53, v51
	v_mov_b32_e32 v50, 0x7f800001
	s_and_saveexec_b64 s[34:35], vcc
	s_cbranch_execz .LBB2_1796
; %bb.1795:                             ;   in Loop: Header=BB2_1545 Depth=2
	v_and_b32_e32 v50, 7, v17
	v_ffbh_u32_e32 v24, v50
	v_lshrrev_b32_e32 v41, 3, v51
	v_cmp_gt_u32_e32 vcc, 8, v51
	v_min_u32_e32 v51, 32, v24
	v_subrev_u32_e32 v24, 28, v51
	v_lshlrev_b64 v[24:25], v24, v[17:18]
	v_sub_u32_e32 v17, 29, v51
	v_and_b32_e32 v24, 7, v24
	v_cndmask_b32_e32 v17, v41, v17, vcc
	v_cndmask_b32_e32 v24, v50, v24, vcc
	v_lshlrev_b32_e32 v25, 24, v18
	v_lshlrev_b32_e32 v24, 20, v24
	v_and_b32_e32 v25, 0x80000000, v25
	v_lshl_add_u32 v17, v17, 23, v3
	v_or3_b32 v50, v25, v17, v24
.LBB2_1796:                             ;   in Loop: Header=BB2_1545 Depth=2
	s_or_b64 exec, exec, s[34:35]
.LBB2_1797:                             ;   in Loop: Header=BB2_1545 Depth=2
	s_or_b64 exec, exec, s[30:31]
.LBB2_1798:                             ;   in Loop: Header=BB2_1545 Depth=2
	s_or_b64 exec, exec, s[94:95]
	v_max_f32_e32 v17, v50, v50
	v_max_f32_e32 v24, v36, v36
	;; [unrolled: 1-line block ×3, first 2 shown]
	s_mov_b64 s[94:95], 0
.LBB2_1799:                             ;   in Loop: Header=BB2_1545 Depth=2
	s_and_b64 vcc, exec, s[94:95]
	s_cbranch_vccz .LBB2_1813
; %bb.1800:                             ;   in Loop: Header=BB2_1545 Depth=2
	v_mov_b32_e32 v36, 0
	v_mov_b32_e32 v17, 0
	s_and_saveexec_b64 s[94:95], s[22:23]
	s_cbranch_execz .LBB2_1806
; %bb.1801:                             ;   in Loop: Header=BB2_1545 Depth=2
	v_cmp_ne_u16_e32 vcc, s55, v16
	v_bfrev_b32_e32 v17, 1
	s_and_saveexec_b64 s[22:23], vcc
	s_cbranch_execz .LBB2_1805
; %bb.1802:                             ;   in Loop: Header=BB2_1545 Depth=2
	v_and_b32_e32 v50, 0x7f, v19
	v_cmp_ne_u32_e32 vcc, s53, v50
	v_mov_b32_e32 v17, 0x7f800001
	s_and_saveexec_b64 s[30:31], vcc
	s_cbranch_execz .LBB2_1804
; %bb.1803:                             ;   in Loop: Header=BB2_1545 Depth=2
	v_and_b32_e32 v24, 7, v16
	v_ffbh_u32_e32 v17, v24
	v_lshrrev_b32_e32 v25, 3, v50
	v_cmp_gt_u32_e32 vcc, 8, v50
	v_min_u32_e32 v50, 32, v17
	v_subrev_u32_e32 v17, 28, v50
	v_lshlrev_b64 v[16:17], v17, v[16:17]
	v_sub_u32_e32 v17, 29, v50
	v_and_b32_e32 v16, 7, v16
	v_cndmask_b32_e32 v17, v25, v17, vcc
	v_cndmask_b32_e32 v16, v24, v16, vcc
	v_lshlrev_b32_e32 v19, 24, v19
	v_lshlrev_b32_e32 v16, 20, v16
	v_and_b32_e32 v19, 0x80000000, v19
	v_lshl_add_u32 v17, v17, 23, v3
	v_or3_b32 v17, v19, v17, v16
.LBB2_1804:                             ;   in Loop: Header=BB2_1545 Depth=2
	s_or_b64 exec, exec, s[30:31]
.LBB2_1805:                             ;   in Loop: Header=BB2_1545 Depth=2
	s_or_b64 exec, exec, s[22:23]
.LBB2_1806:                             ;   in Loop: Header=BB2_1545 Depth=2
	s_or_b64 exec, exec, s[94:95]
	v_and_b32_e32 v16, 0xff, v18
	v_cmp_ne_u16_e32 vcc, 0, v16
	s_and_saveexec_b64 s[22:23], vcc
	s_cbranch_execz .LBB2_1812
; %bb.1807:                             ;   in Loop: Header=BB2_1545 Depth=2
	v_cmp_ne_u16_e32 vcc, s55, v16
	v_bfrev_b32_e32 v36, 1
	s_and_saveexec_b64 s[94:95], vcc
	s_cbranch_execz .LBB2_1811
; %bb.1808:                             ;   in Loop: Header=BB2_1545 Depth=2
	v_and_b32_e32 v19, 0x7f, v18
	v_cmp_ne_u32_e32 vcc, s53, v19
	v_mov_b32_e32 v36, 0x7f800001
	s_and_saveexec_b64 s[30:31], vcc
	s_cbranch_execz .LBB2_1810
; %bb.1809:                             ;   in Loop: Header=BB2_1545 Depth=2
	v_and_b32_e32 v36, 7, v16
	v_lshrrev_b32_e32 v50, 3, v19
	v_cmp_gt_u32_e32 vcc, 8, v19
	v_ffbh_u32_e32 v19, v36
	v_min_u32_e32 v19, 32, v19
	v_subrev_u32_e32 v24, 28, v19
	v_lshlrev_b64 v[24:25], v24, v[16:17]
	v_sub_u32_e32 v16, 29, v19
	v_and_b32_e32 v19, 7, v24
	v_cndmask_b32_e32 v16, v50, v16, vcc
	v_cndmask_b32_e32 v19, v36, v19, vcc
	v_lshlrev_b32_e32 v18, 24, v18
	v_lshlrev_b32_e32 v19, 20, v19
	v_and_b32_e32 v18, 0x80000000, v18
	v_lshl_add_u32 v16, v16, 23, v3
	v_or3_b32 v36, v18, v16, v19
.LBB2_1810:                             ;   in Loop: Header=BB2_1545 Depth=2
	s_or_b64 exec, exec, s[30:31]
.LBB2_1811:                             ;   in Loop: Header=BB2_1545 Depth=2
	s_or_b64 exec, exec, s[94:95]
.LBB2_1812:                             ;   in Loop: Header=BB2_1545 Depth=2
	s_or_b64 exec, exec, s[22:23]
	v_max_f32_e32 v16, v36, v36
	v_max_f32_e32 v17, v17, v17
	v_min_f32_e32 v17, v17, v16
.LBB2_1813:                             ;   in Loop: Header=BB2_1545 Depth=2
	v_and_b32_e32 v36, 0x7f800000, v17
	v_cmp_ne_u64_e32 vcc, s[72:73], v[36:37]
                                        ; implicit-def: $vgpr18
	s_and_saveexec_b64 s[22:23], vcc
	s_xor_b64 s[94:95], exec, s[22:23]
	s_cbranch_execz .LBB2_1831
; %bb.1814:                             ;   in Loop: Header=BB2_1545 Depth=2
	v_and_b32_e32 v36, 0x7fffffff, v17
	v_cmp_gt_u64_e32 vcc, s[74:75], v[36:37]
	v_and_b32_sdwa v19, v17, s55 dst_sel:DWORD dst_unused:UNUSED_PAD src0_sel:BYTE_3 src1_sel:DWORD
                                        ; implicit-def: $vgpr18
	s_and_saveexec_b64 s[22:23], vcc
	s_xor_b64 s[30:31], exec, s[22:23]
	s_cbranch_execz .LBB2_1828
; %bb.1815:                             ;   in Loop: Header=BB2_1545 Depth=2
	v_cmp_ne_u32_e32 vcc, 0, v17
	v_mov_b32_e32 v18, 0
	s_and_saveexec_b64 s[34:35], vcc
	s_cbranch_execz .LBB2_1827
; %bb.1816:                             ;   in Loop: Header=BB2_1545 Depth=2
	v_bfe_u32 v18, v17, 23, 8
	v_and_b32_e32 v16, 0x7fffff, v17
	v_cmp_gt_u32_e64 s[22:23], s64, v18
	v_sub_u32_e32 v17, 0x79, v18
	v_cmp_eq_u32_e32 vcc, 0, v18
	v_cndmask_b32_e64 v17, 0, v17, s[22:23]
	v_or_b32_e32 v24, 0x800000, v16
	v_cndmask_b32_e32 v41, v17, v2, vcc
	v_cndmask_b32_e32 v36, v24, v16, vcc
	v_add_u32_e32 v16, 20, v41
	v_lshlrev_b64 v[16:17], v16, -1
	v_add_u32_e32 v24, 19, v41
	v_lshlrev_b64 v[24:25], v24, 1
	v_bfi_b32 v17, v17, 0, 0
	v_bfi_b32 v16, v16, 0, v36
	v_cmp_eq_u64_e64 s[22:23], v[16:17], v[24:25]
	v_lshrrev_b64 v[16:17], v41, v[36:37]
	v_mov_b32_e32 v51, v17
	v_mov_b32_e32 v50, v16
	s_and_saveexec_b64 s[36:37], s[22:23]
; %bb.1817:                             ;   in Loop: Header=BB2_1545 Depth=2
	v_bfe_u32 v17, v16, 20, 1
	v_add_co_u32_e64 v17, s[22:23], v16, v17
	v_add_co_u32_e64 v50, s[22:23], -1, v17
; %bb.1818:                             ;   in Loop: Header=BB2_1545 Depth=2
	s_or_b64 exec, exec, s[36:37]
	v_add_u32_e32 v17, 0xffffff81, v18
	v_cndmask_b32_e32 v17, v17, v20, vcc
	v_lshrrev_b32_e32 v18, 23, v16
	v_add3_u32 v51, v41, v17, v18
	v_add_u32_e32 v18, 6, v51
	v_and_b32_e32 v17, 0xfffff, v50
	v_add_u32_e32 v36, v17, v16
	v_cmp_ne_u32_e32 vcc, 0, v18
                                        ; implicit-def: $vgpr16_vgpr17
                                        ; implicit-def: $vgpr50
	s_and_saveexec_b64 s[22:23], vcc
	s_xor_b64 s[22:23], exec, s[22:23]
; %bb.1819:                             ;   in Loop: Header=BB2_1545 Depth=2
	v_cmp_lt_u64_e32 vcc, s[76:77], v[36:37]
	v_add_u32_e32 v16, 7, v51
	v_cndmask_b32_e32 v50, v18, v16, vcc
	v_cndmask_b32_e64 v16, 0, 1, vcc
	v_lshrrev_b64 v[16:17], v16, v[36:37]
; %bb.1820:                             ;   in Loop: Header=BB2_1545 Depth=2
	s_andn2_saveexec_b64 s[22:23], s[22:23]
; %bb.1821:                             ;   in Loop: Header=BB2_1545 Depth=2
	v_mov_b32_e32 v16, v36
	v_bfe_u32 v50, v36, 23, 1
	v_mov_b32_e32 v17, v37
; %bb.1822:                             ;   in Loop: Header=BB2_1545 Depth=2
	s_or_b64 exec, exec, s[22:23]
	v_lshrrev_b64 v[16:17], 20, v[16:17]
	v_cmp_gt_i32_e32 vcc, 16, v50
	v_cndmask_b32_e32 v17, 0, v17, vcc
	v_cndmask_b32_e32 v16, 7, v16, vcc
	v_cmp_ne_u64_e32 vcc, 0, v[16:17]
	v_cmp_ne_u32_e64 s[22:23], 0, v50
	s_or_b64 s[22:23], s[22:23], vcc
                                        ; implicit-def: $vgpr18
	s_and_saveexec_b64 vcc, s[22:23]
	s_xor_b64 s[22:23], exec, vcc
; %bb.1823:                             ;   in Loop: Header=BB2_1545 Depth=2
	v_min_i32_e32 v17, 15, v50
	v_lshl_or_b32 v17, v17, 3, v19
	v_and_or_b32 v18, v16, 7, v17
                                        ; implicit-def: $vgpr19
; %bb.1824:                             ;   in Loop: Header=BB2_1545 Depth=2
	s_andn2_saveexec_b64 s[22:23], s[22:23]
; %bb.1825:                             ;   in Loop: Header=BB2_1545 Depth=2
	v_mov_b32_e32 v18, v19
; %bb.1826:                             ;   in Loop: Header=BB2_1545 Depth=2
	s_or_b64 exec, exec, s[22:23]
.LBB2_1827:                             ;   in Loop: Header=BB2_1545 Depth=2
	s_or_b64 exec, exec, s[34:35]
                                        ; implicit-def: $vgpr19
.LBB2_1828:                             ;   in Loop: Header=BB2_1545 Depth=2
	s_andn2_saveexec_b64 s[22:23], s[30:31]
; %bb.1829:                             ;   in Loop: Header=BB2_1545 Depth=2
	v_or_b32_e32 v18, 0x7e, v19
; %bb.1830:                             ;   in Loop: Header=BB2_1545 Depth=2
	s_or_b64 exec, exec, s[22:23]
                                        ; implicit-def: $vgpr17
.LBB2_1831:                             ;   in Loop: Header=BB2_1545 Depth=2
	s_andn2_saveexec_b64 s[22:23], s[94:95]
; %bb.1832:                             ;   in Loop: Header=BB2_1545 Depth=2
	v_or_b32_sdwa v18, v17, s53 dst_sel:DWORD dst_unused:UNUSED_PAD src0_sel:BYTE_3 src1_sel:DWORD
; %bb.1833:                             ;   in Loop: Header=BB2_1545 Depth=2
	s_or_b64 exec, exec, s[22:23]
	v_and_b32_e32 v16, 0xff, v53
	v_cmp_ne_u16_e64 s[22:23], 0, v16
	s_and_b64 vcc, exec, s[20:21]
	s_mov_b64 s[94:95], -1
                                        ; implicit-def: $vgpr17
	s_cbranch_vccnz .LBB2_1847
; %bb.1834:                             ;   in Loop: Header=BB2_1545 Depth=2
	v_mov_b32_e32 v36, 0
	v_mov_b32_e32 v19, 0
	s_and_saveexec_b64 s[94:95], s[22:23]
	s_cbranch_execz .LBB2_1840
; %bb.1835:                             ;   in Loop: Header=BB2_1545 Depth=2
	v_cmp_ne_u16_e32 vcc, s55, v16
	v_bfrev_b32_e32 v19, 1
	s_and_saveexec_b64 s[30:31], vcc
	s_cbranch_execz .LBB2_1839
; %bb.1836:                             ;   in Loop: Header=BB2_1545 Depth=2
	v_and_b32_e32 v17, 0x7f, v53
	v_cmp_ne_u32_e32 vcc, s53, v17
	v_mov_b32_e32 v19, 0x7f800001
	s_and_saveexec_b64 s[34:35], vcc
	s_cbranch_execz .LBB2_1838
; %bb.1837:                             ;   in Loop: Header=BB2_1545 Depth=2
	v_and_b32_e32 v19, 7, v16
	v_lshrrev_b32_e32 v50, 3, v17
	v_cmp_gt_u32_e32 vcc, 8, v17
	v_ffbh_u32_e32 v17, v19
	v_min_u32_e32 v17, 32, v17
	v_subrev_u32_e32 v24, 28, v17
	v_lshlrev_b64 v[24:25], v24, v[16:17]
	v_sub_u32_e32 v17, 29, v17
	v_and_b32_e32 v24, 7, v24
	v_cndmask_b32_e32 v17, v50, v17, vcc
	v_cndmask_b32_e32 v19, v19, v24, vcc
	v_lshlrev_b32_e32 v24, 24, v53
	v_lshlrev_b32_e32 v19, 20, v19
	v_and_b32_e32 v24, 0x80000000, v24
	v_lshl_add_u32 v17, v17, 23, v3
	v_or3_b32 v19, v24, v17, v19
.LBB2_1838:                             ;   in Loop: Header=BB2_1545 Depth=2
	s_or_b64 exec, exec, s[34:35]
.LBB2_1839:                             ;   in Loop: Header=BB2_1545 Depth=2
	s_or_b64 exec, exec, s[30:31]
.LBB2_1840:                             ;   in Loop: Header=BB2_1545 Depth=2
	s_or_b64 exec, exec, s[94:95]
	v_and_b32_e32 v17, 0xff, v52
	v_cmp_ne_u16_e32 vcc, 0, v17
	s_and_saveexec_b64 s[94:95], vcc
	s_cbranch_execz .LBB2_1846
; %bb.1841:                             ;   in Loop: Header=BB2_1545 Depth=2
	v_cmp_ne_u16_e32 vcc, s55, v17
	v_bfrev_b32_e32 v36, 1
	s_and_saveexec_b64 s[30:31], vcc
	s_cbranch_execz .LBB2_1845
; %bb.1842:                             ;   in Loop: Header=BB2_1545 Depth=2
	v_and_b32_e32 v50, 0x7f, v52
	v_cmp_ne_u32_e32 vcc, s53, v50
	v_mov_b32_e32 v36, 0x7f800001
	s_and_saveexec_b64 s[34:35], vcc
	s_cbranch_execz .LBB2_1844
; %bb.1843:                             ;   in Loop: Header=BB2_1545 Depth=2
	v_and_b32_e32 v36, 7, v17
	v_ffbh_u32_e32 v24, v36
	v_lshrrev_b32_e32 v51, 3, v50
	v_cmp_gt_u32_e32 vcc, 8, v50
	v_min_u32_e32 v50, 32, v24
	v_subrev_u32_e32 v24, 28, v50
	v_lshlrev_b64 v[24:25], v24, v[17:18]
	v_sub_u32_e32 v17, 29, v50
	v_and_b32_e32 v24, 7, v24
	v_cndmask_b32_e32 v17, v51, v17, vcc
	v_cndmask_b32_e32 v24, v36, v24, vcc
	v_lshlrev_b32_e32 v25, 24, v52
	v_lshlrev_b32_e32 v24, 20, v24
	v_and_b32_e32 v25, 0x80000000, v25
	v_lshl_add_u32 v17, v17, 23, v3
	v_or3_b32 v36, v25, v17, v24
.LBB2_1844:                             ;   in Loop: Header=BB2_1545 Depth=2
	s_or_b64 exec, exec, s[34:35]
.LBB2_1845:                             ;   in Loop: Header=BB2_1545 Depth=2
	s_or_b64 exec, exec, s[30:31]
.LBB2_1846:                             ;   in Loop: Header=BB2_1545 Depth=2
	s_or_b64 exec, exec, s[94:95]
	v_max_f32_e32 v17, v36, v36
	v_max_f32_e32 v19, v19, v19
	;; [unrolled: 1-line block ×3, first 2 shown]
	s_mov_b64 s[94:95], 0
.LBB2_1847:                             ;   in Loop: Header=BB2_1545 Depth=2
	s_and_b64 vcc, exec, s[94:95]
	s_cbranch_vccz .LBB2_1861
; %bb.1848:                             ;   in Loop: Header=BB2_1545 Depth=2
	v_mov_b32_e32 v19, 0
	v_mov_b32_e32 v17, 0
	s_and_saveexec_b64 s[94:95], s[22:23]
	s_cbranch_execz .LBB2_1854
; %bb.1849:                             ;   in Loop: Header=BB2_1545 Depth=2
	v_cmp_ne_u16_e32 vcc, s55, v16
	v_bfrev_b32_e32 v17, 1
	s_and_saveexec_b64 s[22:23], vcc
	s_cbranch_execz .LBB2_1853
; %bb.1850:                             ;   in Loop: Header=BB2_1545 Depth=2
	v_and_b32_e32 v36, 0x7f, v53
	v_cmp_ne_u32_e32 vcc, s53, v36
	v_mov_b32_e32 v17, 0x7f800001
	s_and_saveexec_b64 s[30:31], vcc
	s_cbranch_execz .LBB2_1852
; %bb.1851:                             ;   in Loop: Header=BB2_1545 Depth=2
	v_and_b32_e32 v24, 7, v16
	v_ffbh_u32_e32 v17, v24
	v_lshrrev_b32_e32 v25, 3, v36
	v_cmp_gt_u32_e32 vcc, 8, v36
	v_min_u32_e32 v36, 32, v17
	v_subrev_u32_e32 v17, 28, v36
	v_lshlrev_b64 v[16:17], v17, v[16:17]
	v_sub_u32_e32 v17, 29, v36
	v_and_b32_e32 v16, 7, v16
	v_cndmask_b32_e32 v17, v25, v17, vcc
	v_cndmask_b32_e32 v16, v24, v16, vcc
	v_lshlrev_b32_e32 v24, 24, v53
	v_lshlrev_b32_e32 v16, 20, v16
	v_and_b32_e32 v24, 0x80000000, v24
	v_lshl_add_u32 v17, v17, 23, v3
	v_or3_b32 v17, v24, v17, v16
.LBB2_1852:                             ;   in Loop: Header=BB2_1545 Depth=2
	s_or_b64 exec, exec, s[30:31]
.LBB2_1853:                             ;   in Loop: Header=BB2_1545 Depth=2
	s_or_b64 exec, exec, s[22:23]
.LBB2_1854:                             ;   in Loop: Header=BB2_1545 Depth=2
	s_or_b64 exec, exec, s[94:95]
	v_and_b32_e32 v16, 0xff, v52
	v_cmp_ne_u16_e32 vcc, 0, v16
	s_and_saveexec_b64 s[22:23], vcc
	s_cbranch_execz .LBB2_1860
; %bb.1855:                             ;   in Loop: Header=BB2_1545 Depth=2
	v_cmp_ne_u16_e32 vcc, s55, v16
	v_bfrev_b32_e32 v19, 1
	s_and_saveexec_b64 s[94:95], vcc
	s_cbranch_execz .LBB2_1859
; %bb.1856:                             ;   in Loop: Header=BB2_1545 Depth=2
	v_and_b32_e32 v36, 0x7f, v52
	v_cmp_ne_u32_e32 vcc, s53, v36
	v_mov_b32_e32 v19, 0x7f800001
	s_and_saveexec_b64 s[30:31], vcc
	s_cbranch_execz .LBB2_1858
; %bb.1857:                             ;   in Loop: Header=BB2_1545 Depth=2
	v_and_b32_e32 v19, 7, v16
	v_ffbh_u32_e32 v24, v19
	v_lshrrev_b32_e32 v50, 3, v36
	v_cmp_gt_u32_e32 vcc, 8, v36
	v_min_u32_e32 v36, 32, v24
	v_subrev_u32_e32 v24, 28, v36
	v_lshlrev_b64 v[24:25], v24, v[16:17]
	v_sub_u32_e32 v16, 29, v36
	v_and_b32_e32 v24, 7, v24
	v_cndmask_b32_e32 v16, v50, v16, vcc
	v_cndmask_b32_e32 v19, v19, v24, vcc
	v_lshlrev_b32_e32 v24, 24, v52
	v_lshlrev_b32_e32 v19, 20, v19
	v_and_b32_e32 v24, 0x80000000, v24
	v_lshl_add_u32 v16, v16, 23, v3
	v_or3_b32 v19, v24, v16, v19
.LBB2_1858:                             ;   in Loop: Header=BB2_1545 Depth=2
	s_or_b64 exec, exec, s[30:31]
.LBB2_1859:                             ;   in Loop: Header=BB2_1545 Depth=2
	s_or_b64 exec, exec, s[94:95]
.LBB2_1860:                             ;   in Loop: Header=BB2_1545 Depth=2
	s_or_b64 exec, exec, s[22:23]
	v_max_f32_e32 v16, v19, v19
	v_max_f32_e32 v17, v17, v17
	v_min_f32_e32 v17, v17, v16
.LBB2_1861:                             ;   in Loop: Header=BB2_1545 Depth=2
	v_and_b32_e32 v36, 0x7f800000, v17
	v_cmp_ne_u64_e32 vcc, s[72:73], v[36:37]
                                        ; implicit-def: $vgpr19
	s_and_saveexec_b64 s[22:23], vcc
	s_xor_b64 s[94:95], exec, s[22:23]
	s_cbranch_execz .LBB2_1879
; %bb.1862:                             ;   in Loop: Header=BB2_1545 Depth=2
	v_and_b32_e32 v36, 0x7fffffff, v17
	v_cmp_gt_u64_e32 vcc, s[74:75], v[36:37]
	v_and_b32_sdwa v52, v17, s55 dst_sel:DWORD dst_unused:UNUSED_PAD src0_sel:BYTE_3 src1_sel:DWORD
                                        ; implicit-def: $vgpr19
	s_and_saveexec_b64 s[22:23], vcc
	s_xor_b64 s[30:31], exec, s[22:23]
	s_cbranch_execz .LBB2_1876
; %bb.1863:                             ;   in Loop: Header=BB2_1545 Depth=2
	v_cmp_ne_u32_e32 vcc, 0, v17
	v_mov_b32_e32 v19, 0
	s_and_saveexec_b64 s[34:35], vcc
	s_cbranch_execz .LBB2_1875
; %bb.1864:                             ;   in Loop: Header=BB2_1545 Depth=2
	v_bfe_u32 v19, v17, 23, 8
	v_and_b32_e32 v16, 0x7fffff, v17
	v_cmp_gt_u32_e64 s[22:23], s64, v19
	v_sub_u32_e32 v17, 0x79, v19
	v_cmp_eq_u32_e32 vcc, 0, v19
	v_cndmask_b32_e64 v17, 0, v17, s[22:23]
	v_or_b32_e32 v24, 0x800000, v16
	v_cndmask_b32_e32 v53, v17, v2, vcc
	v_cndmask_b32_e32 v36, v24, v16, vcc
	v_add_u32_e32 v16, 20, v53
	v_lshlrev_b64 v[16:17], v16, -1
	v_add_u32_e32 v24, 19, v53
	v_lshlrev_b64 v[24:25], v24, 1
	v_bfi_b32 v17, v17, 0, 0
	v_bfi_b32 v16, v16, 0, v36
	v_cmp_eq_u64_e64 s[22:23], v[16:17], v[24:25]
	v_lshrrev_b64 v[16:17], v53, v[36:37]
	v_mov_b32_e32 v51, v17
	v_mov_b32_e32 v50, v16
	s_and_saveexec_b64 s[36:37], s[22:23]
; %bb.1865:                             ;   in Loop: Header=BB2_1545 Depth=2
	v_bfe_u32 v17, v16, 20, 1
	v_add_co_u32_e64 v17, s[22:23], v16, v17
	v_add_co_u32_e64 v50, s[22:23], -1, v17
; %bb.1866:                             ;   in Loop: Header=BB2_1545 Depth=2
	s_or_b64 exec, exec, s[36:37]
	v_add_u32_e32 v17, 0xffffff81, v19
	v_cndmask_b32_e32 v17, v17, v20, vcc
	v_lshrrev_b32_e32 v19, 23, v16
	v_add3_u32 v51, v53, v17, v19
	v_add_u32_e32 v19, 6, v51
	v_and_b32_e32 v17, 0xfffff, v50
	v_add_u32_e32 v36, v17, v16
	v_cmp_ne_u32_e32 vcc, 0, v19
                                        ; implicit-def: $vgpr16_vgpr17
                                        ; implicit-def: $vgpr50
	s_and_saveexec_b64 s[22:23], vcc
	s_xor_b64 s[22:23], exec, s[22:23]
; %bb.1867:                             ;   in Loop: Header=BB2_1545 Depth=2
	v_cmp_lt_u64_e32 vcc, s[76:77], v[36:37]
	v_add_u32_e32 v16, 7, v51
	v_cndmask_b32_e32 v50, v19, v16, vcc
	v_cndmask_b32_e64 v16, 0, 1, vcc
	v_lshrrev_b64 v[16:17], v16, v[36:37]
; %bb.1868:                             ;   in Loop: Header=BB2_1545 Depth=2
	s_andn2_saveexec_b64 s[22:23], s[22:23]
; %bb.1869:                             ;   in Loop: Header=BB2_1545 Depth=2
	v_mov_b32_e32 v16, v36
	v_bfe_u32 v50, v36, 23, 1
	v_mov_b32_e32 v17, v37
; %bb.1870:                             ;   in Loop: Header=BB2_1545 Depth=2
	s_or_b64 exec, exec, s[22:23]
	v_lshrrev_b64 v[16:17], 20, v[16:17]
	v_cmp_gt_i32_e32 vcc, 16, v50
	v_cndmask_b32_e32 v17, 0, v17, vcc
	v_cndmask_b32_e32 v16, 7, v16, vcc
	v_cmp_ne_u64_e32 vcc, 0, v[16:17]
	v_cmp_ne_u32_e64 s[22:23], 0, v50
	s_or_b64 s[22:23], s[22:23], vcc
                                        ; implicit-def: $vgpr19
	s_and_saveexec_b64 vcc, s[22:23]
	s_xor_b64 s[22:23], exec, vcc
; %bb.1871:                             ;   in Loop: Header=BB2_1545 Depth=2
	v_min_i32_e32 v17, 15, v50
	v_lshl_or_b32 v17, v17, 3, v52
	v_and_or_b32 v19, v16, 7, v17
                                        ; implicit-def: $vgpr52
; %bb.1872:                             ;   in Loop: Header=BB2_1545 Depth=2
	s_andn2_saveexec_b64 s[22:23], s[22:23]
; %bb.1873:                             ;   in Loop: Header=BB2_1545 Depth=2
	v_mov_b32_e32 v19, v52
; %bb.1874:                             ;   in Loop: Header=BB2_1545 Depth=2
	s_or_b64 exec, exec, s[22:23]
.LBB2_1875:                             ;   in Loop: Header=BB2_1545 Depth=2
	s_or_b64 exec, exec, s[34:35]
                                        ; implicit-def: $vgpr52
.LBB2_1876:                             ;   in Loop: Header=BB2_1545 Depth=2
	s_andn2_saveexec_b64 s[22:23], s[30:31]
; %bb.1877:                             ;   in Loop: Header=BB2_1545 Depth=2
	v_or_b32_e32 v19, 0x7e, v52
; %bb.1878:                             ;   in Loop: Header=BB2_1545 Depth=2
	s_or_b64 exec, exec, s[22:23]
                                        ; implicit-def: $vgpr17
.LBB2_1879:                             ;   in Loop: Header=BB2_1545 Depth=2
	s_andn2_saveexec_b64 s[22:23], s[94:95]
; %bb.1880:                             ;   in Loop: Header=BB2_1545 Depth=2
	v_or_b32_sdwa v19, v17, s53 dst_sel:DWORD dst_unused:UNUSED_PAD src0_sel:BYTE_3 src1_sel:DWORD
; %bb.1881:                             ;   in Loop: Header=BB2_1545 Depth=2
	s_or_b64 exec, exec, s[22:23]
	v_and_b32_e32 v16, 0xff, v34
	v_cmp_ne_u16_e64 s[22:23], 0, v16
	s_and_b64 vcc, exec, s[20:21]
	s_mov_b64 s[20:21], -1
                                        ; implicit-def: $vgpr50
	s_cbranch_vccnz .LBB2_1895
; %bb.1882:                             ;   in Loop: Header=BB2_1545 Depth=2
	v_mov_b32_e32 v50, 0
	v_mov_b32_e32 v36, 0
	s_and_saveexec_b64 s[20:21], s[22:23]
	s_cbranch_execz .LBB2_1888
; %bb.1883:                             ;   in Loop: Header=BB2_1545 Depth=2
	v_cmp_ne_u16_e32 vcc, s55, v16
	v_bfrev_b32_e32 v36, 1
	s_and_saveexec_b64 s[94:95], vcc
	s_cbranch_execz .LBB2_1887
; %bb.1884:                             ;   in Loop: Header=BB2_1545 Depth=2
	v_and_b32_e32 v17, 0x7f, v34
	v_cmp_ne_u32_e32 vcc, s53, v17
	v_mov_b32_e32 v36, 0x7f800001
	s_and_saveexec_b64 s[30:31], vcc
	s_cbranch_execz .LBB2_1886
; %bb.1885:                             ;   in Loop: Header=BB2_1545 Depth=2
	v_and_b32_e32 v36, 7, v16
	v_lshrrev_b32_e32 v51, 3, v17
	v_cmp_gt_u32_e32 vcc, 8, v17
	v_ffbh_u32_e32 v17, v36
	v_min_u32_e32 v17, 32, v17
	v_subrev_u32_e32 v24, 28, v17
	v_lshlrev_b64 v[24:25], v24, v[16:17]
	v_sub_u32_e32 v17, 29, v17
	v_and_b32_e32 v24, 7, v24
	v_cndmask_b32_e32 v17, v51, v17, vcc
	v_cndmask_b32_e32 v24, v36, v24, vcc
	v_lshlrev_b32_e32 v25, 24, v34
	v_lshlrev_b32_e32 v24, 20, v24
	v_and_b32_e32 v25, 0x80000000, v25
	v_lshl_add_u32 v17, v17, 23, v3
	v_or3_b32 v36, v25, v17, v24
.LBB2_1886:                             ;   in Loop: Header=BB2_1545 Depth=2
	s_or_b64 exec, exec, s[30:31]
.LBB2_1887:                             ;   in Loop: Header=BB2_1545 Depth=2
	s_or_b64 exec, exec, s[94:95]
.LBB2_1888:                             ;   in Loop: Header=BB2_1545 Depth=2
	s_or_b64 exec, exec, s[20:21]
	v_and_b32_e32 v17, 0xff, v31
	v_cmp_ne_u16_e32 vcc, 0, v17
	s_and_saveexec_b64 s[20:21], vcc
	s_cbranch_execz .LBB2_1894
; %bb.1889:                             ;   in Loop: Header=BB2_1545 Depth=2
	v_cmp_ne_u16_e32 vcc, s55, v17
	v_bfrev_b32_e32 v50, 1
	s_and_saveexec_b64 s[94:95], vcc
	s_cbranch_execz .LBB2_1893
; %bb.1890:                             ;   in Loop: Header=BB2_1545 Depth=2
	v_and_b32_e32 v51, 0x7f, v31
	v_cmp_ne_u32_e32 vcc, s53, v51
	v_mov_b32_e32 v50, 0x7f800001
	s_and_saveexec_b64 s[30:31], vcc
	s_cbranch_execz .LBB2_1892
; %bb.1891:                             ;   in Loop: Header=BB2_1545 Depth=2
	v_and_b32_e32 v50, 7, v17
	v_ffbh_u32_e32 v24, v50
	v_lshrrev_b32_e32 v52, 3, v51
	v_cmp_gt_u32_e32 vcc, 8, v51
	v_min_u32_e32 v51, 32, v24
	v_subrev_u32_e32 v24, 28, v51
	v_lshlrev_b64 v[24:25], v24, v[17:18]
	v_sub_u32_e32 v17, 29, v51
	v_and_b32_e32 v24, 7, v24
	v_cndmask_b32_e32 v17, v52, v17, vcc
	v_cndmask_b32_e32 v24, v50, v24, vcc
	v_lshlrev_b32_e32 v25, 24, v31
	v_lshlrev_b32_e32 v24, 20, v24
	v_and_b32_e32 v25, 0x80000000, v25
	v_lshl_add_u32 v17, v17, 23, v3
	v_or3_b32 v50, v25, v17, v24
.LBB2_1892:                             ;   in Loop: Header=BB2_1545 Depth=2
	s_or_b64 exec, exec, s[30:31]
.LBB2_1893:                             ;   in Loop: Header=BB2_1545 Depth=2
	s_or_b64 exec, exec, s[94:95]
.LBB2_1894:                             ;   in Loop: Header=BB2_1545 Depth=2
	s_or_b64 exec, exec, s[20:21]
	v_max_f32_e32 v17, v50, v50
	v_max_f32_e32 v24, v36, v36
	;; [unrolled: 1-line block ×3, first 2 shown]
	s_mov_b64 s[20:21], 0
.LBB2_1895:                             ;   in Loop: Header=BB2_1545 Depth=2
	s_and_b64 vcc, exec, s[20:21]
	s_cbranch_vccz .LBB2_1909
; %bb.1896:                             ;   in Loop: Header=BB2_1545 Depth=2
	v_mov_b32_e32 v36, 0
	v_mov_b32_e32 v17, 0
	s_and_saveexec_b64 s[20:21], s[22:23]
	s_cbranch_execz .LBB2_1902
; %bb.1897:                             ;   in Loop: Header=BB2_1545 Depth=2
	v_cmp_ne_u16_e32 vcc, s55, v16
	v_bfrev_b32_e32 v17, 1
	s_and_saveexec_b64 s[22:23], vcc
	s_cbranch_execz .LBB2_1901
; %bb.1898:                             ;   in Loop: Header=BB2_1545 Depth=2
	v_and_b32_e32 v50, 0x7f, v34
	v_cmp_ne_u32_e32 vcc, s53, v50
	v_mov_b32_e32 v17, 0x7f800001
	s_and_saveexec_b64 s[94:95], vcc
	s_cbranch_execz .LBB2_1900
; %bb.1899:                             ;   in Loop: Header=BB2_1545 Depth=2
	v_and_b32_e32 v24, 7, v16
	v_ffbh_u32_e32 v17, v24
	v_lshrrev_b32_e32 v25, 3, v50
	v_cmp_gt_u32_e32 vcc, 8, v50
	v_min_u32_e32 v50, 32, v17
	v_subrev_u32_e32 v17, 28, v50
	v_lshlrev_b64 v[16:17], v17, v[16:17]
	v_sub_u32_e32 v17, 29, v50
	v_and_b32_e32 v16, 7, v16
	v_cndmask_b32_e32 v17, v25, v17, vcc
	v_cndmask_b32_e32 v16, v24, v16, vcc
	v_lshlrev_b32_e32 v24, 24, v34
	v_lshlrev_b32_e32 v16, 20, v16
	v_and_b32_e32 v24, 0x80000000, v24
	v_lshl_add_u32 v17, v17, 23, v3
	v_or3_b32 v17, v24, v17, v16
.LBB2_1900:                             ;   in Loop: Header=BB2_1545 Depth=2
	s_or_b64 exec, exec, s[94:95]
.LBB2_1901:                             ;   in Loop: Header=BB2_1545 Depth=2
	s_or_b64 exec, exec, s[22:23]
.LBB2_1902:                             ;   in Loop: Header=BB2_1545 Depth=2
	s_or_b64 exec, exec, s[20:21]
	v_and_b32_e32 v16, 0xff, v31
	v_cmp_ne_u16_e32 vcc, 0, v16
	s_and_saveexec_b64 s[20:21], vcc
	s_cbranch_execz .LBB2_1908
; %bb.1903:                             ;   in Loop: Header=BB2_1545 Depth=2
	v_cmp_ne_u16_e32 vcc, s55, v16
	v_bfrev_b32_e32 v36, 1
	s_and_saveexec_b64 s[22:23], vcc
	s_cbranch_execz .LBB2_1907
; %bb.1904:                             ;   in Loop: Header=BB2_1545 Depth=2
	v_and_b32_e32 v34, 0x7f, v31
	v_cmp_ne_u32_e32 vcc, s53, v34
	v_mov_b32_e32 v36, 0x7f800001
	s_and_saveexec_b64 s[94:95], vcc
	s_cbranch_execz .LBB2_1906
; %bb.1905:                             ;   in Loop: Header=BB2_1545 Depth=2
	v_and_b32_e32 v36, 7, v16
	v_ffbh_u32_e32 v24, v36
	v_lshrrev_b32_e32 v50, 3, v34
	v_cmp_gt_u32_e32 vcc, 8, v34
	v_min_u32_e32 v34, 32, v24
	v_subrev_u32_e32 v24, 28, v34
	v_lshlrev_b64 v[24:25], v24, v[16:17]
	v_sub_u32_e32 v16, 29, v34
	v_and_b32_e32 v24, 7, v24
	v_cndmask_b32_e32 v16, v50, v16, vcc
	v_cndmask_b32_e32 v24, v36, v24, vcc
	v_lshlrev_b32_e32 v25, 24, v31
	v_lshlrev_b32_e32 v24, 20, v24
	v_and_b32_e32 v25, 0x80000000, v25
	v_lshl_add_u32 v16, v16, 23, v3
	v_or3_b32 v36, v25, v16, v24
.LBB2_1906:                             ;   in Loop: Header=BB2_1545 Depth=2
	s_or_b64 exec, exec, s[94:95]
.LBB2_1907:                             ;   in Loop: Header=BB2_1545 Depth=2
	s_or_b64 exec, exec, s[22:23]
.LBB2_1908:                             ;   in Loop: Header=BB2_1545 Depth=2
	s_or_b64 exec, exec, s[20:21]
	v_max_f32_e32 v16, v36, v36
	v_max_f32_e32 v17, v17, v17
	v_min_f32_e32 v50, v17, v16
.LBB2_1909:                             ;   in Loop: Header=BB2_1545 Depth=2
	v_and_b32_e32 v36, 0x7f800000, v50
	v_cmp_ne_u64_e32 vcc, s[72:73], v[36:37]
                                        ; implicit-def: $vgpr17
	s_and_saveexec_b64 s[20:21], vcc
	s_xor_b64 s[22:23], exec, s[20:21]
	s_cbranch_execz .LBB2_1927
; %bb.1910:                             ;   in Loop: Header=BB2_1545 Depth=2
	v_and_b32_e32 v36, 0x7fffffff, v50
	v_cmp_gt_u64_e32 vcc, s[74:75], v[36:37]
	v_and_b32_sdwa v31, v50, s55 dst_sel:DWORD dst_unused:UNUSED_PAD src0_sel:BYTE_3 src1_sel:DWORD
                                        ; implicit-def: $vgpr17
	s_and_saveexec_b64 s[20:21], vcc
	s_xor_b64 s[94:95], exec, s[20:21]
	s_cbranch_execz .LBB2_1924
; %bb.1911:                             ;   in Loop: Header=BB2_1545 Depth=2
	v_cmp_ne_u32_e32 vcc, 0, v50
	v_mov_b32_e32 v17, 0
	s_and_saveexec_b64 s[30:31], vcc
	s_cbranch_execz .LBB2_1923
; %bb.1912:                             ;   in Loop: Header=BB2_1545 Depth=2
	v_bfe_u32 v34, v50, 23, 8
	v_cmp_gt_u32_e64 s[20:21], s64, v34
	v_sub_u32_e32 v17, 0x79, v34
	v_and_b32_e32 v16, 0x7fffff, v50
	v_cmp_eq_u32_e32 vcc, 0, v34
	v_cndmask_b32_e64 v17, 0, v17, s[20:21]
	v_or_b32_e32 v24, 0x800000, v16
	v_cndmask_b32_e32 v52, v17, v2, vcc
	v_cndmask_b32_e32 v36, v24, v16, vcc
	v_add_u32_e32 v16, 20, v52
	v_lshlrev_b64 v[16:17], v16, -1
	v_add_u32_e32 v24, 19, v52
	v_lshlrev_b64 v[24:25], v24, 1
	v_bfi_b32 v17, v17, 0, 0
	v_bfi_b32 v16, v16, 0, v36
	v_cmp_eq_u64_e64 s[20:21], v[16:17], v[24:25]
	v_lshrrev_b64 v[16:17], v52, v[36:37]
	v_mov_b32_e32 v51, v17
	v_mov_b32_e32 v50, v16
	s_and_saveexec_b64 s[34:35], s[20:21]
; %bb.1913:                             ;   in Loop: Header=BB2_1545 Depth=2
	v_bfe_u32 v17, v16, 20, 1
	v_add_co_u32_e64 v17, s[20:21], v16, v17
	v_add_co_u32_e64 v50, s[20:21], -1, v17
; %bb.1914:                             ;   in Loop: Header=BB2_1545 Depth=2
	s_or_b64 exec, exec, s[34:35]
	v_add_u32_e32 v17, 0xffffff81, v34
	v_cndmask_b32_e32 v17, v17, v20, vcc
	v_lshrrev_b32_e32 v24, 23, v16
	v_add3_u32 v52, v52, v17, v24
	v_add_u32_e32 v51, 6, v52
	v_and_b32_e32 v17, 0xfffff, v50
	v_add_u32_e32 v36, v17, v16
	v_cmp_ne_u32_e32 vcc, 0, v51
                                        ; implicit-def: $vgpr16_vgpr17
                                        ; implicit-def: $vgpr34
	s_and_saveexec_b64 s[20:21], vcc
	s_xor_b64 s[20:21], exec, s[20:21]
; %bb.1915:                             ;   in Loop: Header=BB2_1545 Depth=2
	v_cmp_lt_u64_e32 vcc, s[76:77], v[36:37]
	v_add_u32_e32 v16, 7, v52
	v_cndmask_b32_e32 v34, v51, v16, vcc
	v_cndmask_b32_e64 v16, 0, 1, vcc
	v_lshrrev_b64 v[16:17], v16, v[36:37]
; %bb.1916:                             ;   in Loop: Header=BB2_1545 Depth=2
	s_andn2_saveexec_b64 s[20:21], s[20:21]
; %bb.1917:                             ;   in Loop: Header=BB2_1545 Depth=2
	v_mov_b32_e32 v16, v36
	v_bfe_u32 v34, v36, 23, 1
	v_mov_b32_e32 v17, v37
; %bb.1918:                             ;   in Loop: Header=BB2_1545 Depth=2
	s_or_b64 exec, exec, s[20:21]
	v_lshrrev_b64 v[16:17], 20, v[16:17]
	v_cmp_gt_i32_e32 vcc, 16, v34
	v_cndmask_b32_e32 v17, 0, v17, vcc
	v_cndmask_b32_e32 v16, 7, v16, vcc
	v_cmp_ne_u64_e32 vcc, 0, v[16:17]
	v_cmp_ne_u32_e64 s[20:21], 0, v34
	s_or_b64 s[20:21], s[20:21], vcc
                                        ; implicit-def: $vgpr17
	s_and_saveexec_b64 vcc, s[20:21]
	s_xor_b64 s[20:21], exec, vcc
; %bb.1919:                             ;   in Loop: Header=BB2_1545 Depth=2
	v_min_i32_e32 v17, 15, v34
	v_lshl_or_b32 v17, v17, 3, v31
	v_and_or_b32 v17, v16, 7, v17
                                        ; implicit-def: $vgpr31
; %bb.1920:                             ;   in Loop: Header=BB2_1545 Depth=2
	s_andn2_saveexec_b64 s[20:21], s[20:21]
; %bb.1921:                             ;   in Loop: Header=BB2_1545 Depth=2
	v_mov_b32_e32 v17, v31
; %bb.1922:                             ;   in Loop: Header=BB2_1545 Depth=2
	s_or_b64 exec, exec, s[20:21]
.LBB2_1923:                             ;   in Loop: Header=BB2_1545 Depth=2
	s_or_b64 exec, exec, s[30:31]
                                        ; implicit-def: $vgpr31
.LBB2_1924:                             ;   in Loop: Header=BB2_1545 Depth=2
	s_andn2_saveexec_b64 s[20:21], s[94:95]
; %bb.1925:                             ;   in Loop: Header=BB2_1545 Depth=2
	v_or_b32_e32 v17, 0x7e, v31
; %bb.1926:                             ;   in Loop: Header=BB2_1545 Depth=2
	s_or_b64 exec, exec, s[20:21]
                                        ; implicit-def: $vgpr50
.LBB2_1927:                             ;   in Loop: Header=BB2_1545 Depth=2
	s_andn2_saveexec_b64 s[20:21], s[22:23]
	s_cbranch_execz .LBB2_1544
; %bb.1928:                             ;   in Loop: Header=BB2_1545 Depth=2
	v_or_b32_sdwa v17, v50, s53 dst_sel:DWORD dst_unused:UNUSED_PAD src0_sel:BYTE_3 src1_sel:DWORD
	s_branch .LBB2_1544
.LBB2_1929:                             ;   in Loop: Header=BB2_49 Depth=1
	s_or_b64 exec, exec, s[92:93]
	buffer_load_dword v35, off, s[0:3], s33 offset:104 ; 4-byte Folded Reload
	buffer_load_dword v52, off, s[0:3], s33 offset:108 ; 4-byte Folded Reload
	;; [unrolled: 1-line block ×3, first 2 shown]
	v_mov_b32_e32 v53, 1
	v_mov_b32_e32 v54, 0xc8
	;; [unrolled: 1-line block ×4, first 2 shown]
.LBB2_1930:                             ;   in Loop: Header=BB2_49 Depth=1
	s_or_b64 exec, exec, s[24:25]
	v_and_b32_e32 v10, 0x7ffffe00, v58
	v_cmp_ne_u32_e32 vcc, v58, v10
	s_and_b64 exec, exec, vcc
	s_cbranch_execz .LBB2_1982
; %bb.1931:                             ;   in Loop: Header=BB2_49 Depth=1
	v_lshlrev_b32_e32 v1, 6, v1
	v_sub_u32_e32 v0, v0, v1
	v_lshlrev_b32_e32 v1, 6, v30
	v_sub_u32_e32 v1, v0, v1
	v_and_b32_e32 v0, 0x1ff, v58
	v_sub_u32_e32 v0, v0, v1
	v_cmp_lt_i32_e32 vcc, 0, v0
	s_and_b64 exec, exec, vcc
	s_cbranch_execz .LBB2_1982
; %bb.1932:                             ;   in Loop: Header=BB2_49 Depth=1
	s_trap 2
	v_mov_b32_e32 v15, v12
	ds_read_b128 v[11:14], v0
	v_add3_u32 v1, v10, v15, v1
	ds_read_b64 v[15:16], v0
	v_ashrrev_i32_e32 v17, 31, v1
	s_bitcmp1_b32 s48, 0
	s_waitcnt lgkmcnt(0)
	v_add_co_u32_e32 v10, vcc, v11, v1
	v_addc_co_u32_e32 v11, vcc, v12, v17, vcc
	v_add_co_u32_e32 v12, vcc, v13, v1
	v_addc_co_u32_e32 v13, vcc, v14, v17, vcc
	;; [unrolled: 2-line block ×3, first 2 shown]
	s_mov_b64 s[28:29], 0
	s_cselect_b64 s[92:93], -1, 0
	s_branch .LBB2_1934
.LBB2_1933:                             ;   in Loop: Header=BB2_1934 Depth=2
	s_or_b64 exec, exec, s[20:21]
	v_add_co_u32_e32 v10, vcc, v10, v52
	v_addc_co_u32_e32 v11, vcc, 0, v11, vcc
	v_add_co_u32_e32 v12, vcc, v12, v52
	v_addc_co_u32_e32 v13, vcc, 0, v13, vcc
	v_sub_u32_e32 v0, v0, v52
	v_cmp_gt_i32_e32 vcc, 1, v0
	flat_store_byte v[14:15], v17 glc slc
	s_or_b64 s[28:29], vcc, s[28:29]
	v_add_co_u32_e32 v14, vcc, v14, v52
	v_addc_co_u32_e32 v15, vcc, 0, v15, vcc
	s_andn2_b64 exec, exec, s[28:29]
	s_cbranch_execz .LBB2_1982
.LBB2_1934:                             ;   Parent Loop BB2_49 Depth=1
                                        ; =>  This Inner Loop Header: Depth=2
	flat_load_ubyte v17, v[12:13] glc slc
	flat_load_ubyte v18, v[10:11] glc slc
	s_mov_b64 s[94:95], -1
	s_and_b64 vcc, exec, s[92:93]
                                        ; implicit-def: $vgpr16
	s_waitcnt vmcnt(0) lgkmcnt(0)
	v_cmp_ne_u16_e64 s[22:23], 0, v17
	v_cmp_ne_u16_e64 s[20:21], s55, v17
	v_and_b32_sdwa v1, sext(v17), s54 dst_sel:DWORD dst_unused:UNUSED_PAD src0_sel:BYTE_0 src1_sel:DWORD
	v_cmp_ne_u16_e64 s[24:25], 0, v18
	s_cbranch_vccz .LBB2_1948
; %bb.1935:                             ;   in Loop: Header=BB2_1934 Depth=2
	v_mov_b32_e32 v19, 0
	v_mov_b32_e32 v30, 0
	s_and_saveexec_b64 s[94:95], s[24:25]
	s_cbranch_execz .LBB2_1941
; %bb.1936:                             ;   in Loop: Header=BB2_1934 Depth=2
	v_cmp_ne_u16_e32 vcc, s55, v18
	v_bfrev_b32_e32 v30, 1
	s_and_saveexec_b64 s[30:31], vcc
	s_cbranch_execz .LBB2_1940
; %bb.1937:                             ;   in Loop: Header=BB2_1934 Depth=2
	v_and_b32_e32 v16, 0xffff, v18
	v_and_b32_e32 v31, 0x7f, v16
	v_cmp_ne_u32_e32 vcc, s53, v31
	v_mov_b32_e32 v30, 0x7f800001
	s_and_saveexec_b64 s[34:35], vcc
	s_cbranch_execz .LBB2_1939
; %bb.1938:                             ;   in Loop: Header=BB2_1934 Depth=2
	v_and_b32_e32 v30, 7, v16
	v_ffbh_u32_e32 v24, v30
	v_lshrrev_b32_e32 v34, 3, v31
	v_cmp_gt_u32_e32 vcc, 8, v31
	v_min_u32_e32 v31, 32, v24
	v_subrev_u32_e32 v24, 28, v31
	v_lshlrev_b64 v[24:25], v24, v[16:17]
	v_sub_u32_e32 v16, 29, v31
	v_and_b32_e32 v24, 7, v24
	v_cndmask_b32_e32 v16, v34, v16, vcc
	v_cndmask_b32_e32 v24, v30, v24, vcc
	v_lshlrev_b32_e32 v25, 24, v18
	v_lshlrev_b32_e32 v24, 20, v24
	v_and_b32_e32 v25, 0x80000000, v25
	v_lshl_add_u32 v16, v16, 23, v3
	v_or3_b32 v30, v25, v16, v24
.LBB2_1939:                             ;   in Loop: Header=BB2_1934 Depth=2
	s_or_b64 exec, exec, s[34:35]
.LBB2_1940:                             ;   in Loop: Header=BB2_1934 Depth=2
	s_or_b64 exec, exec, s[30:31]
.LBB2_1941:                             ;   in Loop: Header=BB2_1934 Depth=2
	s_or_b64 exec, exec, s[94:95]
	s_and_saveexec_b64 s[94:95], s[22:23]
	s_cbranch_execz .LBB2_1947
; %bb.1942:                             ;   in Loop: Header=BB2_1934 Depth=2
	v_bfrev_b32_e32 v19, 1
	s_and_saveexec_b64 s[30:31], s[20:21]
	s_cbranch_execz .LBB2_1946
; %bb.1943:                             ;   in Loop: Header=BB2_1934 Depth=2
	v_and_b32_e32 v16, 0xffff, v17
	v_and_b32_e32 v31, 0x7f, v16
	v_cmp_ne_u32_e32 vcc, s53, v31
	v_mov_b32_e32 v19, 0x7f800001
	s_and_saveexec_b64 s[34:35], vcc
	s_cbranch_execz .LBB2_1945
; %bb.1944:                             ;   in Loop: Header=BB2_1934 Depth=2
	v_and_b32_e32 v19, 7, v16
	v_ffbh_u32_e32 v24, v19
	v_lshrrev_b32_e32 v34, 3, v31
	v_cmp_gt_u32_e32 vcc, 8, v31
	v_min_u32_e32 v31, 32, v24
	v_subrev_u32_e32 v24, 28, v31
	v_lshlrev_b64 v[24:25], v24, v[16:17]
	v_sub_u32_e32 v16, 29, v31
	v_and_b32_e32 v24, 7, v24
	v_cndmask_b32_e32 v19, v19, v24, vcc
	v_cndmask_b32_e32 v16, v34, v16, vcc
	v_lshlrev_b32_e32 v19, 20, v19
	v_lshl_or_b32 v16, v16, 23, v19
	v_add_u32_e32 v16, 0x3c000000, v16
	v_or_b32_e32 v19, v16, v1
.LBB2_1945:                             ;   in Loop: Header=BB2_1934 Depth=2
	s_or_b64 exec, exec, s[34:35]
.LBB2_1946:                             ;   in Loop: Header=BB2_1934 Depth=2
	s_or_b64 exec, exec, s[30:31]
.LBB2_1947:                             ;   in Loop: Header=BB2_1934 Depth=2
	s_or_b64 exec, exec, s[94:95]
	v_max_f32_e32 v16, v19, v19
	v_max_f32_e32 v19, v30, v30
	;; [unrolled: 1-line block ×3, first 2 shown]
	s_mov_b64 s[94:95], 0
.LBB2_1948:                             ;   in Loop: Header=BB2_1934 Depth=2
	s_and_b64 vcc, exec, s[94:95]
	s_cbranch_vccz .LBB2_1962
; %bb.1949:                             ;   in Loop: Header=BB2_1934 Depth=2
	v_mov_b32_e32 v19, 0
	v_mov_b32_e32 v30, 0
	s_and_saveexec_b64 s[94:95], s[24:25]
	s_cbranch_execz .LBB2_1955
; %bb.1950:                             ;   in Loop: Header=BB2_1934 Depth=2
	v_cmp_ne_u16_e32 vcc, s55, v18
	v_bfrev_b32_e32 v30, 1
	s_and_saveexec_b64 s[24:25], vcc
	s_cbranch_execz .LBB2_1954
; %bb.1951:                             ;   in Loop: Header=BB2_1934 Depth=2
	v_and_b32_e32 v16, 0xffff, v18
	v_and_b32_e32 v31, 0x7f, v16
	v_cmp_ne_u32_e32 vcc, s53, v31
	v_mov_b32_e32 v30, 0x7f800001
	s_and_saveexec_b64 s[30:31], vcc
	s_cbranch_execz .LBB2_1953
; %bb.1952:                             ;   in Loop: Header=BB2_1934 Depth=2
	v_and_b32_e32 v30, 7, v16
	v_ffbh_u32_e32 v24, v30
	v_lshrrev_b32_e32 v34, 3, v31
	v_cmp_gt_u32_e32 vcc, 8, v31
	v_min_u32_e32 v31, 32, v24
	v_subrev_u32_e32 v24, 28, v31
	v_lshlrev_b64 v[24:25], v24, v[16:17]
	v_sub_u32_e32 v16, 29, v31
	v_and_b32_e32 v24, 7, v24
	v_cndmask_b32_e32 v16, v34, v16, vcc
	v_cndmask_b32_e32 v24, v30, v24, vcc
	v_lshlrev_b32_e32 v18, 24, v18
	v_lshlrev_b32_e32 v24, 20, v24
	v_and_b32_e32 v18, 0x80000000, v18
	v_lshl_add_u32 v16, v16, 23, v3
	v_or3_b32 v30, v18, v16, v24
.LBB2_1953:                             ;   in Loop: Header=BB2_1934 Depth=2
	s_or_b64 exec, exec, s[30:31]
.LBB2_1954:                             ;   in Loop: Header=BB2_1934 Depth=2
	s_or_b64 exec, exec, s[24:25]
.LBB2_1955:                             ;   in Loop: Header=BB2_1934 Depth=2
	s_or_b64 exec, exec, s[94:95]
	s_and_saveexec_b64 s[24:25], s[22:23]
	s_cbranch_execz .LBB2_1961
; %bb.1956:                             ;   in Loop: Header=BB2_1934 Depth=2
	v_bfrev_b32_e32 v19, 1
	s_and_saveexec_b64 s[22:23], s[20:21]
	s_cbranch_execz .LBB2_1960
; %bb.1957:                             ;   in Loop: Header=BB2_1934 Depth=2
	v_and_b32_e32 v16, 0xffff, v17
	v_and_b32_e32 v17, 0x7f, v16
	v_cmp_ne_u32_e32 vcc, s53, v17
	v_mov_b32_e32 v19, 0x7f800001
	s_and_saveexec_b64 s[20:21], vcc
	s_cbranch_execz .LBB2_1959
; %bb.1958:                             ;   in Loop: Header=BB2_1934 Depth=2
	v_and_b32_e32 v18, 7, v16
	v_lshrrev_b32_e32 v19, 3, v17
	v_cmp_gt_u32_e32 vcc, 8, v17
	v_ffbh_u32_e32 v17, v18
	v_min_u32_e32 v24, 32, v17
	v_subrev_u32_e32 v17, 28, v24
	v_lshlrev_b64 v[16:17], v17, v[16:17]
	v_sub_u32_e32 v17, 29, v24
	v_and_b32_e32 v16, 7, v16
	v_cndmask_b32_e32 v16, v18, v16, vcc
	v_cndmask_b32_e32 v17, v19, v17, vcc
	v_lshlrev_b32_e32 v16, 20, v16
	v_lshl_or_b32 v16, v17, 23, v16
	v_add_u32_e32 v16, 0x3c000000, v16
	v_or_b32_e32 v19, v16, v1
.LBB2_1959:                             ;   in Loop: Header=BB2_1934 Depth=2
	s_or_b64 exec, exec, s[20:21]
.LBB2_1960:                             ;   in Loop: Header=BB2_1934 Depth=2
	s_or_b64 exec, exec, s[22:23]
.LBB2_1961:                             ;   in Loop: Header=BB2_1934 Depth=2
	s_or_b64 exec, exec, s[24:25]
	v_max_f32_e32 v1, v19, v19
	v_max_f32_e32 v16, v30, v30
	v_min_f32_e32 v16, v16, v1
.LBB2_1962:                             ;   in Loop: Header=BB2_1934 Depth=2
	v_and_b32_e32 v36, 0x7f800000, v16
	v_cmp_ne_u64_e32 vcc, s[72:73], v[36:37]
                                        ; implicit-def: $vgpr17
	s_and_saveexec_b64 s[20:21], vcc
	s_xor_b64 s[22:23], exec, s[20:21]
	s_cbranch_execz .LBB2_1980
; %bb.1963:                             ;   in Loop: Header=BB2_1934 Depth=2
	v_and_b32_e32 v36, 0x7fffffff, v16
	v_cmp_gt_u64_e32 vcc, s[74:75], v[36:37]
	v_and_b32_sdwa v1, v16, s55 dst_sel:DWORD dst_unused:UNUSED_PAD src0_sel:BYTE_3 src1_sel:DWORD
                                        ; implicit-def: $vgpr17
	s_and_saveexec_b64 s[20:21], vcc
	s_xor_b64 s[24:25], exec, s[20:21]
	s_cbranch_execz .LBB2_1977
; %bb.1964:                             ;   in Loop: Header=BB2_1934 Depth=2
	v_cmp_ne_u32_e32 vcc, 0, v16
	v_mov_b32_e32 v17, 0
	s_and_saveexec_b64 s[94:95], vcc
	s_cbranch_execz .LBB2_1976
; %bb.1965:                             ;   in Loop: Header=BB2_1934 Depth=2
	v_bfe_u32 v18, v16, 23, 8
	v_and_b32_e32 v17, 0x7fffff, v16
	v_cmp_gt_u32_e64 s[20:21], s64, v18
	v_sub_u32_e32 v16, 0x79, v18
	v_cmp_eq_u32_e32 vcc, 0, v18
	v_cndmask_b32_e64 v16, 0, v16, s[20:21]
	v_cndmask_b32_e32 v19, v16, v2, vcc
	v_or_b32_e32 v24, 0x800000, v17
	v_add_u32_e32 v16, 20, v19
	v_cndmask_b32_e32 v36, v24, v17, vcc
	v_lshlrev_b64 v[16:17], v16, -1
	v_add_u32_e32 v24, 19, v19
	v_lshlrev_b64 v[24:25], v24, 1
	v_bfi_b32 v17, v17, 0, 0
	v_bfi_b32 v16, v16, 0, v36
	v_cmp_eq_u64_e64 s[20:21], v[16:17], v[24:25]
	v_lshrrev_b64 v[16:17], v19, v[36:37]
	v_mov_b32_e32 v51, v17
	v_mov_b32_e32 v50, v16
	s_and_saveexec_b64 s[30:31], s[20:21]
; %bb.1966:                             ;   in Loop: Header=BB2_1934 Depth=2
	v_bfe_u32 v17, v16, 20, 1
	v_add_co_u32_e64 v17, s[20:21], v16, v17
	v_add_co_u32_e64 v50, s[20:21], -1, v17
; %bb.1967:                             ;   in Loop: Header=BB2_1934 Depth=2
	s_or_b64 exec, exec, s[30:31]
	v_add_u32_e32 v17, 0xffffff81, v18
	v_cndmask_b32_e32 v17, v17, v20, vcc
	v_lshrrev_b32_e32 v18, 23, v16
	v_add3_u32 v30, v19, v17, v18
	v_add_u32_e32 v19, 6, v30
	v_and_b32_e32 v17, 0xfffff, v50
	v_add_u32_e32 v36, v17, v16
	v_cmp_ne_u32_e32 vcc, 0, v19
                                        ; implicit-def: $vgpr16_vgpr17
                                        ; implicit-def: $vgpr18
	s_and_saveexec_b64 s[20:21], vcc
	s_xor_b64 s[20:21], exec, s[20:21]
; %bb.1968:                             ;   in Loop: Header=BB2_1934 Depth=2
	v_cmp_lt_u64_e32 vcc, s[76:77], v[36:37]
	v_add_u32_e32 v16, 7, v30
	v_cndmask_b32_e32 v18, v19, v16, vcc
	v_cndmask_b32_e64 v16, 0, 1, vcc
	v_lshrrev_b64 v[16:17], v16, v[36:37]
; %bb.1969:                             ;   in Loop: Header=BB2_1934 Depth=2
	s_andn2_saveexec_b64 s[20:21], s[20:21]
; %bb.1970:                             ;   in Loop: Header=BB2_1934 Depth=2
	v_mov_b32_e32 v16, v36
	v_bfe_u32 v18, v36, 23, 1
	v_mov_b32_e32 v17, v37
; %bb.1971:                             ;   in Loop: Header=BB2_1934 Depth=2
	s_or_b64 exec, exec, s[20:21]
	v_lshrrev_b64 v[16:17], 20, v[16:17]
	v_cmp_gt_i32_e32 vcc, 16, v18
	v_cndmask_b32_e32 v17, 0, v17, vcc
	v_cndmask_b32_e32 v16, 7, v16, vcc
	v_cmp_ne_u64_e32 vcc, 0, v[16:17]
	v_cmp_ne_u32_e64 s[20:21], 0, v18
	s_or_b64 s[20:21], s[20:21], vcc
                                        ; implicit-def: $vgpr17
	s_and_saveexec_b64 vcc, s[20:21]
	s_xor_b64 s[20:21], exec, vcc
; %bb.1972:                             ;   in Loop: Header=BB2_1934 Depth=2
	v_min_i32_e32 v17, 15, v18
	v_lshl_or_b32 v1, v17, 3, v1
	v_and_or_b32 v17, v16, 7, v1
                                        ; implicit-def: $vgpr1
; %bb.1973:                             ;   in Loop: Header=BB2_1934 Depth=2
	s_andn2_saveexec_b64 s[20:21], s[20:21]
; %bb.1974:                             ;   in Loop: Header=BB2_1934 Depth=2
	v_mov_b32_e32 v17, v1
; %bb.1975:                             ;   in Loop: Header=BB2_1934 Depth=2
	s_or_b64 exec, exec, s[20:21]
.LBB2_1976:                             ;   in Loop: Header=BB2_1934 Depth=2
	s_or_b64 exec, exec, s[94:95]
                                        ; implicit-def: $vgpr1
.LBB2_1977:                             ;   in Loop: Header=BB2_1934 Depth=2
	s_andn2_saveexec_b64 s[20:21], s[24:25]
; %bb.1978:                             ;   in Loop: Header=BB2_1934 Depth=2
	v_or_b32_e32 v17, 0x7e, v1
; %bb.1979:                             ;   in Loop: Header=BB2_1934 Depth=2
	s_or_b64 exec, exec, s[20:21]
                                        ; implicit-def: $vgpr16
.LBB2_1980:                             ;   in Loop: Header=BB2_1934 Depth=2
	s_andn2_saveexec_b64 s[20:21], s[22:23]
	s_cbranch_execz .LBB2_1933
; %bb.1981:                             ;   in Loop: Header=BB2_1934 Depth=2
	v_or_b32_sdwa v17, v16, s53 dst_sel:DWORD dst_unused:UNUSED_PAD src0_sel:BYTE_3 src1_sel:DWORD
	s_branch .LBB2_1933
.LBB2_1982:                             ;   in Loop: Header=BB2_49 Depth=1
	s_or_b64 exec, exec, s[26:27]
	s_waitcnt vmcnt(0)
	v_cmp_ne_u32_e64 s[20:21], 0, v40
	s_and_saveexec_b64 s[22:23], s[10:11]
	s_cbranch_execz .LBB2_2001
.LBB2_1983:                             ;   in Loop: Header=BB2_49 Depth=1
	s_and_saveexec_b64 s[24:25], s[56:57]
	s_xor_b64 s[24:25], exec, s[24:25]
	s_cbranch_execz .LBB2_1998
; %bb.1984:                             ;   in Loop: Header=BB2_49 Depth=1
	s_and_saveexec_b64 s[26:27], s[12:13]
	s_cbranch_execz .LBB2_1997
; %bb.1985:                             ;   in Loop: Header=BB2_49 Depth=1
	s_mov_b64 s[92:93], exec
	v_mbcnt_lo_u32_b32 v0, s92, 0
	v_mbcnt_hi_u32_b32 v0, s93, v0
	v_cmp_eq_u32_e32 vcc, 0, v0
	s_waitcnt vmcnt(0) lgkmcnt(0)
	buffer_wbinvl1_vol
	s_and_saveexec_b64 s[28:29], vcc
	s_cbranch_execz .LBB2_1987
; %bb.1986:                             ;   in Loop: Header=BB2_49 Depth=1
	s_bcnt1_i32_b64 s92, s[92:93]
	v_mov_b32_e32 v36, s92
	ds_add_u64 v0, v[36:37]
	s_trap 2
.LBB2_1987:                             ;   in Loop: Header=BB2_49 Depth=1
	s_or_b64 exec, exec, s[28:29]
	s_trap 2
	ds_read_b64 v[0:1], v0
	s_waitcnt lgkmcnt(0)
	v_add_co_u32_e32 v26, vcc, v26, v59
	v_addc_co_u32_e32 v27, vcc, 0, v27, vcc
	v_cmp_lt_u64_e32 vcc, v[0:1], v[26:27]
	s_and_saveexec_b64 s[28:29], vcc
	s_cbranch_execz .LBB2_1996
; %bb.1988:                             ;   in Loop: Header=BB2_49 Depth=1
	s_mov_b32 s38, 0
	s_mov_b64 s[92:93], 0
                                        ; implicit-def: $sgpr94_sgpr95
                                        ; implicit-def: $sgpr30_sgpr31
	s_branch .LBB2_1990
.LBB2_1989:                             ;   in Loop: Header=BB2_1990 Depth=2
	s_or_b64 exec, exec, s[36:37]
	s_and_b64 vcc, exec, vcc
	s_or_b64 s[92:93], vcc, s[92:93]
	s_andn2_b64 s[94:95], s[94:95], exec
	s_and_b64 vcc, s[30:31], exec
	s_or_b64 s[94:95], s[94:95], vcc
	s_andn2_b64 exec, exec, s[92:93]
	s_cbranch_execz .LBB2_1994
.LBB2_1990:                             ;   Parent Loop BB2_49 Depth=1
                                        ; =>  This Inner Loop Header: Depth=2
	s_add_i32 s38, s38, 1
	s_cmpk_lg_i32 s38, 0x2710
	s_cselect_b64 s[34:35], -1, 0
	s_and_b64 vcc, exec, s[34:35]
	s_cbranch_vccz .LBB2_1992
; %bb.1991:                             ;   in Loop: Header=BB2_1990 Depth=2
	s_mov_b64 vcc, -1
	s_or_b64 s[30:31], s[30:31], exec
	s_and_saveexec_b64 s[36:37], s[34:35]
	s_cbranch_execz .LBB2_1989
	s_branch .LBB2_1993
.LBB2_1992:                             ;   in Loop: Header=BB2_1990 Depth=2
	s_trap 2
	ds_read_b64 v[0:1], v0
	s_andn2_b64 s[34:35], s[34:35], exec
	s_mov_b32 s38, 0
	s_waitcnt lgkmcnt(0)
	flat_load_dword v0, v[0:1] glc
	s_waitcnt vmcnt(0) lgkmcnt(0)
	buffer_wbinvl1_vol
	v_cmp_eq_u32_e32 vcc, 0, v0
	s_and_b64 vcc, vcc, exec
	s_or_b64 s[34:35], s[34:35], vcc
	s_mov_b64 vcc, -1
	s_or_b64 s[30:31], s[30:31], exec
	s_and_saveexec_b64 s[36:37], s[34:35]
	s_cbranch_execz .LBB2_1989
.LBB2_1993:                             ;   in Loop: Header=BB2_1990 Depth=2
	s_sleep 1
	s_trap 2
	ds_read_b64 v[0:1], v0
	s_waitcnt lgkmcnt(0)
	s_andn2_b64 s[30:31], s[30:31], exec
	v_cmp_ge_u64_e32 vcc, v[0:1], v[26:27]
	s_orn2_b64 vcc, vcc, exec
	s_branch .LBB2_1989
.LBB2_1994:                             ;   in Loop: Header=BB2_49 Depth=1
	s_or_b64 exec, exec, s[92:93]
	s_and_saveexec_b64 s[92:93], s[94:95]
	s_xor_b64 s[92:93], exec, s[92:93]
	s_cbranch_execz .LBB2_1996
; %bb.1995:                             ;   in Loop: Header=BB2_49 Depth=1
	ds_write_b32 v0, v53
	s_trap 2
.LBB2_1996:                             ;   in Loop: Header=BB2_49 Depth=1
	s_or_b64 exec, exec, s[28:29]
	;;#ASMSTART
	s_wakeup
	;;#ASMEND
.LBB2_1997:                             ;   in Loop: Header=BB2_49 Depth=1
	s_or_b64 exec, exec, s[26:27]
.LBB2_1998:                             ;   in Loop: Header=BB2_49 Depth=1
	s_andn2_saveexec_b64 s[24:25], s[24:25]
	s_cbranch_execz .LBB2_2000
; %bb.1999:                             ;   in Loop: Header=BB2_49 Depth=1
	s_waitcnt vmcnt(0) lgkmcnt(0)
	buffer_wbinvl1_vol
	s_barrier
.LBB2_2000:                             ;   in Loop: Header=BB2_49 Depth=1
	s_or_b64 exec, exec, s[24:25]
.LBB2_2001:                             ;   in Loop: Header=BB2_49 Depth=1
	s_or_b64 exec, exec, s[22:23]
	v_and_b32_e32 v0, 16, v57
	v_cmp_ne_u32_e32 vcc, 0, v0
	s_and_b64 s[22:23], vcc, s[20:21]
	s_and_saveexec_b64 s[20:21], s[22:23]
	s_cbranch_execz .LBB2_2003
; %bb.2002:                             ;   in Loop: Header=BB2_49 Depth=1
	s_waitcnt vmcnt(0) lgkmcnt(0)
	buffer_wbinvl1_vol
.LBB2_2003:                             ;   in Loop: Header=BB2_49 Depth=1
	s_or_b64 exec, exec, s[20:21]
	v_cmp_ne_u32_e32 vcc, 0, v0
	s_xor_b64 s[20:21], s[18:19], -1
	s_and_b64 s[22:23], vcc, s[20:21]
	s_and_saveexec_b64 s[20:21], s[22:23]
	s_cbranch_execz .LBB2_2005
; %bb.2004:                             ;   in Loop: Header=BB2_49 Depth=1
	buffer_load_dword v0, off, s[0:3], s33 offset:72 ; 4-byte Folded Reload
	buffer_load_dword v1, off, s[0:3], s33 offset:76 ; 4-byte Folded Reload
	s_waitcnt vmcnt(0)
	flat_store_dword v[0:1], v53
.LBB2_2005:                             ;   in Loop: Header=BB2_49 Depth=1
	s_or_b64 exec, exec, s[20:21]
	v_and_b32_e32 v0, 48, v57
	v_cmp_ne_u32_e32 vcc, 0, v0
	s_and_saveexec_b64 s[20:21], vcc
	s_cbranch_execz .LBB2_2007
; %bb.2006:                             ;   in Loop: Header=BB2_49 Depth=1
	v_add_co_u32_e32 v8, vcc, 1, v8
	v_addc_co_u32_e32 v9, vcc, 0, v9, vcc
	flat_store_dwordx2 v[22:23], v[8:9]
.LBB2_2007:                             ;   in Loop: Header=BB2_49 Depth=1
	s_or_b64 exec, exec, s[20:21]
	v_mov_b32_e32 v0, v49
.LBB2_2008:                             ;   in Loop: Header=BB2_49 Depth=1
	s_or_b64 exec, exec, s[90:91]
	s_and_saveexec_b64 s[22:23], s[88:89]
	s_cbranch_execz .LBB2_48
; %bb.2009:                             ;   in Loop: Header=BB2_49 Depth=1
	v_sub_u32_e32 v0, v48, v0
	v_min_i32_e32 v10, v49, v0
	v_and_b32_e32 v0, 12, v57
	v_cmp_ne_u32_e32 vcc, 0, v0
	s_and_saveexec_b64 s[24:25], vcc
	s_cbranch_execz .LBB2_2033
; %bb.2010:                             ;   in Loop: Header=BB2_49 Depth=1
	v_and_b32_e32 v0, 8, v57
	v_add_co_u32_e32 v14, vcc, v28, v0
	v_addc_co_u32_e32 v15, vcc, 0, v29, vcc
	s_waitcnt lgkmcnt(0)
	v_add_co_u32_e32 v12, vcc, 1, v8
	v_addc_co_u32_e32 v13, vcc, 0, v9, vcc
	v_cmp_lt_u64_e32 vcc, v[14:15], v[12:13]
	s_and_saveexec_b64 s[26:27], vcc
	s_cbranch_execz .LBB2_2022
; %bb.2011:                             ;   in Loop: Header=BB2_49 Depth=1
	v_and_b32_e32 v1, 64, v57
	s_mov_b32 s48, 0
	v_cmp_eq_u32_e32 vcc, 0, v1
	s_mov_b64 s[28:29], 0
                                        ; implicit-def: $sgpr88_sgpr89
                                        ; implicit-def: $sgpr90_sgpr91
                                        ; implicit-def: $sgpr92_sgpr93
	s_branch .LBB2_2015
.LBB2_2012:                             ;   in Loop: Header=BB2_2015 Depth=2
	s_waitcnt vmcnt(0) lgkmcnt(0)
	v_add_co_u32_e64 v14, s[20:21], v28, v0
	v_addc_co_u32_e64 v15, s[20:21], 0, v29, s[20:21]
	v_cmp_ge_u64_e64 s[20:21], v[14:15], v[12:13]
	s_or_b64 s[34:35], s[34:35], exec
	s_orn2_b64 s[30:31], s[20:21], exec
.LBB2_2013:                             ;   in Loop: Header=BB2_2015 Depth=2
	s_or_b64 exec, exec, s[38:39]
	s_andn2_b64 s[20:21], s[92:93], exec
	s_and_b64 s[92:93], s[34:35], exec
	s_or_b64 s[92:93], s[20:21], s[92:93]
	s_andn2_b64 s[20:21], s[90:91], exec
	s_and_b64 s[90:91], s[30:31], exec
	s_or_b64 s[90:91], s[20:21], s[90:91]
.LBB2_2014:                             ;   in Loop: Header=BB2_2015 Depth=2
	s_or_b64 exec, exec, s[94:95]
	s_and_b64 s[20:21], exec, s[90:91]
	s_or_b64 s[28:29], s[20:21], s[28:29]
	s_andn2_b64 s[20:21], s[88:89], exec
	s_and_b64 s[88:89], s[92:93], exec
	s_or_b64 s[88:89], s[20:21], s[88:89]
	s_andn2_b64 exec, exec, s[28:29]
	s_cbranch_execz .LBB2_2019
.LBB2_2015:                             ;   Parent Loop BB2_49 Depth=1
                                        ; =>  This Inner Loop Header: Depth=2
	s_sleep 1
	s_waitcnt vmcnt(0) lgkmcnt(0)
	flat_load_dwordx2 v[28:29], v[22:23] glc
	s_or_b64 s[92:93], s[92:93], exec
	s_or_b64 s[90:91], s[90:91], exec
                                        ; implicit-def: $vgpr1
	s_and_saveexec_b64 s[94:95], vcc
	s_cbranch_execz .LBB2_2014
; %bb.2016:                             ;   in Loop: Header=BB2_2015 Depth=2
	s_cmpk_lt_i32 s48, 0x270f
	s_cselect_b64 s[36:37], -1, 0
	s_cmpk_gt_i32 s48, 0x270e
	s_mov_b64 s[30:31], -1
	s_cbranch_scc0 .LBB2_2018
; %bb.2017:                             ;   in Loop: Header=BB2_2015 Depth=2
	s_trap 2
	ds_read_b64 v[14:15], v0
	s_andn2_b64 s[36:37], s[36:37], exec
	s_mov_b32 s48, 0
	s_mov_b64 s[34:35], 0
	s_waitcnt vmcnt(0) lgkmcnt(0)
	flat_load_dword v1, v[14:15] glc
	s_waitcnt vmcnt(0) lgkmcnt(0)
	buffer_wbinvl1_vol
	v_cmp_eq_u32_e64 s[20:21], 0, v1
	s_and_b64 s[20:21], s[20:21], exec
	s_or_b64 s[36:37], s[36:37], s[20:21]
	s_and_saveexec_b64 s[38:39], s[36:37]
	s_cbranch_execz .LBB2_2013
	s_branch .LBB2_2012
.LBB2_2018:                             ;   in Loop: Header=BB2_2015 Depth=2
	s_add_i32 s48, s48, 1
	s_mov_b64 s[34:35], -1
                                        ; implicit-def: $vgpr1
	s_and_saveexec_b64 s[38:39], s[36:37]
	s_cbranch_execz .LBB2_2013
	s_branch .LBB2_2012
.LBB2_2019:                             ;   in Loop: Header=BB2_49 Depth=1
	s_or_b64 exec, exec, s[28:29]
	s_xor_b64 s[20:21], s[88:89], -1
	s_and_saveexec_b64 s[28:29], s[20:21]
	s_xor_b64 s[20:21], exec, s[28:29]
	s_cbranch_execz .LBB2_2021
; %bb.2020:                             ;   in Loop: Header=BB2_49 Depth=1
	v_or_b32_e32 v57, 64, v57
	s_waitcnt lgkmcnt(0)
	ds_write_b32 v0, v1
	s_trap 2
.LBB2_2021:                             ;   in Loop: Header=BB2_49 Depth=1
	s_or_b64 exec, exec, s[20:21]
.LBB2_2022:                             ;   in Loop: Header=BB2_49 Depth=1
	s_or_b64 exec, exec, s[26:27]
	v_and_b32_e32 v1, 0x108, v57
	v_cmp_ne_u32_e32 vcc, s52, v1
	v_and_b32_e32 v1, 7, v8
	;;#ASMSTART
	s_wakeup
	;;#ASMEND
	s_and_saveexec_b64 s[20:21], vcc
	s_xor_b64 s[20:21], exec, s[20:21]
	s_andn2_saveexec_b64 s[20:21], s[20:21]
	s_cbranch_execz .LBB2_2024
; %bb.2023:                             ;   in Loop: Header=BB2_49 Depth=1
	v_mad_u64_u32 v[8:9], s[26:27], v1, 24, v[6:7]
	v_ashrrev_i32_e32 v11, 31, v10
	flat_store_dwordx2 v[8:9], v[10:11] offset:8
.LBB2_2024:                             ;   in Loop: Header=BB2_49 Depth=1
	s_or_b64 exec, exec, s[20:21]
	v_and_b32_e32 v8, 0x100, v57
	v_cmp_ne_u32_e32 vcc, 0, v8
	s_mov_b64 s[20:21], -1
                                        ; implicit-def: $vgpr8_vgpr9
	s_and_saveexec_b64 s[26:27], vcc
	s_cbranch_execz .LBB2_2028
; %bb.2025:                             ;   in Loop: Header=BB2_49 Depth=1
	v_mad_u64_u32 v[14:15], s[20:21], v1, 24, v[6:7]
	v_mov_b32_e32 v8, v15
	v_mad_u64_u32 v[8:9], s[20:21], v37, 24, v[8:9]
	v_mov_b32_e32 v15, v8
	flat_load_dword v8, v[14:15]
	s_waitcnt vmcnt(0) lgkmcnt(0)
	v_cmp_ne_u32_e32 vcc, 1, v8
	v_cmp_eq_u32_e64 s[20:21], 1, v8
                                        ; implicit-def: $vgpr8_vgpr9
	s_and_saveexec_b64 s[28:29], s[20:21]
	s_cbranch_execz .LBB2_2027
; %bb.2026:                             ;   in Loop: Header=BB2_49 Depth=1
	flat_load_dword v8, v[14:15] offset:4 glc
	s_waitcnt vmcnt(0) lgkmcnt(0)
	v_ashrrev_i32_e32 v9, 31, v8
.LBB2_2027:                             ;   in Loop: Header=BB2_49 Depth=1
	s_or_b64 exec, exec, s[28:29]
	s_orn2_b64 s[20:21], vcc, exec
.LBB2_2028:                             ;   in Loop: Header=BB2_49 Depth=1
	s_or_b64 exec, exec, s[26:27]
	s_and_saveexec_b64 s[26:27], s[20:21]
	s_cbranch_execz .LBB2_2030
; %bb.2029:                             ;   in Loop: Header=BB2_49 Depth=1
	buffer_load_dword v8, off, s[0:3], s33 offset:92 ; 4-byte Folded Reload
	v_mul_lo_u32 v14, v1, v35
	s_waitcnt vmcnt(0)
	v_mul_lo_u32 v11, v37, v8
	v_mad_u64_u32 v[8:9], s[20:21], v1, v8, 0
	v_add3_u32 v9, v9, v14, v11
.LBB2_2030:                             ;   in Loop: Header=BB2_49 Depth=1
	s_or_b64 exec, exec, s[26:27]
	v_cmp_eq_u32_e32 vcc, 0, v0
	buffer_load_dword v0, off, s[0:3], s33 offset:60 ; 4-byte Folded Reload
	buffer_load_dword v1, off, s[0:3], s33 offset:64 ; 4-byte Folded Reload
	v_cndmask_b32_e32 v11, v54, v55, vcc
	s_waitcnt vmcnt(0)
	v_add_co_u32_e32 v0, vcc, v0, v8
	v_addc_co_u32_e32 v1, vcc, v1, v9, vcc
	v_add_u32_e32 v8, v0, v11
	ds_write_b64 v8, v[0:1] offset:584
	v_and_b32_e32 v0, 0x2000, v57
	v_cmp_ne_u32_e32 vcc, 0, v0
	s_and_saveexec_b64 s[20:21], vcc
	s_cbranch_execz .LBB2_2032
; %bb.2031:                             ;   in Loop: Header=BB2_49 Depth=1
	ds_read_b64 v[0:1], v0 offset:872
	s_waitcnt lgkmcnt(0)
	v_add_co_u32_e32 v0, vcc, 1, v0
	v_addc_co_u32_e32 v1, vcc, 0, v1, vcc
	ds_write_b64 v0, v[0:1] offset:872
.LBB2_2032:                             ;   in Loop: Header=BB2_49 Depth=1
	s_or_b64 exec, exec, s[20:21]
	v_mov_b32_e32 v8, v12
	v_mov_b32_e32 v9, v13
.LBB2_2033:                             ;   in Loop: Header=BB2_49 Depth=1
	s_or_b64 exec, exec, s[24:25]
	s_and_saveexec_b64 s[20:21], s[10:11]
	s_cbranch_execz .LBB2_2052
; %bb.2034:                             ;   in Loop: Header=BB2_49 Depth=1
	s_and_saveexec_b64 s[24:25], s[56:57]
	s_xor_b64 s[24:25], exec, s[24:25]
	s_cbranch_execz .LBB2_2049
; %bb.2035:                             ;   in Loop: Header=BB2_49 Depth=1
	s_and_saveexec_b64 s[26:27], s[12:13]
	s_cbranch_execz .LBB2_2048
; %bb.2036:                             ;   in Loop: Header=BB2_49 Depth=1
	s_mov_b64 s[88:89], exec
	v_mbcnt_lo_u32_b32 v0, s88, 0
	v_mbcnt_hi_u32_b32 v0, s89, v0
	v_cmp_eq_u32_e32 vcc, 0, v0
	s_waitcnt vmcnt(0) lgkmcnt(0)
	buffer_wbinvl1_vol
	s_and_saveexec_b64 s[28:29], vcc
	s_cbranch_execz .LBB2_2038
; %bb.2037:                             ;   in Loop: Header=BB2_49 Depth=1
	s_bcnt1_i32_b64 s88, s[88:89]
	v_mov_b32_e32 v36, s88
	ds_add_u64 v0, v[36:37]
	s_trap 2
.LBB2_2038:                             ;   in Loop: Header=BB2_49 Depth=1
	s_or_b64 exec, exec, s[28:29]
	s_trap 2
	ds_read_b64 v[0:1], v0
	s_waitcnt lgkmcnt(0)
	v_add_co_u32_e32 v26, vcc, v26, v59
	v_addc_co_u32_e32 v27, vcc, 0, v27, vcc
	v_cmp_lt_u64_e32 vcc, v[0:1], v[26:27]
	s_and_saveexec_b64 s[28:29], vcc
	s_cbranch_execz .LBB2_2047
; %bb.2039:                             ;   in Loop: Header=BB2_49 Depth=1
	s_mov_b32 s34, 0
	s_mov_b64 s[88:89], 0
                                        ; implicit-def: $sgpr90_sgpr91
                                        ; implicit-def: $sgpr92_sgpr93
	s_branch .LBB2_2041
.LBB2_2040:                             ;   in Loop: Header=BB2_2041 Depth=2
	s_or_b64 exec, exec, s[30:31]
	s_and_b64 s[94:95], exec, vcc
	s_or_b64 s[88:89], s[94:95], s[88:89]
	s_andn2_b64 s[90:91], s[90:91], exec
	s_and_b64 s[94:95], s[92:93], exec
	s_or_b64 s[90:91], s[90:91], s[94:95]
	s_andn2_b64 exec, exec, s[88:89]
	s_cbranch_execz .LBB2_2045
.LBB2_2041:                             ;   Parent Loop BB2_49 Depth=1
                                        ; =>  This Inner Loop Header: Depth=2
	s_add_i32 s34, s34, 1
	s_cmpk_lg_i32 s34, 0x2710
	s_cselect_b64 s[94:95], -1, 0
	s_and_b64 vcc, exec, s[94:95]
	s_cbranch_vccz .LBB2_2043
; %bb.2042:                             ;   in Loop: Header=BB2_2041 Depth=2
	s_mov_b64 vcc, -1
	s_or_b64 s[92:93], s[92:93], exec
	s_and_saveexec_b64 s[30:31], s[94:95]
	s_cbranch_execz .LBB2_2040
	s_branch .LBB2_2044
.LBB2_2043:                             ;   in Loop: Header=BB2_2041 Depth=2
	s_trap 2
	ds_read_b64 v[0:1], v0
	s_andn2_b64 s[94:95], s[94:95], exec
	s_mov_b32 s34, 0
	s_waitcnt lgkmcnt(0)
	flat_load_dword v0, v[0:1] glc
	s_waitcnt vmcnt(0) lgkmcnt(0)
	buffer_wbinvl1_vol
	v_cmp_eq_u32_e32 vcc, 0, v0
	s_and_b64 vcc, vcc, exec
	s_or_b64 s[94:95], s[94:95], vcc
	s_mov_b64 vcc, -1
	s_or_b64 s[92:93], s[92:93], exec
	s_and_saveexec_b64 s[30:31], s[94:95]
	s_cbranch_execz .LBB2_2040
.LBB2_2044:                             ;   in Loop: Header=BB2_2041 Depth=2
	s_sleep 1
	s_trap 2
	ds_read_b64 v[0:1], v0
	s_waitcnt lgkmcnt(0)
	s_andn2_b64 s[92:93], s[92:93], exec
	v_cmp_ge_u64_e32 vcc, v[0:1], v[26:27]
	s_orn2_b64 vcc, vcc, exec
	s_branch .LBB2_2040
.LBB2_2045:                             ;   in Loop: Header=BB2_49 Depth=1
	s_or_b64 exec, exec, s[88:89]
	s_and_saveexec_b64 s[88:89], s[90:91]
	s_xor_b64 s[88:89], exec, s[88:89]
	s_cbranch_execz .LBB2_2047
; %bb.2046:                             ;   in Loop: Header=BB2_49 Depth=1
	ds_write_b32 v0, v53
	s_trap 2
.LBB2_2047:                             ;   in Loop: Header=BB2_49 Depth=1
	s_or_b64 exec, exec, s[28:29]
	;;#ASMSTART
	s_wakeup
	;;#ASMEND
.LBB2_2048:                             ;   in Loop: Header=BB2_49 Depth=1
	s_or_b64 exec, exec, s[26:27]
.LBB2_2049:                             ;   in Loop: Header=BB2_49 Depth=1
	s_andn2_saveexec_b64 s[24:25], s[24:25]
	s_cbranch_execz .LBB2_2051
; %bb.2050:                             ;   in Loop: Header=BB2_49 Depth=1
	s_waitcnt vmcnt(0) lgkmcnt(0)
	buffer_wbinvl1_vol
	s_barrier
.LBB2_2051:                             ;   in Loop: Header=BB2_49 Depth=1
	s_or_b64 exec, exec, s[24:25]
.LBB2_2052:                             ;   in Loop: Header=BB2_49 Depth=1
	s_or_b64 exec, exec, s[20:21]
	s_trap 2
	ds_read_b32 v1, v0
	v_cmp_lt_i32_e32 vcc, 0, v10
	v_and_b32_e32 v0, 16, v57
	s_waitcnt lgkmcnt(0)
	v_readfirstlane_b32 s20, v1
	s_cmp_eq_u32 s20, 0
	s_cselect_b64 s[20:21], -1, 0
	s_and_b64 s[20:21], vcc, s[20:21]
	v_cmp_ne_u32_e32 vcc, 0, v0
	s_and_b64 s[24:25], vcc, s[20:21]
	s_and_saveexec_b64 s[20:21], s[24:25]
	s_cbranch_execz .LBB2_2054
; %bb.2053:                             ;   in Loop: Header=BB2_49 Depth=1
	s_waitcnt vmcnt(0)
	buffer_wbinvl1_vol
.LBB2_2054:                             ;   in Loop: Header=BB2_49 Depth=1
	s_or_b64 exec, exec, s[20:21]
	v_cmp_ne_u32_e32 vcc, 0, v0
	s_xor_b64 s[20:21], s[18:19], -1
	s_and_b64 s[24:25], vcc, s[20:21]
	s_and_saveexec_b64 s[20:21], s[24:25]
	s_cbranch_execz .LBB2_2056
; %bb.2055:                             ;   in Loop: Header=BB2_49 Depth=1
	buffer_load_dword v0, off, s[0:3], s33 offset:72 ; 4-byte Folded Reload
	buffer_load_dword v1, off, s[0:3], s33 offset:76 ; 4-byte Folded Reload
	s_waitcnt vmcnt(0)
	flat_store_dword v[0:1], v53
.LBB2_2056:                             ;   in Loop: Header=BB2_49 Depth=1
	s_or_b64 exec, exec, s[20:21]
	v_and_b32_e32 v0, 48, v57
	v_cmp_ne_u32_e32 vcc, 0, v0
	s_and_saveexec_b64 s[20:21], vcc
	s_cbranch_execz .LBB2_47
; %bb.2057:                             ;   in Loop: Header=BB2_49 Depth=1
	v_add_co_u32_e32 v8, vcc, 1, v8
	v_addc_co_u32_e32 v9, vcc, 0, v9, vcc
	flat_store_dwordx2 v[22:23], v[8:9]
	s_branch .LBB2_47
.LBB2_2058:
	s_or_b64 exec, exec, s[60:61]
	buffer_load_dword v44, off, s[0:3], s33 offset:116 ; 4-byte Folded Reload
	buffer_load_dword v45, off, s[0:3], s33 offset:120 ; 4-byte Folded Reload
	;; [unrolled: 1-line block ×5, first 2 shown]
.LBB2_2059:
	s_or_b64 exec, exec, s[46:47]
                                        ; implicit-def: $vgpr0_vgpr1
                                        ; implicit-def: $vgpr58_vgpr59
                                        ; implicit-def: $vgpr4_vgpr5
                                        ; implicit-def: $vgpr56
                                        ; implicit-def: $vgpr28_vgpr29
                                        ; kill: killed $vgpr0_vgpr1
                                        ; implicit-def: $vgpr22_vgpr23
                                        ; implicit-def: $vgpr18
                                        ; implicit-def: $vgpr32
                                        ; implicit-def: $vgpr0
.LBB2_2060:
	s_andn2_saveexec_b64 s[28:29], s[44:45]
	s_cbranch_execz .LBB2_4068
; %bb.2061:
	v_mov_b32_e32 v26, 0
	v_cmp_ne_u64_e32 vcc, 0, v[4:5]
	v_mov_b32_e32 v27, 0
	s_and_saveexec_b64 s[44:45], vcc
	s_cbranch_execz .LBB2_4067
; %bb.2062:
	s_ashr_i32 s6, s50, 31
	s_lshr_b32 s6, s6, 24
	s_waitcnt vmcnt(0)
	v_and_b32_e32 v1, 63, v45
	buffer_store_dword v56, off, s[0:3], s33 offset:92 ; 4-byte Folded Spill
	buffer_store_dword v60, off, s[0:3], s33 offset:136 ; 4-byte Folded Spill
	s_nop 0
	buffer_store_dword v61, off, s[0:3], s33 offset:140 ; 4-byte Folded Spill
	buffer_store_dword v58, off, s[0:3], s33 offset:84 ; 4-byte Folded Spill
	s_nop 0
	buffer_store_dword v59, off, s[0:3], s33 offset:88 ; 4-byte Folded Spill
	s_add_i32 s6, s50, s6
	s_trap 2
	v_cmp_eq_u32_e32 vcc, 64, v44
	buffer_store_dword v46, off, s[0:3], s33 offset:124 ; 4-byte Folded Spill
	v_cmp_ne_u32_sdwa s[46:47], v44, v46 src0_sel:DWORD src1_sel:WORD_0
	s_mov_b32 s56, 0
	v_cmp_eq_u32_e64 s[12:13], 0, v1
	v_lshrrev_b32_e32 v46, 6, v44
	v_and_b32_e32 v1, 63, v0
	v_mov_b32_e32 v36, 0
	v_mov_b32_e32 v26, 0
	s_mov_b32 s76, -1
	s_ashr_i32 s48, s6, 8
	v_cmp_ge_u32_e64 s[6:7], v0, v44
	v_cmp_ne_u32_e64 s[10:11], 64, v44
	buffer_store_dword v45, off, s[0:3], s33 offset:120 ; 4-byte Folded Spill
	s_mov_b32 s57, 0x1000000
	v_mov_b32_e32 v35, 0
	v_cmp_le_u32_e64 s[14:15], v1, v18
	v_cmp_eq_u32_e64 s[16:17], 0, v1
	buffer_store_dword v0, off, s[0:3], s33 offset:80 ; 4-byte Folded Spill
	v_lshlrev_b32_e32 v0, 4, v0
	v_lshlrev_b32_e32 v21, 10, v46
	;; [unrolled: 1-line block ×3, first 2 shown]
	v_and_b32_e32 v30, 0x3fc0, v44
	s_mov_b64 s[58:59], 0
	v_mov_b32_e32 v37, 0
	v_mov_b32_e32 v27, 0
	s_xor_b64 s[60:61], vcc, -1
	s_movk_i32 s49, 0x7f
	s_brev_b32 s51, 1
	s_movk_i32 s52, 0x80
	s_mov_b64 s[62:63], 0x7f800000
	s_mov_b64 s[72:73], 0x43e00001
	s_movk_i32 s53, 0x7a
	s_mov_b64 s[74:75], 0xffffff
	s_mov_b32 s77, 0xffffff
	s_mov_b32 s54, 0x3ffffc00
	s_movk_i32 s55, 0xffc0
	v_bfrev_b32_e32 v56, 60
	v_mov_b32_e32 v59, 0x7f800001
	v_mov_b32_e32 v60, 0x78
	;; [unrolled: 1-line block ×3, first 2 shown]
	v_bfrev_b32_e32 v62, 1
	buffer_store_dword v1, off, s[0:3], s33 offset:152 ; 4-byte Folded Spill
	buffer_store_dword v0, off, s[0:3], s33 offset:96 ; 4-byte Folded Spill
	;; [unrolled: 1-line block ×5, first 2 shown]
	s_branch .LBB2_2065
.LBB2_2063:                             ;   in Loop: Header=BB2_2065 Depth=1
	s_or_b64 exec, exec, s[18:19]
.LBB2_2064:                             ;   in Loop: Header=BB2_2065 Depth=1
	s_or_b64 exec, exec, s[20:21]
	v_add_co_u32_e32 v36, vcc, v36, v32
	v_addc_co_u32_e32 v37, vcc, 0, v37, vcc
	v_cmp_ge_u64_e32 vcc, v[36:37], v[4:5]
	s_or_b64 s[58:59], vcc, s[58:59]
	s_andn2_b64 exec, exec, s[58:59]
	s_cbranch_execz .LBB2_4066
.LBB2_2065:                             ; =>This Loop Header: Depth=1
                                        ;     Child Loop BB2_2074 Depth 2
                                        ;     Child Loop BB2_2098 Depth 2
	;; [unrolled: 1-line block ×10, first 2 shown]
	v_sub_co_u32_e32 v0, vcc, v4, v36
	s_waitcnt vmcnt(0)
	v_subb_co_u32_e32 v1, vcc, v5, v37, vcc
	v_cmp_lt_u64_e32 vcc, v[32:33], v[0:1]
	v_cndmask_b32_e64 v39, v1, 0, vcc
	v_cndmask_b32_e32 v38, v0, v32, vcc
	v_cmp_eq_u64_e32 vcc, 0, v[38:39]
	v_add_u32_e32 v0, 15, v38
	v_and_b32_e32 v0, 0x7ffffff0, v0
	s_or_b64 s[78:79], s[6:7], vcc
	v_max_i32_e32 v47, s48, v0
	s_xor_b64 s[18:19], s[78:79], -1
	v_mov_b32_e32 v0, v35
	s_and_saveexec_b64 s[88:89], s[18:19]
	s_cbranch_execz .LBB2_4020
; %bb.2066:                             ;   in Loop: Header=BB2_2065 Depth=1
	s_and_saveexec_b64 s[18:19], s[4:5]
	s_cbranch_execz .LBB2_2068
; %bb.2067:                             ;   in Loop: Header=BB2_2065 Depth=1
	s_trap 2
	ds_read2_b64 v[0:3], v0 offset1:1
	buffer_load_dword v10, off, s[0:3], s33 offset:84 ; 4-byte Folded Reload
	buffer_load_dword v11, off, s[0:3], s33 offset:88 ; 4-byte Folded Reload
	s_waitcnt vmcnt(0)
	v_add_co_u32_e32 v12, vcc, v36, v10
	v_addc_co_u32_e32 v13, vcc, v37, v11, vcc
	s_waitcnt lgkmcnt(0)
	ds_read_b64 v[10:11], v0
	v_add_co_u32_e32 v0, vcc, v0, v12
	v_addc_co_u32_e32 v1, vcc, v1, v13, vcc
	ds_write_b64 v0, v[0:1]
	v_add_co_u32_e32 v0, vcc, v2, v12
	v_addc_co_u32_e32 v1, vcc, v3, v13, vcc
	ds_write_b64 v0, v[0:1]
	s_waitcnt lgkmcnt(2)
	v_add_co_u32_e32 v0, vcc, v10, v12
	v_addc_co_u32_e32 v1, vcc, v11, v13, vcc
	v_cmp_ne_u64_e32 vcc, 0, v[10:11]
	v_cndmask_b32_e32 v1, 0, v1, vcc
	v_cndmask_b32_e32 v0, 0, v0, vcc
	ds_write_b64 v0, v[0:1]
.LBB2_2068:                             ;   in Loop: Header=BB2_2065 Depth=1
	s_or_b64 exec, exec, s[18:19]
	v_and_b32_e32 v0, 4, v57
	v_cmp_ne_u32_e32 vcc, 0, v0
	s_and_saveexec_b64 s[20:21], vcc
	s_cbranch_execz .LBB2_2090
; %bb.2069:                             ;   in Loop: Header=BB2_2065 Depth=1
	s_waitcnt lgkmcnt(0)
	v_add_co_u32_e32 v10, vcc, 1, v8
	v_addc_co_u32_e32 v11, vcc, 0, v9, vcc
	v_cmp_lt_u64_e32 vcc, v[28:29], v[10:11]
	s_and_saveexec_b64 s[22:23], vcc
	s_cbranch_execz .LBB2_2081
; %bb.2070:                             ;   in Loop: Header=BB2_2065 Depth=1
	v_and_b32_e32 v0, 64, v57
	s_mov_b32 s64, 0
	v_cmp_eq_u32_e32 vcc, 0, v0
	s_mov_b64 s[24:25], 0
                                        ; implicit-def: $sgpr26_sgpr27
                                        ; implicit-def: $sgpr90_sgpr91
                                        ; implicit-def: $sgpr92_sgpr93
	s_branch .LBB2_2074
.LBB2_2071:                             ;   in Loop: Header=BB2_2074 Depth=2
	s_waitcnt vmcnt(0) lgkmcnt(0)
	v_cmp_ge_u64_e64 s[18:19], v[28:29], v[10:11]
	s_or_b64 s[34:35], s[34:35], exec
	s_orn2_b64 s[30:31], s[18:19], exec
.LBB2_2072:                             ;   in Loop: Header=BB2_2074 Depth=2
	s_or_b64 exec, exec, s[38:39]
	s_andn2_b64 s[18:19], s[92:93], exec
	s_and_b64 s[92:93], s[34:35], exec
	s_or_b64 s[92:93], s[18:19], s[92:93]
	s_andn2_b64 s[18:19], s[90:91], exec
	s_and_b64 s[90:91], s[30:31], exec
	s_or_b64 s[90:91], s[18:19], s[90:91]
.LBB2_2073:                             ;   in Loop: Header=BB2_2074 Depth=2
	s_or_b64 exec, exec, s[94:95]
	s_and_b64 s[18:19], exec, s[90:91]
	s_or_b64 s[24:25], s[18:19], s[24:25]
	s_andn2_b64 s[18:19], s[26:27], exec
	s_and_b64 s[26:27], s[92:93], exec
	s_or_b64 s[26:27], s[18:19], s[26:27]
	s_andn2_b64 exec, exec, s[24:25]
	s_cbranch_execz .LBB2_2078
.LBB2_2074:                             ;   Parent Loop BB2_2065 Depth=1
                                        ; =>  This Inner Loop Header: Depth=2
	s_sleep 1
	s_waitcnt vmcnt(0) lgkmcnt(0)
	flat_load_dwordx2 v[28:29], v[22:23] glc
	s_or_b64 s[92:93], s[92:93], exec
	s_or_b64 s[90:91], s[90:91], exec
                                        ; implicit-def: $vgpr0
	s_and_saveexec_b64 s[94:95], vcc
	s_cbranch_execz .LBB2_2073
; %bb.2075:                             ;   in Loop: Header=BB2_2074 Depth=2
	s_cmpk_lt_i32 s64, 0x270f
	s_cselect_b64 s[36:37], -1, 0
	s_cmpk_gt_i32 s64, 0x270e
	s_mov_b64 s[30:31], -1
	s_cbranch_scc0 .LBB2_2077
; %bb.2076:                             ;   in Loop: Header=BB2_2074 Depth=2
	s_trap 2
	ds_read_b64 v[0:1], v0
	s_andn2_b64 s[36:37], s[36:37], exec
	s_mov_b32 s64, 0
	s_mov_b64 s[34:35], 0
	s_waitcnt vmcnt(0) lgkmcnt(0)
	flat_load_dword v0, v[0:1] glc
	s_waitcnt vmcnt(0) lgkmcnt(0)
	buffer_wbinvl1_vol
	v_cmp_eq_u32_e64 s[18:19], 0, v0
	s_and_b64 s[18:19], s[18:19], exec
	s_or_b64 s[36:37], s[36:37], s[18:19]
	s_and_saveexec_b64 s[38:39], s[36:37]
	s_cbranch_execz .LBB2_2072
	s_branch .LBB2_2071
.LBB2_2077:                             ;   in Loop: Header=BB2_2074 Depth=2
	s_add_i32 s64, s64, 1
	s_mov_b64 s[34:35], -1
                                        ; implicit-def: $vgpr0
	s_and_saveexec_b64 s[38:39], s[36:37]
	s_cbranch_execz .LBB2_2072
	s_branch .LBB2_2071
.LBB2_2078:                             ;   in Loop: Header=BB2_2065 Depth=1
	s_or_b64 exec, exec, s[24:25]
	s_xor_b64 s[18:19], s[26:27], -1
	s_and_saveexec_b64 s[24:25], s[18:19]
	s_xor_b64 s[18:19], exec, s[24:25]
	s_cbranch_execz .LBB2_2080
; %bb.2079:                             ;   in Loop: Header=BB2_2065 Depth=1
	v_or_b32_e32 v57, 64, v57
	s_waitcnt lgkmcnt(0)
	ds_write_b32 v0, v0
	s_trap 2
.LBB2_2080:                             ;   in Loop: Header=BB2_2065 Depth=1
	s_or_b64 exec, exec, s[18:19]
.LBB2_2081:                             ;   in Loop: Header=BB2_2065 Depth=1
	s_or_b64 exec, exec, s[22:23]
	v_and_b32_e32 v0, 0x100, v57
	v_cmp_ne_u32_e32 vcc, 0, v0
	v_and_b32_e32 v0, 7, v8
	s_mov_b64 s[18:19], -1
	;;#ASMSTART
	s_wakeup
	;;#ASMEND
                                        ; implicit-def: $vgpr8_vgpr9
	s_and_saveexec_b64 s[22:23], vcc
	s_cbranch_execz .LBB2_2085
; %bb.2082:                             ;   in Loop: Header=BB2_2065 Depth=1
	v_mad_u64_u32 v[12:13], s[18:19], v0, 24, v[6:7]
                                        ; implicit-def: $vgpr8_vgpr9
	flat_load_dword v1, v[12:13]
	s_waitcnt vmcnt(0) lgkmcnt(0)
	v_cmp_ne_u32_e32 vcc, 1, v1
	v_cmp_eq_u32_e64 s[18:19], 1, v1
	s_and_saveexec_b64 s[24:25], s[18:19]
	s_cbranch_execz .LBB2_2084
; %bb.2083:                             ;   in Loop: Header=BB2_2065 Depth=1
	flat_load_dword v8, v[12:13] offset:4 glc
	s_waitcnt vmcnt(0) lgkmcnt(0)
	v_ashrrev_i32_e32 v9, 31, v8
.LBB2_2084:                             ;   in Loop: Header=BB2_2065 Depth=1
	s_or_b64 exec, exec, s[24:25]
	s_orn2_b64 s[18:19], vcc, exec
.LBB2_2085:                             ;   in Loop: Header=BB2_2065 Depth=1
	s_or_b64 exec, exec, s[22:23]
	s_and_saveexec_b64 s[22:23], s[18:19]
	s_cbranch_execz .LBB2_2087
; %bb.2086:                             ;   in Loop: Header=BB2_2065 Depth=1
	buffer_load_dword v1, off, s[0:3], s33 offset:92 ; 4-byte Folded Reload
	s_waitcnt vmcnt(0)
	v_mad_i64_i32 v[8:9], s[18:19], v0, v1, 0
.LBB2_2087:                             ;   in Loop: Header=BB2_2065 Depth=1
	s_or_b64 exec, exec, s[22:23]
	buffer_load_dword v0, off, s[0:3], s33 offset:60 ; 4-byte Folded Reload
	buffer_load_dword v1, off, s[0:3], s33 offset:64 ; 4-byte Folded Reload
	s_waitcnt vmcnt(0)
	v_add_co_u32_e32 v0, vcc, v0, v8
	v_addc_co_u32_e32 v1, vcc, v1, v9, vcc
	ds_write_b64 v0, v[0:1] offset:728
	v_and_b32_e32 v0, 0x2000, v57
	v_cmp_ne_u32_e32 vcc, 0, v0
	s_and_saveexec_b64 s[18:19], vcc
	s_cbranch_execz .LBB2_2089
; %bb.2088:                             ;   in Loop: Header=BB2_2065 Depth=1
	ds_read_b64 v[0:1], v0 offset:872
	s_waitcnt lgkmcnt(0)
	v_add_co_u32_e32 v0, vcc, 1, v0
	v_addc_co_u32_e32 v1, vcc, 0, v1, vcc
	ds_write_b64 v0, v[0:1] offset:872
.LBB2_2089:                             ;   in Loop: Header=BB2_2065 Depth=1
	s_or_b64 exec, exec, s[18:19]
	v_mov_b32_e32 v8, v10
	v_mov_b32_e32 v9, v11
.LBB2_2090:                             ;   in Loop: Header=BB2_2065 Depth=1
	s_or_b64 exec, exec, s[20:21]
	s_and_saveexec_b64 s[18:19], s[10:11]
	s_cbranch_execz .LBB2_2109
; %bb.2091:                             ;   in Loop: Header=BB2_2065 Depth=1
	s_and_saveexec_b64 s[20:21], s[46:47]
	s_xor_b64 s[20:21], exec, s[20:21]
	s_cbranch_execz .LBB2_2106
; %bb.2092:                             ;   in Loop: Header=BB2_2065 Depth=1
	s_and_saveexec_b64 s[22:23], s[12:13]
	s_cbranch_execz .LBB2_2105
; %bb.2093:                             ;   in Loop: Header=BB2_2065 Depth=1
	s_mov_b64 s[26:27], exec
	v_mbcnt_lo_u32_b32 v0, s26, 0
	v_mbcnt_hi_u32_b32 v0, s27, v0
	v_cmp_eq_u32_e32 vcc, 0, v0
	s_waitcnt vmcnt(0) lgkmcnt(0)
	buffer_wbinvl1_vol
	s_and_saveexec_b64 s[24:25], vcc
	s_cbranch_execz .LBB2_2095
; %bb.2094:                             ;   in Loop: Header=BB2_2065 Depth=1
	s_bcnt1_i32_b64 s26, s[26:27]
	v_mov_b32_e32 v34, s26
	ds_add_u64 v0, v[34:35]
	s_trap 2
.LBB2_2095:                             ;   in Loop: Header=BB2_2065 Depth=1
	s_or_b64 exec, exec, s[24:25]
	s_trap 2
	ds_read_b64 v[0:1], v0
	s_waitcnt lgkmcnt(0)
	v_add_co_u32_e32 v26, vcc, v26, v46
	v_addc_co_u32_e32 v27, vcc, 0, v27, vcc
	v_cmp_lt_u64_e32 vcc, v[0:1], v[26:27]
	s_and_saveexec_b64 s[24:25], vcc
	s_cbranch_execz .LBB2_2104
; %bb.2096:                             ;   in Loop: Header=BB2_2065 Depth=1
	s_mov_b32 s34, 0
	s_mov_b64 s[26:27], 0
                                        ; implicit-def: $sgpr90_sgpr91
                                        ; implicit-def: $sgpr92_sgpr93
	s_branch .LBB2_2098
.LBB2_2097:                             ;   in Loop: Header=BB2_2098 Depth=2
	s_or_b64 exec, exec, s[30:31]
	s_and_b64 s[94:95], exec, vcc
	s_or_b64 s[26:27], s[94:95], s[26:27]
	s_andn2_b64 s[90:91], s[90:91], exec
	s_and_b64 s[94:95], s[92:93], exec
	s_or_b64 s[90:91], s[90:91], s[94:95]
	s_andn2_b64 exec, exec, s[26:27]
	s_cbranch_execz .LBB2_2102
.LBB2_2098:                             ;   Parent Loop BB2_2065 Depth=1
                                        ; =>  This Inner Loop Header: Depth=2
	s_add_i32 s34, s34, 1
	s_cmpk_lg_i32 s34, 0x2710
	s_cselect_b64 s[94:95], -1, 0
	s_and_b64 vcc, exec, s[94:95]
	s_cbranch_vccz .LBB2_2100
; %bb.2099:                             ;   in Loop: Header=BB2_2098 Depth=2
	s_mov_b64 vcc, -1
	s_or_b64 s[92:93], s[92:93], exec
	s_and_saveexec_b64 s[30:31], s[94:95]
	s_cbranch_execz .LBB2_2097
	s_branch .LBB2_2101
.LBB2_2100:                             ;   in Loop: Header=BB2_2098 Depth=2
	s_trap 2
	ds_read_b64 v[0:1], v0
	s_andn2_b64 s[94:95], s[94:95], exec
	s_mov_b32 s34, 0
	s_waitcnt lgkmcnt(0)
	flat_load_dword v0, v[0:1] glc
	s_waitcnt vmcnt(0) lgkmcnt(0)
	buffer_wbinvl1_vol
	v_cmp_eq_u32_e32 vcc, 0, v0
	s_and_b64 vcc, vcc, exec
	s_or_b64 s[94:95], s[94:95], vcc
	s_mov_b64 vcc, -1
	s_or_b64 s[92:93], s[92:93], exec
	s_and_saveexec_b64 s[30:31], s[94:95]
	s_cbranch_execz .LBB2_2097
.LBB2_2101:                             ;   in Loop: Header=BB2_2098 Depth=2
	s_sleep 1
	s_trap 2
	ds_read_b64 v[0:1], v0
	s_waitcnt lgkmcnt(0)
	s_andn2_b64 s[92:93], s[92:93], exec
	v_cmp_ge_u64_e32 vcc, v[0:1], v[26:27]
	s_orn2_b64 vcc, vcc, exec
	s_branch .LBB2_2097
.LBB2_2102:                             ;   in Loop: Header=BB2_2065 Depth=1
	s_or_b64 exec, exec, s[26:27]
	s_and_saveexec_b64 s[26:27], s[90:91]
	s_xor_b64 s[26:27], exec, s[26:27]
	s_cbranch_execz .LBB2_2104
; %bb.2103:                             ;   in Loop: Header=BB2_2065 Depth=1
	v_mov_b32_e32 v0, 1
	ds_write_b32 v0, v0
	s_trap 2
.LBB2_2104:                             ;   in Loop: Header=BB2_2065 Depth=1
	s_or_b64 exec, exec, s[24:25]
	;;#ASMSTART
	s_wakeup
	;;#ASMEND
.LBB2_2105:                             ;   in Loop: Header=BB2_2065 Depth=1
	s_or_b64 exec, exec, s[22:23]
.LBB2_2106:                             ;   in Loop: Header=BB2_2065 Depth=1
	s_andn2_saveexec_b64 s[20:21], s[20:21]
	s_cbranch_execz .LBB2_2108
; %bb.2107:                             ;   in Loop: Header=BB2_2065 Depth=1
	s_waitcnt vmcnt(0) lgkmcnt(0)
	buffer_wbinvl1_vol
	s_barrier
.LBB2_2108:                             ;   in Loop: Header=BB2_2065 Depth=1
	s_or_b64 exec, exec, s[20:21]
.LBB2_2109:                             ;   in Loop: Header=BB2_2065 Depth=1
	s_or_b64 exec, exec, s[18:19]
	s_trap 2
	ds_read_b32 v0, v0
	v_and_b32_e32 v1, 0x4000, v57
	v_cmp_ne_u32_e32 vcc, 0, v1
	s_and_b64 s[20:21], s[60:61], vcc
	s_and_saveexec_b64 s[18:19], s[20:21]
	s_cbranch_execz .LBB2_2128
; %bb.2110:                             ;   in Loop: Header=BB2_2065 Depth=1
	s_and_saveexec_b64 s[20:21], s[46:47]
	s_xor_b64 s[20:21], exec, s[20:21]
	s_cbranch_execz .LBB2_2125
; %bb.2111:                             ;   in Loop: Header=BB2_2065 Depth=1
	s_and_saveexec_b64 s[22:23], s[12:13]
	s_cbranch_execz .LBB2_2124
; %bb.2112:                             ;   in Loop: Header=BB2_2065 Depth=1
	s_mov_b64 s[26:27], exec
	v_mbcnt_lo_u32_b32 v1, s26, 0
	v_mbcnt_hi_u32_b32 v1, s27, v1
	v_cmp_eq_u32_e32 vcc, 0, v1
	s_waitcnt vmcnt(0) lgkmcnt(0)
	buffer_wbinvl1_vol
	s_and_saveexec_b64 s[24:25], vcc
	s_cbranch_execz .LBB2_2114
; %bb.2113:                             ;   in Loop: Header=BB2_2065 Depth=1
	s_bcnt1_i32_b64 s26, s[26:27]
	v_mov_b32_e32 v34, s26
	ds_add_u64 v0, v[34:35]
	s_trap 2
.LBB2_2114:                             ;   in Loop: Header=BB2_2065 Depth=1
	s_or_b64 exec, exec, s[24:25]
	s_trap 2
	ds_read_b64 v[1:2], v0
	s_waitcnt lgkmcnt(0)
	v_add_co_u32_e32 v26, vcc, v26, v46
	v_addc_co_u32_e32 v27, vcc, 0, v27, vcc
	v_cmp_lt_u64_e32 vcc, v[1:2], v[26:27]
	s_and_saveexec_b64 s[24:25], vcc
	s_cbranch_execz .LBB2_2123
; %bb.2115:                             ;   in Loop: Header=BB2_2065 Depth=1
	s_mov_b32 s34, 0
	s_mov_b64 s[26:27], 0
                                        ; implicit-def: $sgpr90_sgpr91
                                        ; implicit-def: $sgpr92_sgpr93
	s_branch .LBB2_2117
.LBB2_2116:                             ;   in Loop: Header=BB2_2117 Depth=2
	s_or_b64 exec, exec, s[30:31]
	s_and_b64 s[94:95], exec, vcc
	s_or_b64 s[26:27], s[94:95], s[26:27]
	s_andn2_b64 s[90:91], s[90:91], exec
	s_and_b64 s[94:95], s[92:93], exec
	s_or_b64 s[90:91], s[90:91], s[94:95]
	s_andn2_b64 exec, exec, s[26:27]
	s_cbranch_execz .LBB2_2121
.LBB2_2117:                             ;   Parent Loop BB2_2065 Depth=1
                                        ; =>  This Inner Loop Header: Depth=2
	s_add_i32 s34, s34, 1
	s_cmpk_lg_i32 s34, 0x2710
	s_cselect_b64 s[94:95], -1, 0
	s_and_b64 vcc, exec, s[94:95]
	s_cbranch_vccz .LBB2_2119
; %bb.2118:                             ;   in Loop: Header=BB2_2117 Depth=2
	s_mov_b64 vcc, -1
	s_or_b64 s[92:93], s[92:93], exec
	s_and_saveexec_b64 s[30:31], s[94:95]
	s_cbranch_execz .LBB2_2116
	s_branch .LBB2_2120
.LBB2_2119:                             ;   in Loop: Header=BB2_2117 Depth=2
	s_trap 2
	ds_read_b64 v[1:2], v0
	s_andn2_b64 s[94:95], s[94:95], exec
	s_mov_b32 s34, 0
	s_waitcnt lgkmcnt(0)
	flat_load_dword v1, v[1:2] glc
	s_waitcnt vmcnt(0) lgkmcnt(0)
	buffer_wbinvl1_vol
	v_cmp_eq_u32_e32 vcc, 0, v1
	s_and_b64 vcc, vcc, exec
	s_or_b64 s[94:95], s[94:95], vcc
	s_mov_b64 vcc, -1
	s_or_b64 s[92:93], s[92:93], exec
	s_and_saveexec_b64 s[30:31], s[94:95]
	s_cbranch_execz .LBB2_2116
.LBB2_2120:                             ;   in Loop: Header=BB2_2117 Depth=2
	s_sleep 1
	s_trap 2
	ds_read_b64 v[1:2], v0
	s_waitcnt lgkmcnt(0)
	s_andn2_b64 s[92:93], s[92:93], exec
	v_cmp_ge_u64_e32 vcc, v[1:2], v[26:27]
	s_orn2_b64 vcc, vcc, exec
	s_branch .LBB2_2116
.LBB2_2121:                             ;   in Loop: Header=BB2_2065 Depth=1
	s_or_b64 exec, exec, s[26:27]
	s_and_saveexec_b64 s[26:27], s[90:91]
	s_xor_b64 s[26:27], exec, s[26:27]
	s_cbranch_execz .LBB2_2123
; %bb.2122:                             ;   in Loop: Header=BB2_2065 Depth=1
	v_mov_b32_e32 v1, 1
	ds_write_b32 v0, v1
	s_trap 2
.LBB2_2123:                             ;   in Loop: Header=BB2_2065 Depth=1
	s_or_b64 exec, exec, s[24:25]
	;;#ASMSTART
	s_wakeup
	;;#ASMEND
.LBB2_2124:                             ;   in Loop: Header=BB2_2065 Depth=1
	s_or_b64 exec, exec, s[22:23]
.LBB2_2125:                             ;   in Loop: Header=BB2_2065 Depth=1
	s_andn2_saveexec_b64 s[20:21], s[20:21]
	s_cbranch_execz .LBB2_2127
; %bb.2126:                             ;   in Loop: Header=BB2_2065 Depth=1
	s_waitcnt vmcnt(0) lgkmcnt(0)
	buffer_wbinvl1_vol
	s_barrier
.LBB2_2127:                             ;   in Loop: Header=BB2_2065 Depth=1
	s_or_b64 exec, exec, s[20:21]
.LBB2_2128:                             ;   in Loop: Header=BB2_2065 Depth=1
	s_or_b64 exec, exec, s[18:19]
	s_trap 2
	s_waitcnt lgkmcnt(0)
	ds_read_b64 v[16:17], v0
	v_min_u32_e32 v47, v47, v38
	s_waitcnt lgkmcnt(0)
	v_cmp_eq_u64_e32 vcc, 0, v[16:17]
	s_cbranch_vccnz .LBB2_2136
; %bb.2129:                             ;   in Loop: Header=BB2_2065 Depth=1
	s_trap 2
	ds_read_b64 v[14:15], v0
	s_waitcnt lgkmcnt(0)
	v_cmp_eq_u64_e32 vcc, 0, v[14:15]
	s_cbranch_vccnz .LBB2_2136
; %bb.2130:                             ;   in Loop: Header=BB2_2065 Depth=1
	s_trap 2
	ds_read_b64 v[1:2], v0
	s_mov_b64 s[18:19], -1
	s_waitcnt lgkmcnt(0)
	v_readfirstlane_b32 s38, v1
	s_and_saveexec_b64 s[20:21], s[14:15]
	s_cbranch_execz .LBB2_2132
; %bb.2131:                             ;   in Loop: Header=BB2_2065 Depth=1
	ds_read_b32 v1, v0 offset:720
	s_waitcnt lgkmcnt(0)
	v_and_b32_e32 v1, 15, v1
	v_cmp_eq_u32_e32 vcc, 0, v1
	s_orn2_b64 s[18:19], vcc, exec
.LBB2_2132:                             ;   in Loop: Header=BB2_2065 Depth=1
	s_or_b64 exec, exec, s[20:21]
	s_and_saveexec_b64 s[20:21], s[16:17]
	s_cbranch_execz .LBB2_2134
; %bb.2133:                             ;   in Loop: Header=BB2_2065 Depth=1
	ds_read_b32 v1, v0 offset:784
	s_waitcnt lgkmcnt(0)
	v_and_b32_e32 v1, 15, v1
	v_cmp_eq_u32_e32 vcc, 0, v1
	s_and_b64 s[22:23], s[18:19], vcc
	s_andn2_b64 s[18:19], s[18:19], exec
	s_and_b64 s[22:23], s[22:23], exec
	s_or_b64 s[18:19], s[18:19], s[22:23]
.LBB2_2134:                             ;   in Loop: Header=BB2_2065 Depth=1
	s_or_b64 exec, exec, s[20:21]
	buffer_load_dword v1, off, s[0:3], s33 offset:80 ; 4-byte Folded Reload
	s_xor_b64 s[18:19], s[18:19], -1
	v_cmp_eq_u32_e32 vcc, 0, v0
	v_cndmask_b32_e64 v0, 0, 1, s[18:19]
	v_cndmask_b32_e32 v44, 0, v47, vcc
	s_mov_b64 s[20:21], -1
	v_cmp_ne_u32_e32 vcc, 0, v0
	v_mov_b32_e32 v10, 0
	buffer_store_dword v44, off, s[0:3], s33 offset:72 ; 4-byte Folded Spill
	s_cbranch_vccz .LBB2_2137
; %bb.2135:                             ;   in Loop: Header=BB2_2065 Depth=1
	s_and_saveexec_b64 s[24:25], s[20:21]
	s_cbranch_execnz .LBB2_3556
	s_branch .LBB2_3996
.LBB2_2136:                             ;   in Loop: Header=BB2_2065 Depth=1
	s_mov_b64 s[18:19], 0
	s_and_saveexec_b64 s[20:21], s[10:11]
	s_cbranch_execnz .LBB2_3997
	s_branch .LBB2_4015
.LBB2_2137:                             ;   in Loop: Header=BB2_2065 Depth=1
	buffer_load_dword v0, off, s[0:3], s33 offset:96 ; 4-byte Folded Reload
	buffer_load_dword v1, off, s[0:3], s33 offset:80 ; 4-byte Folded Reload
	v_and_b32_e32 v2, 0x3ff, v44
	v_cmp_lt_u32_e64 s[18:19], 15, v2
	s_waitcnt vmcnt(1)
	v_sub_u32_e32 v31, v44, v0
	v_lshrrev_b32_e32 v0, 10, v44
	s_waitcnt vmcnt(0)
	v_lshrrev_b32_e32 v1, 6, v1
	v_sub_u32_e32 v0, v0, v1
	v_addc_co_u32_e64 v20, vcc, 0, v0, s[18:19]
	v_cmp_lt_i32_e32 vcc, 15, v31
	s_and_saveexec_b64 s[90:91], vcc
	s_cbranch_execz .LBB2_2845
; %bb.2138:                             ;   in Loop: Header=BB2_2065 Depth=1
	buffer_store_dword v2, off, s[0:3], s33 offset:72 ; 4-byte Folded Spill
	buffer_store_dword v44, off, s[0:3], s33 offset:104 ; 4-byte Folded Spill
	s_trap 2
	buffer_load_dword v2, off, s[0:3], s33 offset:96 ; 4-byte Folded Reload
	ds_read_b64 v[0:1], v0
	s_bitcmp1_b32 s38, 0
	s_mov_b64 s[92:93], 0
	s_cselect_b64 s[94:95], -1, 0
	s_waitcnt vmcnt(0)
	v_add_co_u32_e32 v52, vcc, v16, v2
	buffer_store_dword v16, off, s[0:3], s33 offset:144 ; 4-byte Folded Spill
	s_nop 0
	buffer_store_dword v17, off, s[0:3], s33 offset:148 ; 4-byte Folded Spill
	v_addc_co_u32_e32 v53, vcc, 0, v17, vcc
	s_waitcnt lgkmcnt(0)
	v_add_co_u32_e32 v54, vcc, v0, v2
	v_addc_co_u32_e32 v55, vcc, 0, v1, vcc
	v_add_co_u32_e32 v39, vcc, v14, v2
	buffer_store_dword v14, off, s[0:3], s33 offset:108 ; 4-byte Folded Spill
	s_nop 0
	buffer_store_dword v15, off, s[0:3], s33 offset:112 ; 4-byte Folded Spill
	v_addc_co_u32_e32 v40, vcc, 0, v15, vcc
	s_branch .LBB2_2140
.LBB2_2139:                             ;   in Loop: Header=BB2_2140 Depth=2
	s_or_b64 exec, exec, s[20:21]
	v_lshl_or_b32 v2, v44, 8, v49
	v_lshlrev_b32_e32 v0, 16, v0
	v_lshlrev_b32_e32 v11, 24, v30
	v_or3_b32 v12, v2, v0, v11
	v_lshl_or_b32 v0, v1, 8, v58
	v_lshlrev_b32_e32 v1, 16, v3
	v_lshlrev_b32_e32 v2, 24, v48
	v_or3_b32 v11, v0, v1, v2
	v_lshlrev_b32_e32 v2, 24, v46
	buffer_load_dword v46, off, s[0:3], s33 offset:68 ; 4-byte Folded Reload
	v_add_co_u32_e32 v52, vcc, v52, v21
	v_lshl_or_b32 v0, v18, 8, v43
	v_lshlrev_b32_e32 v1, 16, v19
	v_addc_co_u32_e32 v53, vcc, 0, v53, vcc
	v_or3_b32 v13, v0, v1, v2
	v_lshlrev_b32_e32 v0, 24, v10
	v_lshlrev_b32_e32 v1, 16, v14
	v_lshl_or_b32 v2, v42, 8, v41
	v_add_co_u32_e32 v54, vcc, v54, v21
	v_or3_b32 v14, v2, v1, v0
	v_addc_co_u32_e32 v55, vcc, 0, v55, vcc
	global_store_dwordx4 v[39:40], v[11:14], off glc slc
	v_add_co_u32_e32 v39, vcc, v39, v21
	v_addc_co_u32_e32 v40, vcc, 0, v40, vcc
	v_sub_u32_e32 v31, v31, v21
	v_cmp_gt_i32_e32 vcc, 16, v31
	s_or_b64 s[92:93], vcc, s[92:93]
	s_waitcnt vmcnt(1)
	v_sub_u32_e32 v20, v20, v46
	s_andn2_b64 exec, exec, s[92:93]
	s_cbranch_execz .LBB2_2844
.LBB2_2140:                             ;   Parent Loop BB2_2065 Depth=1
                                        ; =>  This Inner Loop Header: Depth=2
	global_load_dwordx4 v[10:13], v[52:53], off glc slc
	global_load_dwordx4 v[14:17], v[54:55], off glc slc
	s_mov_b64 s[24:25], -1
	s_waitcnt vmcnt(1)
	v_cmp_ne_u16_sdwa s[22:23], v10, v35 src0_sel:BYTE_0 src1_sel:DWORD
	s_waitcnt vmcnt(0)
	v_and_b32_e32 v0, 7, v14
	v_ffbh_u32_e32 v0, v0
	v_and_b32_e32 v1, 0x7f, v14
	v_min_u32_e32 v0, 32, v0
	v_bfe_u32 v2, v14, 3, 4
	v_cmp_eq_u32_e64 s[20:21], s49, v1
	v_cmp_gt_u32_e32 vcc, 8, v1
	v_subrev_u32_e32 v1, 28, v0
	v_sub_u32_e32 v0, 29, v0
	v_cndmask_b32_e32 v2, v2, v0, vcc
	v_cndmask_b32_e32 v0, 0, v1, vcc
	v_lshlrev_b64 v[0:1], v0, v[14:15]
	v_lshlrev_b32_e32 v1, 24, v14
	v_lshlrev_b32_e32 v0, 20, v0
	v_and_b32_e32 v0, 0x700000, v0
	v_and_b32_e32 v1, 0x80000000, v1
	v_lshl_add_u32 v2, v2, 23, v56
	v_or3_b32 v0, v1, v2, v0
	s_and_b64 vcc, exec, s[94:95]
                                        ; implicit-def: $vgpr1
	s_cbranch_vccz .LBB2_2154
; %bb.2141:                             ;   in Loop: Header=BB2_2140 Depth=2
	v_mov_b32_e32 v1, 0
	s_and_saveexec_b64 s[24:25], s[22:23]
	s_cbranch_execz .LBB2_2147
; %bb.2142:                             ;   in Loop: Header=BB2_2140 Depth=2
	v_cmp_ne_u16_sdwa vcc, v10, s52 src0_sel:BYTE_0 src1_sel:DWORD
	v_bfrev_b32_e32 v1, 1
	s_and_saveexec_b64 s[26:27], vcc
	s_cbranch_execz .LBB2_2146
; %bb.2143:                             ;   in Loop: Header=BB2_2140 Depth=2
	v_and_b32_e32 v2, 0x7f, v10
	v_cmp_ne_u32_e32 vcc, s49, v2
	v_mov_b32_e32 v1, 0x7f800001
	s_and_saveexec_b64 s[30:31], vcc
	s_cbranch_execz .LBB2_2145
; %bb.2144:                             ;   in Loop: Header=BB2_2140 Depth=2
	v_and_b32_e32 v1, 7, v10
	v_ffbh_u32_e32 v1, v1
	v_min_u32_e32 v1, 32, v1
	v_lshrrev_b32_e32 v3, 3, v2
	v_cmp_gt_u32_e32 vcc, 8, v2
	v_subrev_u32_e32 v2, 28, v1
	v_sub_u32_e32 v1, 29, v1
	v_cndmask_b32_e32 v3, v3, v1, vcc
	v_cndmask_b32_e32 v1, 0, v2, vcc
	v_lshlrev_b64 v[1:2], v1, v[10:11]
	v_lshlrev_b32_e32 v2, 24, v10
	v_lshlrev_b32_e32 v1, 20, v1
	v_and_b32_e32 v1, 0x700000, v1
	v_and_b32_e32 v2, 0x80000000, v2
	v_lshl_add_u32 v3, v3, 23, v56
	v_or3_b32 v1, v2, v3, v1
.LBB2_2145:                             ;   in Loop: Header=BB2_2140 Depth=2
	s_or_b64 exec, exec, s[30:31]
.LBB2_2146:                             ;   in Loop: Header=BB2_2140 Depth=2
	s_or_b64 exec, exec, s[26:27]
.LBB2_2147:                             ;   in Loop: Header=BB2_2140 Depth=2
	s_or_b64 exec, exec, s[24:25]
	v_cmp_gt_i16_sdwa s[26:27], v14, s49 src0_sel:BYTE_0 src1_sel:DWORD
	s_mov_b64 s[24:25], 0
	s_and_saveexec_b64 vcc, s[26:27]
	s_xor_b64 s[26:27], exec, vcc
	s_cbranch_execz .LBB2_2796
; %bb.2148:                             ;   in Loop: Header=BB2_2140 Depth=2
	v_cmp_eq_u16_sdwa s[30:31], v14, s52 src0_sel:BYTE_0 src1_sel:DWORD
	s_mov_b64 s[24:25], -1
	s_and_saveexec_b64 vcc, s[30:31]
; %bb.2149:                             ;   in Loop: Header=BB2_2140 Depth=2
	s_xor_b64 s[24:25], exec, -1
; %bb.2150:                             ;   in Loop: Header=BB2_2140 Depth=2
	s_or_b64 exec, exec, vcc
	s_and_b64 s[24:25], s[24:25], exec
	s_or_saveexec_b64 s[26:27], s[26:27]
	v_bfrev_b32_e32 v2, 1
	s_xor_b64 exec, exec, s[26:27]
	s_cbranch_execnz .LBB2_2797
.LBB2_2151:                             ;   in Loop: Header=BB2_2140 Depth=2
	s_or_b64 exec, exec, s[26:27]
	s_and_saveexec_b64 s[26:27], s[24:25]
.LBB2_2152:                             ;   in Loop: Header=BB2_2140 Depth=2
	v_cndmask_b32_e64 v2, v0, v59, s[20:21]
.LBB2_2153:                             ;   in Loop: Header=BB2_2140 Depth=2
	s_or_b64 exec, exec, s[26:27]
	v_max_f32_e32 v2, v2, v2
	v_max_f32_e32 v1, v1, v1
	;; [unrolled: 1-line block ×3, first 2 shown]
	s_mov_b64 s[24:25], 0
.LBB2_2154:                             ;   in Loop: Header=BB2_2140 Depth=2
	s_and_b64 vcc, exec, s[24:25]
	s_cbranch_vccz .LBB2_2168
; %bb.2155:                             ;   in Loop: Header=BB2_2140 Depth=2
	v_mov_b32_e32 v1, 0
	s_and_saveexec_b64 s[24:25], s[22:23]
	s_cbranch_execz .LBB2_2161
; %bb.2156:                             ;   in Loop: Header=BB2_2140 Depth=2
	v_cmp_ne_u16_sdwa s[26:27], v10, s52 src0_sel:BYTE_0 src1_sel:DWORD
	v_bfrev_b32_e32 v1, 1
	s_and_saveexec_b64 s[22:23], s[26:27]
	s_cbranch_execz .LBB2_2160
; %bb.2157:                             ;   in Loop: Header=BB2_2140 Depth=2
	v_and_b32_e32 v2, 0x7f, v10
	v_cmp_ne_u32_e32 vcc, s49, v2
	v_mov_b32_e32 v1, 0x7f800001
	s_and_saveexec_b64 s[26:27], vcc
	s_cbranch_execz .LBB2_2159
; %bb.2158:                             ;   in Loop: Header=BB2_2140 Depth=2
	v_and_b32_e32 v1, 7, v10
	v_ffbh_u32_e32 v1, v1
	v_min_u32_e32 v1, 32, v1
	v_lshrrev_b32_e32 v3, 3, v2
	v_cmp_gt_u32_e32 vcc, 8, v2
	v_subrev_u32_e32 v2, 28, v1
	v_sub_u32_e32 v1, 29, v1
	v_cndmask_b32_e32 v3, v3, v1, vcc
	v_cndmask_b32_e32 v1, 0, v2, vcc
	v_lshlrev_b64 v[1:2], v1, v[10:11]
	v_lshlrev_b32_e32 v2, 24, v10
	v_lshlrev_b32_e32 v1, 20, v1
	v_and_b32_e32 v1, 0x700000, v1
	v_and_b32_e32 v2, 0x80000000, v2
	v_lshl_add_u32 v3, v3, 23, v56
	v_or3_b32 v1, v2, v3, v1
.LBB2_2159:                             ;   in Loop: Header=BB2_2140 Depth=2
	s_or_b64 exec, exec, s[26:27]
.LBB2_2160:                             ;   in Loop: Header=BB2_2140 Depth=2
	s_or_b64 exec, exec, s[22:23]
.LBB2_2161:                             ;   in Loop: Header=BB2_2140 Depth=2
	s_or_b64 exec, exec, s[24:25]
	v_cmp_gt_i16_sdwa s[24:25], v14, s49 src0_sel:BYTE_0 src1_sel:DWORD
	s_mov_b64 s[22:23], 0
	s_and_saveexec_b64 s[26:27], s[24:25]
	s_xor_b64 s[24:25], exec, s[26:27]
	s_cbranch_execz .LBB2_2798
; %bb.2162:                             ;   in Loop: Header=BB2_2140 Depth=2
	v_cmp_eq_u16_sdwa vcc, v14, s52 src0_sel:BYTE_0 src1_sel:DWORD
	s_mov_b64 s[22:23], -1
	s_and_saveexec_b64 s[26:27], vcc
; %bb.2163:                             ;   in Loop: Header=BB2_2140 Depth=2
	s_xor_b64 s[22:23], exec, -1
; %bb.2164:                             ;   in Loop: Header=BB2_2140 Depth=2
	s_or_b64 exec, exec, s[26:27]
	s_and_b64 s[22:23], s[22:23], exec
	s_or_saveexec_b64 s[24:25], s[24:25]
	v_bfrev_b32_e32 v2, 1
	s_xor_b64 exec, exec, s[24:25]
	s_cbranch_execnz .LBB2_2799
.LBB2_2165:                             ;   in Loop: Header=BB2_2140 Depth=2
	s_or_b64 exec, exec, s[24:25]
	s_and_saveexec_b64 s[24:25], s[22:23]
.LBB2_2166:                             ;   in Loop: Header=BB2_2140 Depth=2
	v_cndmask_b32_e64 v2, v0, v59, s[20:21]
.LBB2_2167:                             ;   in Loop: Header=BB2_2140 Depth=2
	s_or_b64 exec, exec, s[24:25]
	v_max_f32_e32 v0, v2, v2
	v_max_f32_e32 v1, v1, v1
	v_min_f32_e32 v1, v1, v0
.LBB2_2168:                             ;   in Loop: Header=BB2_2140 Depth=2
	v_and_b32_e32 v34, 0x7f800000, v1
	v_cmp_ne_u64_e32 vcc, s[62:63], v[34:35]
                                        ; implicit-def: $vgpr58
	s_and_saveexec_b64 s[20:21], vcc
	s_xor_b64 s[22:23], exec, s[20:21]
	s_cbranch_execz .LBB2_2182
; %bb.2169:                             ;   in Loop: Header=BB2_2140 Depth=2
	v_and_b32_e32 v34, 0x7fffffff, v1
	v_cmp_gt_u64_e32 vcc, s[72:73], v[34:35]
	v_and_b32_sdwa v0, v1, s52 dst_sel:DWORD dst_unused:UNUSED_PAD src0_sel:BYTE_3 src1_sel:DWORD
                                        ; implicit-def: $vgpr58
	s_and_saveexec_b64 s[20:21], vcc
	s_xor_b64 s[24:25], exec, s[20:21]
	s_cbranch_execz .LBB2_2179
; %bb.2170:                             ;   in Loop: Header=BB2_2140 Depth=2
	v_mov_b32_e32 v58, 0
	v_cmp_ne_u32_e32 vcc, 0, v1
	s_and_saveexec_b64 s[26:27], vcc
	s_cbranch_execz .LBB2_2178
; %bb.2171:                             ;   in Loop: Header=BB2_2140 Depth=2
	v_and_b32_e32 v2, 0x7fffff, v1
	v_bfe_u32 v1, v1, 23, 8
	v_cmp_gt_u32_e64 s[20:21], s53, v1
	v_sub_u32_e32 v3, 0x79, v1
	v_cmp_eq_u32_e32 vcc, 0, v1
	v_cndmask_b32_e64 v3, 0, v3, s[20:21]
	v_or_b32_e32 v18, 0x800000, v2
	v_cndmask_b32_e32 v3, v3, v60, vcc
	v_cndmask_b32_e32 v34, v18, v2, vcc
	v_add_u32_e32 v2, 20, v3
	v_lshlrev_b64 v[18:19], v2, -1
	v_add_u32_e32 v2, 19, v3
	v_lshlrev_b64 v[48:49], v2, 1
	v_lshrrev_b64 v[41:42], v3, v[34:35]
	v_bfi_b32 v19, v19, 0, 0
	v_bfi_b32 v18, v18, 0, v34
	v_cmp_eq_u64_e64 s[20:21], v[18:19], v[48:49]
	v_mov_b32_e32 v43, v42
	v_mov_b32_e32 v42, v41
	s_and_saveexec_b64 s[30:31], s[20:21]
; %bb.2172:                             ;   in Loop: Header=BB2_2140 Depth=2
	v_bfe_u32 v2, v41, 20, 1
	v_add_co_u32_e64 v2, s[20:21], v41, v2
	v_add_co_u32_e64 v42, s[20:21], -1, v2
; %bb.2173:                             ;   in Loop: Header=BB2_2140 Depth=2
	s_or_b64 exec, exec, s[30:31]
	v_add_u32_e32 v1, 0xffffff81, v1
	v_cndmask_b32_e32 v1, v1, v61, vcc
	v_lshrrev_b32_e32 v2, 23, v41
	v_add3_u32 v3, v3, v1, v2
	v_add_u32_e32 v2, 6, v3
	v_and_b32_e32 v1, 0xfffff, v42
	v_add_u32_e32 v34, v1, v41
	v_cmp_ne_u32_e32 vcc, 0, v2
                                        ; implicit-def: $vgpr41_vgpr42
                                        ; implicit-def: $vgpr1
	s_and_saveexec_b64 s[20:21], vcc
	s_xor_b64 s[20:21], exec, s[20:21]
; %bb.2174:                             ;   in Loop: Header=BB2_2140 Depth=2
	v_cmp_lt_u64_e32 vcc, s[74:75], v[34:35]
	v_add_u32_e32 v1, 7, v3
	v_cndmask_b32_e32 v1, v2, v1, vcc
	v_cndmask_b32_e64 v2, 0, 1, vcc
	v_lshrrev_b64 v[41:42], v2, v[34:35]
; %bb.2175:                             ;   in Loop: Header=BB2_2140 Depth=2
	s_andn2_saveexec_b64 s[20:21], s[20:21]
; %bb.2176:                             ;   in Loop: Header=BB2_2140 Depth=2
	v_mov_b32_e32 v42, v35
	v_bfe_u32 v1, v34, 23, 1
	v_mov_b32_e32 v41, v34
; %bb.2177:                             ;   in Loop: Header=BB2_2140 Depth=2
	s_or_b64 exec, exec, s[20:21]
	v_lshrrev_b64 v[2:3], 20, v[41:42]
	v_cmp_gt_i32_e32 vcc, 16, v1
	v_cndmask_b32_e32 v3, 0, v3, vcc
	v_cndmask_b32_e32 v2, 7, v2, vcc
	v_cmp_eq_u32_e32 vcc, 0, v1
	v_min_i32_e32 v1, 15, v1
	v_cmp_eq_u64_e64 s[20:21], 0, v[2:3]
	v_lshlrev_b32_e32 v1, 3, v1
	v_and_b32_e32 v1, 0xf8, v1
	v_and_or_b32 v1, v2, 7, v1
	s_and_b64 s[20:21], vcc, s[20:21]
	v_cndmask_b32_e64 v1, v1, 0, s[20:21]
	v_or_b32_e32 v58, v1, v0
.LBB2_2178:                             ;   in Loop: Header=BB2_2140 Depth=2
	s_or_b64 exec, exec, s[26:27]
                                        ; implicit-def: $vgpr0
.LBB2_2179:                             ;   in Loop: Header=BB2_2140 Depth=2
	s_andn2_saveexec_b64 s[20:21], s[24:25]
; %bb.2180:                             ;   in Loop: Header=BB2_2140 Depth=2
	v_or_b32_e32 v58, 0x7e, v0
; %bb.2181:                             ;   in Loop: Header=BB2_2140 Depth=2
	s_or_b64 exec, exec, s[20:21]
                                        ; implicit-def: $vgpr1
.LBB2_2182:                             ;   in Loop: Header=BB2_2140 Depth=2
	s_andn2_saveexec_b64 s[20:21], s[22:23]
; %bb.2183:                             ;   in Loop: Header=BB2_2140 Depth=2
	v_or_b32_sdwa v58, v1, s49 dst_sel:DWORD dst_unused:UNUSED_PAD src0_sel:BYTE_3 src1_sel:DWORD
; %bb.2184:                             ;   in Loop: Header=BB2_2140 Depth=2
	s_or_b64 exec, exec, s[20:21]
	v_lshrrev_b16_e32 v34, 8, v14
	v_and_b32_e32 v2, 7, v34
	v_and_b32_e32 v0, 0x7f, v34
	v_cmp_eq_u32_e64 s[20:21], s49, v0
	v_cmp_gt_u32_e32 vcc, 8, v0
	v_ffbh_u32_e32 v0, v2
	v_min_u32_e32 v18, 32, v0
	v_subrev_u32_e32 v0, 28, v18
	v_lshlrev_b64 v[0:1], v0, v[34:35]
	v_bfe_u32 v3, v34, 3, 4
	v_sub_u32_e32 v1, 29, v18
	v_and_b32_e32 v0, 7, v0
	v_cndmask_b32_e32 v1, v3, v1, vcc
	v_cndmask_b32_e32 v0, v2, v0, vcc
	v_lshlrev_b32_e32 v2, 24, v34
	v_lshlrev_b32_e32 v0, 20, v0
	v_and_b32_e32 v2, 0x80000000, v2
	v_lshl_add_u32 v1, v1, 23, v56
	v_lshrrev_b16_e32 v30, 8, v10
	v_or3_b32 v0, v2, v1, v0
	v_cmp_ne_u16_e64 s[22:23], 0, v30
	s_mov_b64 s[24:25], -1
	s_and_b64 vcc, exec, s[94:95]
                                        ; implicit-def: $vgpr3
	s_cbranch_vccz .LBB2_2198
; %bb.2185:                             ;   in Loop: Header=BB2_2140 Depth=2
	v_mov_b32_e32 v1, 0
	s_and_saveexec_b64 s[24:25], s[22:23]
	s_cbranch_execz .LBB2_2191
; %bb.2186:                             ;   in Loop: Header=BB2_2140 Depth=2
	v_cmp_ne_u16_e32 vcc, s52, v30
	v_bfrev_b32_e32 v1, 1
	s_and_saveexec_b64 s[26:27], vcc
	s_cbranch_execz .LBB2_2190
; %bb.2187:                             ;   in Loop: Header=BB2_2140 Depth=2
	v_and_b32_e32 v2, 0x7f, v30
	v_cmp_ne_u32_e32 vcc, s49, v2
	v_mov_b32_e32 v1, 0x7f800001
	s_and_saveexec_b64 s[30:31], vcc
	s_cbranch_execz .LBB2_2189
; %bb.2188:                             ;   in Loop: Header=BB2_2140 Depth=2
	v_and_b32_e32 v3, 7, v30
	v_ffbh_u32_e32 v1, v3
	v_min_u32_e32 v19, 32, v1
	v_subrev_u32_e32 v1, 28, v19
	v_lshrrev_b32_e32 v18, 3, v2
	v_cmp_gt_u32_e32 vcc, 8, v2
	v_lshlrev_b64 v[1:2], v1, v[30:31]
	v_sub_u32_e32 v2, 29, v19
	v_and_b32_e32 v1, 7, v1
	v_cndmask_b32_e32 v2, v18, v2, vcc
	v_cndmask_b32_e32 v1, v3, v1, vcc
	v_lshlrev_b32_e32 v3, 16, v10
	v_lshlrev_b32_e32 v1, 20, v1
	v_and_b32_e32 v3, 0x80000000, v3
	v_lshl_add_u32 v2, v2, 23, v56
	v_or3_b32 v1, v3, v2, v1
.LBB2_2189:                             ;   in Loop: Header=BB2_2140 Depth=2
	s_or_b64 exec, exec, s[30:31]
.LBB2_2190:                             ;   in Loop: Header=BB2_2140 Depth=2
	s_or_b64 exec, exec, s[26:27]
.LBB2_2191:                             ;   in Loop: Header=BB2_2140 Depth=2
	s_or_b64 exec, exec, s[24:25]
	v_cmp_lt_i16_e32 vcc, s49, v34
	s_mov_b64 s[24:25], 0
	s_and_saveexec_b64 s[26:27], vcc
	s_xor_b64 s[26:27], exec, s[26:27]
	s_cbranch_execz .LBB2_2800
; %bb.2192:                             ;   in Loop: Header=BB2_2140 Depth=2
	v_cmp_eq_u16_e32 vcc, s52, v34
	s_mov_b64 s[24:25], -1
	s_and_saveexec_b64 s[30:31], vcc
; %bb.2193:                             ;   in Loop: Header=BB2_2140 Depth=2
	s_xor_b64 s[24:25], exec, -1
; %bb.2194:                             ;   in Loop: Header=BB2_2140 Depth=2
	s_or_b64 exec, exec, s[30:31]
	s_and_b64 s[24:25], s[24:25], exec
	s_or_saveexec_b64 s[26:27], s[26:27]
	v_bfrev_b32_e32 v2, 1
	s_xor_b64 exec, exec, s[26:27]
	s_cbranch_execnz .LBB2_2801
.LBB2_2195:                             ;   in Loop: Header=BB2_2140 Depth=2
	s_or_b64 exec, exec, s[26:27]
	s_and_saveexec_b64 s[26:27], s[24:25]
.LBB2_2196:                             ;   in Loop: Header=BB2_2140 Depth=2
	v_cndmask_b32_e64 v2, v0, v59, s[20:21]
.LBB2_2197:                             ;   in Loop: Header=BB2_2140 Depth=2
	s_or_b64 exec, exec, s[26:27]
	v_max_f32_e32 v2, v2, v2
	v_max_f32_e32 v1, v1, v1
	;; [unrolled: 1-line block ×3, first 2 shown]
	s_mov_b64 s[24:25], 0
.LBB2_2198:                             ;   in Loop: Header=BB2_2140 Depth=2
	s_and_b64 vcc, exec, s[24:25]
	s_cbranch_vccz .LBB2_2212
; %bb.2199:                             ;   in Loop: Header=BB2_2140 Depth=2
	v_mov_b32_e32 v1, 0
	s_and_saveexec_b64 s[24:25], s[22:23]
	s_cbranch_execz .LBB2_2205
; %bb.2200:                             ;   in Loop: Header=BB2_2140 Depth=2
	v_cmp_ne_u16_e32 vcc, s52, v30
	v_bfrev_b32_e32 v1, 1
	s_and_saveexec_b64 s[22:23], vcc
	s_cbranch_execz .LBB2_2204
; %bb.2201:                             ;   in Loop: Header=BB2_2140 Depth=2
	v_and_b32_e32 v2, 0x7f, v30
	v_cmp_ne_u32_e32 vcc, s49, v2
	v_mov_b32_e32 v1, 0x7f800001
	s_and_saveexec_b64 s[26:27], vcc
	s_cbranch_execz .LBB2_2203
; %bb.2202:                             ;   in Loop: Header=BB2_2140 Depth=2
	v_and_b32_e32 v3, 7, v30
	v_ffbh_u32_e32 v1, v3
	v_min_u32_e32 v19, 32, v1
	v_subrev_u32_e32 v1, 28, v19
	v_lshrrev_b32_e32 v18, 3, v2
	v_cmp_gt_u32_e32 vcc, 8, v2
	v_lshlrev_b64 v[1:2], v1, v[30:31]
	v_sub_u32_e32 v2, 29, v19
	v_and_b32_e32 v1, 7, v1
	v_cndmask_b32_e32 v2, v18, v2, vcc
	v_cndmask_b32_e32 v1, v3, v1, vcc
	v_lshlrev_b32_e32 v3, 16, v10
	v_lshlrev_b32_e32 v1, 20, v1
	v_and_b32_e32 v3, 0x80000000, v3
	v_lshl_add_u32 v2, v2, 23, v56
	v_or3_b32 v1, v3, v2, v1
.LBB2_2203:                             ;   in Loop: Header=BB2_2140 Depth=2
	s_or_b64 exec, exec, s[26:27]
.LBB2_2204:                             ;   in Loop: Header=BB2_2140 Depth=2
	s_or_b64 exec, exec, s[22:23]
.LBB2_2205:                             ;   in Loop: Header=BB2_2140 Depth=2
	s_or_b64 exec, exec, s[24:25]
	v_cmp_lt_i16_e32 vcc, s49, v34
	s_mov_b64 s[22:23], 0
	s_and_saveexec_b64 s[24:25], vcc
	s_xor_b64 s[24:25], exec, s[24:25]
	s_cbranch_execz .LBB2_2802
; %bb.2206:                             ;   in Loop: Header=BB2_2140 Depth=2
	v_cmp_eq_u16_e32 vcc, s52, v34
	s_mov_b64 s[22:23], -1
	s_and_saveexec_b64 s[26:27], vcc
; %bb.2207:                             ;   in Loop: Header=BB2_2140 Depth=2
	s_xor_b64 s[22:23], exec, -1
; %bb.2208:                             ;   in Loop: Header=BB2_2140 Depth=2
	s_or_b64 exec, exec, s[26:27]
	s_and_b64 s[22:23], s[22:23], exec
	s_or_saveexec_b64 s[24:25], s[24:25]
	v_bfrev_b32_e32 v2, 1
	s_xor_b64 exec, exec, s[24:25]
	s_cbranch_execnz .LBB2_2803
.LBB2_2209:                             ;   in Loop: Header=BB2_2140 Depth=2
	s_or_b64 exec, exec, s[24:25]
	s_and_saveexec_b64 s[24:25], s[22:23]
.LBB2_2210:                             ;   in Loop: Header=BB2_2140 Depth=2
	v_cndmask_b32_e64 v2, v0, v59, s[20:21]
.LBB2_2211:                             ;   in Loop: Header=BB2_2140 Depth=2
	s_or_b64 exec, exec, s[24:25]
	v_max_f32_e32 v0, v2, v2
	v_max_f32_e32 v1, v1, v1
	v_min_f32_e32 v3, v1, v0
.LBB2_2212:                             ;   in Loop: Header=BB2_2140 Depth=2
	v_and_b32_e32 v34, 0x7f800000, v3
	v_cmp_ne_u64_e32 vcc, s[62:63], v[34:35]
                                        ; implicit-def: $vgpr1
	s_and_saveexec_b64 s[20:21], vcc
	s_xor_b64 s[22:23], exec, s[20:21]
	s_cbranch_execz .LBB2_2226
; %bb.2213:                             ;   in Loop: Header=BB2_2140 Depth=2
	v_and_b32_e32 v34, 0x7fffffff, v3
	v_cmp_gt_u64_e32 vcc, s[72:73], v[34:35]
	v_and_b32_sdwa v0, v3, s52 dst_sel:DWORD dst_unused:UNUSED_PAD src0_sel:BYTE_3 src1_sel:DWORD
                                        ; implicit-def: $vgpr1
	s_and_saveexec_b64 s[20:21], vcc
	s_xor_b64 s[24:25], exec, s[20:21]
	s_cbranch_execz .LBB2_2223
; %bb.2214:                             ;   in Loop: Header=BB2_2140 Depth=2
	v_mov_b32_e32 v1, 0
	v_cmp_ne_u32_e32 vcc, 0, v3
	s_and_saveexec_b64 s[26:27], vcc
	s_cbranch_execz .LBB2_2222
; %bb.2215:                             ;   in Loop: Header=BB2_2140 Depth=2
	v_bfe_u32 v1, v3, 23, 8
	v_and_b32_e32 v2, 0x7fffff, v3
	v_cmp_gt_u32_e64 s[20:21], s53, v1
	v_sub_u32_e32 v3, 0x79, v1
	v_cmp_eq_u32_e32 vcc, 0, v1
	v_cndmask_b32_e64 v3, 0, v3, s[20:21]
	v_or_b32_e32 v18, 0x800000, v2
	v_cndmask_b32_e32 v3, v3, v60, vcc
	v_cndmask_b32_e32 v34, v18, v2, vcc
	v_add_u32_e32 v2, 20, v3
	v_lshlrev_b64 v[18:19], v2, -1
	v_add_u32_e32 v2, 19, v3
	v_lshlrev_b64 v[48:49], v2, 1
	v_lshrrev_b64 v[41:42], v3, v[34:35]
	v_bfi_b32 v19, v19, 0, 0
	v_bfi_b32 v18, v18, 0, v34
	v_cmp_eq_u64_e64 s[20:21], v[18:19], v[48:49]
	v_mov_b32_e32 v43, v42
	v_mov_b32_e32 v42, v41
	s_and_saveexec_b64 s[30:31], s[20:21]
; %bb.2216:                             ;   in Loop: Header=BB2_2140 Depth=2
	v_bfe_u32 v2, v41, 20, 1
	v_add_co_u32_e64 v2, s[20:21], v41, v2
	v_add_co_u32_e64 v42, s[20:21], -1, v2
; %bb.2217:                             ;   in Loop: Header=BB2_2140 Depth=2
	s_or_b64 exec, exec, s[30:31]
	v_add_u32_e32 v1, 0xffffff81, v1
	v_cndmask_b32_e32 v1, v1, v61, vcc
	v_lshrrev_b32_e32 v2, 23, v41
	v_add3_u32 v3, v3, v1, v2
	v_add_u32_e32 v2, 6, v3
	v_and_b32_e32 v1, 0xfffff, v42
	v_add_u32_e32 v34, v1, v41
	v_cmp_ne_u32_e32 vcc, 0, v2
                                        ; implicit-def: $vgpr41_vgpr42
                                        ; implicit-def: $vgpr1
	s_and_saveexec_b64 s[20:21], vcc
	s_xor_b64 s[20:21], exec, s[20:21]
; %bb.2218:                             ;   in Loop: Header=BB2_2140 Depth=2
	v_cmp_lt_u64_e32 vcc, s[74:75], v[34:35]
	v_add_u32_e32 v1, 7, v3
	v_cndmask_b32_e32 v1, v2, v1, vcc
	v_cndmask_b32_e64 v2, 0, 1, vcc
	v_lshrrev_b64 v[41:42], v2, v[34:35]
; %bb.2219:                             ;   in Loop: Header=BB2_2140 Depth=2
	s_andn2_saveexec_b64 s[20:21], s[20:21]
; %bb.2220:                             ;   in Loop: Header=BB2_2140 Depth=2
	v_mov_b32_e32 v42, v35
	v_bfe_u32 v1, v34, 23, 1
	v_mov_b32_e32 v41, v34
; %bb.2221:                             ;   in Loop: Header=BB2_2140 Depth=2
	s_or_b64 exec, exec, s[20:21]
	v_lshrrev_b64 v[2:3], 20, v[41:42]
	v_cmp_gt_i32_e32 vcc, 16, v1
	v_cndmask_b32_e32 v3, 0, v3, vcc
	v_cndmask_b32_e32 v2, 7, v2, vcc
	v_cmp_eq_u32_e32 vcc, 0, v1
	v_min_i32_e32 v1, 15, v1
	v_cmp_eq_u64_e64 s[20:21], 0, v[2:3]
	v_lshlrev_b32_e32 v1, 3, v1
	v_and_b32_e32 v1, 0xf8, v1
	v_and_or_b32 v1, v2, 7, v1
	s_and_b64 s[20:21], vcc, s[20:21]
	v_cndmask_b32_e64 v1, v1, 0, s[20:21]
	v_or_b32_e32 v1, v1, v0
.LBB2_2222:                             ;   in Loop: Header=BB2_2140 Depth=2
	s_or_b64 exec, exec, s[26:27]
                                        ; implicit-def: $vgpr0
.LBB2_2223:                             ;   in Loop: Header=BB2_2140 Depth=2
	s_andn2_saveexec_b64 s[20:21], s[24:25]
; %bb.2224:                             ;   in Loop: Header=BB2_2140 Depth=2
	v_or_b32_e32 v1, 0x7e, v0
; %bb.2225:                             ;   in Loop: Header=BB2_2140 Depth=2
	s_or_b64 exec, exec, s[20:21]
                                        ; implicit-def: $vgpr3
.LBB2_2226:                             ;   in Loop: Header=BB2_2140 Depth=2
	s_andn2_saveexec_b64 s[20:21], s[22:23]
; %bb.2227:                             ;   in Loop: Header=BB2_2140 Depth=2
	v_or_b32_sdwa v1, v3, s49 dst_sel:DWORD dst_unused:UNUSED_PAD src0_sel:BYTE_3 src1_sel:DWORD
; %bb.2228:                             ;   in Loop: Header=BB2_2140 Depth=2
	s_or_b64 exec, exec, s[20:21]
	v_bfe_u32 v0, v14, 16, 3
	v_bfe_u32 v2, v14, 16, 7
	v_cmp_eq_u32_e64 s[20:21], s49, v2
	v_cmp_gt_u32_e32 vcc, 8, v2
	v_ffbh_u32_e32 v2, v0
	v_min_u32_e32 v19, 32, v2
	v_lshrrev_b32_e32 v30, 16, v14
	v_subrev_u32_e32 v2, 28, v19
	v_lshlrev_b64 v[2:3], v2, v[30:31]
	v_bfe_u32 v18, v30, 3, 4
	v_sub_u32_e32 v3, 29, v19
	v_and_b32_e32 v2, 7, v2
	v_cndmask_b32_e32 v3, v18, v3, vcc
	v_cndmask_b32_e32 v0, v0, v2, vcc
	v_lshlrev_b32_e32 v2, 8, v14
	v_lshlrev_b32_e32 v0, 20, v0
	v_and_b32_e32 v2, 0x80000000, v2
	v_lshl_add_u32 v3, v3, 23, v56
	v_lshrrev_b32_e32 v34, 16, v10
	v_or3_b32 v0, v2, v3, v0
	v_cmp_ne_u16_sdwa s[22:23], v34, v35 src0_sel:BYTE_0 src1_sel:DWORD
	s_mov_b64 s[24:25], -1
	s_and_b64 vcc, exec, s[94:95]
                                        ; implicit-def: $vgpr18
	s_cbranch_vccz .LBB2_2242
; %bb.2229:                             ;   in Loop: Header=BB2_2140 Depth=2
	v_mov_b32_e32 v3, 0
	s_and_saveexec_b64 s[24:25], s[22:23]
	s_cbranch_execz .LBB2_2235
; %bb.2230:                             ;   in Loop: Header=BB2_2140 Depth=2
	v_cmp_ne_u16_sdwa vcc, v34, s52 src0_sel:BYTE_0 src1_sel:DWORD
	v_bfrev_b32_e32 v3, 1
	s_and_saveexec_b64 s[26:27], vcc
	s_cbranch_execz .LBB2_2234
; %bb.2231:                             ;   in Loop: Header=BB2_2140 Depth=2
	v_bfe_u32 v2, v10, 16, 7
	v_cmp_ne_u32_e32 vcc, s49, v2
	v_mov_b32_e32 v3, 0x7f800001
	s_and_saveexec_b64 s[30:31], vcc
	s_cbranch_execz .LBB2_2233
; %bb.2232:                             ;   in Loop: Header=BB2_2140 Depth=2
	v_and_b32_e32 v18, 7, v34
	v_lshrrev_b32_e32 v19, 3, v2
	v_cmp_gt_u32_e32 vcc, 8, v2
	v_ffbh_u32_e32 v2, v18
	v_min_u32_e32 v24, 32, v2
	v_subrev_u32_e32 v2, 28, v24
	v_lshlrev_b64 v[2:3], v2, v[34:35]
	v_sub_u32_e32 v3, 29, v24
	v_and_b32_e32 v2, 7, v2
	v_cndmask_b32_e32 v3, v19, v3, vcc
	v_cndmask_b32_e32 v2, v18, v2, vcc
	v_lshlrev_b32_e32 v18, 24, v34
	v_lshlrev_b32_e32 v2, 20, v2
	v_and_b32_e32 v18, 0x80000000, v18
	v_lshl_add_u32 v3, v3, 23, v56
	v_or3_b32 v3, v18, v3, v2
.LBB2_2233:                             ;   in Loop: Header=BB2_2140 Depth=2
	s_or_b64 exec, exec, s[30:31]
.LBB2_2234:                             ;   in Loop: Header=BB2_2140 Depth=2
	s_or_b64 exec, exec, s[26:27]
.LBB2_2235:                             ;   in Loop: Header=BB2_2140 Depth=2
	s_or_b64 exec, exec, s[24:25]
	v_cmp_gt_i16_sdwa s[26:27], v30, s49 src0_sel:BYTE_0 src1_sel:DWORD
	s_mov_b64 s[24:25], 0
	s_and_saveexec_b64 vcc, s[26:27]
	s_xor_b64 s[26:27], exec, vcc
	s_cbranch_execz .LBB2_2804
; %bb.2236:                             ;   in Loop: Header=BB2_2140 Depth=2
	v_cmp_eq_u16_sdwa s[30:31], v30, s52 src0_sel:BYTE_0 src1_sel:DWORD
	s_mov_b64 s[24:25], -1
	s_and_saveexec_b64 vcc, s[30:31]
; %bb.2237:                             ;   in Loop: Header=BB2_2140 Depth=2
	s_xor_b64 s[24:25], exec, -1
; %bb.2238:                             ;   in Loop: Header=BB2_2140 Depth=2
	s_or_b64 exec, exec, vcc
	s_and_b64 s[24:25], s[24:25], exec
	s_or_saveexec_b64 s[26:27], s[26:27]
	v_bfrev_b32_e32 v2, 1
	s_xor_b64 exec, exec, s[26:27]
	s_cbranch_execnz .LBB2_2805
.LBB2_2239:                             ;   in Loop: Header=BB2_2140 Depth=2
	s_or_b64 exec, exec, s[26:27]
	s_and_saveexec_b64 s[26:27], s[24:25]
.LBB2_2240:                             ;   in Loop: Header=BB2_2140 Depth=2
	v_cndmask_b32_e64 v2, v0, v59, s[20:21]
.LBB2_2241:                             ;   in Loop: Header=BB2_2140 Depth=2
	s_or_b64 exec, exec, s[26:27]
	v_max_f32_e32 v2, v2, v2
	v_max_f32_e32 v3, v3, v3
	;; [unrolled: 1-line block ×3, first 2 shown]
	s_mov_b64 s[24:25], 0
.LBB2_2242:                             ;   in Loop: Header=BB2_2140 Depth=2
	s_and_b64 vcc, exec, s[24:25]
	s_cbranch_vccz .LBB2_2256
; %bb.2243:                             ;   in Loop: Header=BB2_2140 Depth=2
	v_mov_b32_e32 v3, 0
	s_and_saveexec_b64 s[24:25], s[22:23]
	s_cbranch_execz .LBB2_2249
; %bb.2244:                             ;   in Loop: Header=BB2_2140 Depth=2
	v_cmp_ne_u16_sdwa s[26:27], v34, s52 src0_sel:BYTE_0 src1_sel:DWORD
	v_bfrev_b32_e32 v3, 1
	s_and_saveexec_b64 s[22:23], s[26:27]
	s_cbranch_execz .LBB2_2248
; %bb.2245:                             ;   in Loop: Header=BB2_2140 Depth=2
	v_bfe_u32 v2, v10, 16, 7
	v_cmp_ne_u32_e32 vcc, s49, v2
	v_mov_b32_e32 v3, 0x7f800001
	s_and_saveexec_b64 s[26:27], vcc
	s_cbranch_execz .LBB2_2247
; %bb.2246:                             ;   in Loop: Header=BB2_2140 Depth=2
	v_and_b32_e32 v18, 7, v34
	v_lshrrev_b32_e32 v19, 3, v2
	v_cmp_gt_u32_e32 vcc, 8, v2
	v_ffbh_u32_e32 v2, v18
	v_min_u32_e32 v24, 32, v2
	v_subrev_u32_e32 v2, 28, v24
	v_lshlrev_b64 v[2:3], v2, v[34:35]
	v_sub_u32_e32 v3, 29, v24
	v_and_b32_e32 v2, 7, v2
	v_cndmask_b32_e32 v3, v19, v3, vcc
	v_cndmask_b32_e32 v2, v18, v2, vcc
	v_lshlrev_b32_e32 v18, 24, v34
	v_lshlrev_b32_e32 v2, 20, v2
	v_and_b32_e32 v18, 0x80000000, v18
	v_lshl_add_u32 v3, v3, 23, v56
	v_or3_b32 v3, v18, v3, v2
.LBB2_2247:                             ;   in Loop: Header=BB2_2140 Depth=2
	s_or_b64 exec, exec, s[26:27]
.LBB2_2248:                             ;   in Loop: Header=BB2_2140 Depth=2
	s_or_b64 exec, exec, s[22:23]
.LBB2_2249:                             ;   in Loop: Header=BB2_2140 Depth=2
	s_or_b64 exec, exec, s[24:25]
	v_cmp_gt_i16_sdwa s[24:25], v30, s49 src0_sel:BYTE_0 src1_sel:DWORD
	s_mov_b64 s[22:23], 0
	s_and_saveexec_b64 s[26:27], s[24:25]
	s_xor_b64 s[24:25], exec, s[26:27]
	s_cbranch_execz .LBB2_2806
; %bb.2250:                             ;   in Loop: Header=BB2_2140 Depth=2
	v_cmp_eq_u16_sdwa vcc, v30, s52 src0_sel:BYTE_0 src1_sel:DWORD
	s_mov_b64 s[22:23], -1
	s_and_saveexec_b64 s[26:27], vcc
; %bb.2251:                             ;   in Loop: Header=BB2_2140 Depth=2
	s_xor_b64 s[22:23], exec, -1
; %bb.2252:                             ;   in Loop: Header=BB2_2140 Depth=2
	s_or_b64 exec, exec, s[26:27]
	s_and_b64 s[22:23], s[22:23], exec
                                        ; implicit-def: $vgpr30
	s_or_saveexec_b64 s[24:25], s[24:25]
	v_bfrev_b32_e32 v2, 1
	s_xor_b64 exec, exec, s[24:25]
	s_cbranch_execnz .LBB2_2807
.LBB2_2253:                             ;   in Loop: Header=BB2_2140 Depth=2
	s_or_b64 exec, exec, s[24:25]
	s_and_saveexec_b64 s[24:25], s[22:23]
.LBB2_2254:                             ;   in Loop: Header=BB2_2140 Depth=2
	v_cndmask_b32_e64 v2, v0, v59, s[20:21]
.LBB2_2255:                             ;   in Loop: Header=BB2_2140 Depth=2
	s_or_b64 exec, exec, s[24:25]
	v_max_f32_e32 v0, v2, v2
	v_max_f32_e32 v2, v3, v3
	v_min_f32_e32 v18, v2, v0
.LBB2_2256:                             ;   in Loop: Header=BB2_2140 Depth=2
	v_and_b32_e32 v34, 0x7f800000, v18
	v_cmp_ne_u64_e32 vcc, s[62:63], v[34:35]
                                        ; implicit-def: $vgpr3
	s_and_saveexec_b64 s[20:21], vcc
	s_xor_b64 s[22:23], exec, s[20:21]
	s_cbranch_execz .LBB2_2270
; %bb.2257:                             ;   in Loop: Header=BB2_2140 Depth=2
	v_and_b32_e32 v34, 0x7fffffff, v18
	v_cmp_gt_u64_e32 vcc, s[72:73], v[34:35]
	v_and_b32_sdwa v0, v18, s52 dst_sel:DWORD dst_unused:UNUSED_PAD src0_sel:BYTE_3 src1_sel:DWORD
                                        ; implicit-def: $vgpr3
	s_and_saveexec_b64 s[20:21], vcc
	s_xor_b64 s[24:25], exec, s[20:21]
	s_cbranch_execz .LBB2_2267
; %bb.2258:                             ;   in Loop: Header=BB2_2140 Depth=2
	v_mov_b32_e32 v3, 0
	v_cmp_ne_u32_e32 vcc, 0, v18
	s_and_saveexec_b64 s[26:27], vcc
	s_cbranch_execz .LBB2_2266
; %bb.2259:                             ;   in Loop: Header=BB2_2140 Depth=2
	v_bfe_u32 v3, v18, 23, 8
	v_and_b32_e32 v2, 0x7fffff, v18
	v_cmp_gt_u32_e64 s[20:21], s53, v3
	v_sub_u32_e32 v18, 0x79, v3
	v_cmp_eq_u32_e32 vcc, 0, v3
	v_cndmask_b32_e64 v18, 0, v18, s[20:21]
	v_or_b32_e32 v19, 0x800000, v2
	v_cndmask_b32_e32 v18, v18, v60, vcc
	v_cndmask_b32_e32 v34, v19, v2, vcc
	v_add_u32_e32 v2, 20, v18
	v_lshlrev_b64 v[48:49], v2, -1
	v_add_u32_e32 v2, 19, v18
	v_lshlrev_b64 v[50:51], v2, 1
	v_lshrrev_b64 v[41:42], v18, v[34:35]
	v_bfi_b32 v49, v49, 0, 0
	v_bfi_b32 v48, v48, 0, v34
	v_cmp_eq_u64_e64 s[20:21], v[48:49], v[50:51]
	v_mov_b32_e32 v43, v42
	v_mov_b32_e32 v42, v41
	s_and_saveexec_b64 s[30:31], s[20:21]
; %bb.2260:                             ;   in Loop: Header=BB2_2140 Depth=2
	v_bfe_u32 v2, v41, 20, 1
	v_add_co_u32_e64 v2, s[20:21], v41, v2
	v_add_co_u32_e64 v42, s[20:21], -1, v2
; %bb.2261:                             ;   in Loop: Header=BB2_2140 Depth=2
	s_or_b64 exec, exec, s[30:31]
	v_add_u32_e32 v2, 0xffffff81, v3
	v_cndmask_b32_e32 v2, v2, v61, vcc
	v_lshrrev_b32_e32 v3, 23, v41
	v_add3_u32 v18, v18, v2, v3
	v_add_u32_e32 v3, 6, v18
	v_and_b32_e32 v2, 0xfffff, v42
	v_add_u32_e32 v34, v2, v41
	v_cmp_ne_u32_e32 vcc, 0, v3
                                        ; implicit-def: $vgpr41_vgpr42
                                        ; implicit-def: $vgpr2
	s_and_saveexec_b64 s[20:21], vcc
	s_xor_b64 s[20:21], exec, s[20:21]
; %bb.2262:                             ;   in Loop: Header=BB2_2140 Depth=2
	v_cmp_lt_u64_e32 vcc, s[74:75], v[34:35]
	v_add_u32_e32 v2, 7, v18
	v_cndmask_b32_e32 v2, v3, v2, vcc
	v_cndmask_b32_e64 v3, 0, 1, vcc
	v_lshrrev_b64 v[41:42], v3, v[34:35]
; %bb.2263:                             ;   in Loop: Header=BB2_2140 Depth=2
	s_andn2_saveexec_b64 s[20:21], s[20:21]
; %bb.2264:                             ;   in Loop: Header=BB2_2140 Depth=2
	v_mov_b32_e32 v42, v35
	v_bfe_u32 v2, v34, 23, 1
	v_mov_b32_e32 v41, v34
; %bb.2265:                             ;   in Loop: Header=BB2_2140 Depth=2
	s_or_b64 exec, exec, s[20:21]
	v_lshrrev_b64 v[18:19], 20, v[41:42]
	v_cmp_gt_i32_e32 vcc, 16, v2
	v_cndmask_b32_e32 v19, 0, v19, vcc
	v_cndmask_b32_e32 v18, 7, v18, vcc
	v_cmp_eq_u32_e32 vcc, 0, v2
	v_min_i32_e32 v2, 15, v2
	v_cmp_eq_u64_e64 s[20:21], 0, v[18:19]
	v_lshlrev_b32_e32 v2, 3, v2
	v_and_b32_e32 v2, 0xf8, v2
	v_and_or_b32 v2, v18, 7, v2
	s_and_b64 s[20:21], vcc, s[20:21]
	v_cndmask_b32_e64 v2, v2, 0, s[20:21]
	v_or_b32_e32 v3, v2, v0
.LBB2_2266:                             ;   in Loop: Header=BB2_2140 Depth=2
	s_or_b64 exec, exec, s[26:27]
                                        ; implicit-def: $vgpr0
.LBB2_2267:                             ;   in Loop: Header=BB2_2140 Depth=2
	s_andn2_saveexec_b64 s[20:21], s[24:25]
; %bb.2268:                             ;   in Loop: Header=BB2_2140 Depth=2
	v_or_b32_e32 v3, 0x7e, v0
; %bb.2269:                             ;   in Loop: Header=BB2_2140 Depth=2
	s_or_b64 exec, exec, s[20:21]
                                        ; implicit-def: $vgpr18
.LBB2_2270:                             ;   in Loop: Header=BB2_2140 Depth=2
	s_andn2_saveexec_b64 s[20:21], s[22:23]
; %bb.2271:                             ;   in Loop: Header=BB2_2140 Depth=2
	v_or_b32_sdwa v3, v18, s49 dst_sel:DWORD dst_unused:UNUSED_PAD src0_sel:BYTE_3 src1_sel:DWORD
; %bb.2272:                             ;   in Loop: Header=BB2_2140 Depth=2
	s_or_b64 exec, exec, s[20:21]
	v_bfe_u32 v2, v14, 24, 3
	v_bfe_u32 v18, v14, 24, 7
	v_cmp_eq_u32_e64 s[24:25], s49, v18
	v_cmp_gt_u32_e32 vcc, 8, v18
	v_ffbh_u32_e32 v18, v2
	v_min_u32_e32 v25, 32, v18
	v_lshrrev_b32_e32 v0, 24, v14
	v_subrev_u32_e32 v18, 28, v25
	v_lshlrev_b64 v[18:19], v18, v[0:1]
	v_bfe_u32 v24, v0, 3, 4
	v_cmp_eq_u32_e64 s[22:23], s52, v0
	v_sub_u32_e32 v0, 29, v25
	v_and_b32_e32 v18, 7, v18
	v_cndmask_b32_e32 v0, v24, v0, vcc
	v_cndmask_b32_e32 v2, v2, v18, vcc
	v_lshlrev_b32_e32 v2, 20, v2
	v_and_b32_e32 v18, 0x80000000, v14
	v_lshl_add_u32 v0, v0, 23, v56
	v_lshrrev_b32_e32 v30, 24, v10
	v_cmp_gt_u32_e64 s[20:21], s57, v14
	v_or3_b32 v0, v18, v0, v2
	v_cmp_lt_u32_e64 s[26:27], s77, v10
	s_mov_b64 s[30:31], -1
	s_and_b64 vcc, exec, s[94:95]
                                        ; implicit-def: $vgpr18
	s_cbranch_vccz .LBB2_2280
; %bb.2273:                             ;   in Loop: Header=BB2_2140 Depth=2
	v_mov_b32_e32 v2, 0
	s_and_saveexec_b64 s[30:31], s[26:27]
	s_cbranch_execz .LBB2_2279
; %bb.2274:                             ;   in Loop: Header=BB2_2140 Depth=2
	v_cmp_ne_u32_e32 vcc, s52, v30
	v_bfrev_b32_e32 v2, 1
	s_and_saveexec_b64 s[34:35], vcc
	s_cbranch_execz .LBB2_2278
; %bb.2275:                             ;   in Loop: Header=BB2_2140 Depth=2
	v_bfe_u32 v18, v10, 24, 7
	v_cmp_ne_u32_e32 vcc, s49, v18
	v_mov_b32_e32 v2, 0x7f800001
	s_and_saveexec_b64 s[36:37], vcc
	s_cbranch_execz .LBB2_2277
; %bb.2276:                             ;   in Loop: Header=BB2_2140 Depth=2
	v_and_b32_e32 v2, 7, v30
	v_lshrrev_b32_e32 v24, 3, v18
	v_cmp_gt_u32_e32 vcc, 8, v18
	v_ffbh_u32_e32 v18, v2
	v_min_u32_e32 v25, 32, v18
	v_subrev_u32_e32 v18, 28, v25
	v_lshlrev_b64 v[18:19], v18, v[30:31]
	v_sub_u32_e32 v19, 29, v25
	v_and_b32_e32 v18, 7, v18
	v_cndmask_b32_e32 v19, v24, v19, vcc
	v_cndmask_b32_e32 v2, v2, v18, vcc
	v_lshlrev_b32_e32 v18, 24, v30
	v_lshlrev_b32_e32 v2, 20, v2
	v_and_b32_e32 v18, 0x80000000, v18
	v_lshl_add_u32 v19, v19, 23, v56
	v_or3_b32 v2, v18, v19, v2
.LBB2_2277:                             ;   in Loop: Header=BB2_2140 Depth=2
	s_or_b64 exec, exec, s[36:37]
.LBB2_2278:                             ;   in Loop: Header=BB2_2140 Depth=2
	s_or_b64 exec, exec, s[34:35]
.LBB2_2279:                             ;   in Loop: Header=BB2_2140 Depth=2
	s_or_b64 exec, exec, s[30:31]
	v_cndmask_b32_e64 v18, v0, v59, s[24:25]
	v_cndmask_b32_e64 v18, v18, v62, s[22:23]
	v_cndmask_b32_e64 v18, v18, 0, s[20:21]
	v_max_f32_e32 v18, v18, v18
	v_max_f32_e32 v2, v2, v2
	;; [unrolled: 1-line block ×3, first 2 shown]
	s_mov_b64 s[30:31], 0
.LBB2_2280:                             ;   in Loop: Header=BB2_2140 Depth=2
	s_and_b64 vcc, exec, s[30:31]
	s_cbranch_vccz .LBB2_2288
; %bb.2281:                             ;   in Loop: Header=BB2_2140 Depth=2
	v_mov_b32_e32 v2, 0
	s_and_saveexec_b64 s[30:31], s[26:27]
	s_cbranch_execz .LBB2_2287
; %bb.2282:                             ;   in Loop: Header=BB2_2140 Depth=2
	v_cmp_ne_u32_e32 vcc, s52, v30
	v_bfrev_b32_e32 v2, 1
	s_and_saveexec_b64 s[26:27], vcc
	s_cbranch_execz .LBB2_2286
; %bb.2283:                             ;   in Loop: Header=BB2_2140 Depth=2
	v_bfe_u32 v18, v10, 24, 7
	v_cmp_ne_u32_e32 vcc, s49, v18
	v_mov_b32_e32 v2, 0x7f800001
	s_and_saveexec_b64 s[34:35], vcc
	s_cbranch_execz .LBB2_2285
; %bb.2284:                             ;   in Loop: Header=BB2_2140 Depth=2
	v_and_b32_e32 v2, 7, v30
	v_lshrrev_b32_e32 v24, 3, v18
	v_cmp_gt_u32_e32 vcc, 8, v18
	v_ffbh_u32_e32 v18, v2
	v_min_u32_e32 v25, 32, v18
	v_subrev_u32_e32 v18, 28, v25
	v_lshlrev_b64 v[18:19], v18, v[30:31]
	v_sub_u32_e32 v19, 29, v25
	v_and_b32_e32 v18, 7, v18
	v_cndmask_b32_e32 v19, v24, v19, vcc
	v_cndmask_b32_e32 v2, v2, v18, vcc
	v_lshlrev_b32_e32 v18, 24, v30
	v_lshlrev_b32_e32 v2, 20, v2
	v_and_b32_e32 v18, 0x80000000, v18
	v_lshl_add_u32 v19, v19, 23, v56
	v_or3_b32 v2, v18, v19, v2
.LBB2_2285:                             ;   in Loop: Header=BB2_2140 Depth=2
	s_or_b64 exec, exec, s[34:35]
.LBB2_2286:                             ;   in Loop: Header=BB2_2140 Depth=2
	s_or_b64 exec, exec, s[26:27]
.LBB2_2287:                             ;   in Loop: Header=BB2_2140 Depth=2
	s_or_b64 exec, exec, s[30:31]
	v_cndmask_b32_e64 v0, v0, v59, s[24:25]
	v_cndmask_b32_e64 v0, v0, v62, s[22:23]
	;; [unrolled: 1-line block ×3, first 2 shown]
	v_max_f32_e32 v0, v0, v0
	v_max_f32_e32 v2, v2, v2
	v_min_f32_e32 v18, v2, v0
.LBB2_2288:                             ;   in Loop: Header=BB2_2140 Depth=2
	v_and_b32_e32 v34, 0x7f800000, v18
	v_cmp_ne_u64_e32 vcc, s[62:63], v[34:35]
                                        ; implicit-def: $vgpr48
	s_and_saveexec_b64 s[20:21], vcc
	s_xor_b64 s[22:23], exec, s[20:21]
	s_cbranch_execz .LBB2_2302
; %bb.2289:                             ;   in Loop: Header=BB2_2140 Depth=2
	v_and_b32_e32 v34, 0x7fffffff, v18
	v_cmp_gt_u64_e32 vcc, s[72:73], v[34:35]
	v_and_b32_sdwa v0, v18, s52 dst_sel:DWORD dst_unused:UNUSED_PAD src0_sel:BYTE_3 src1_sel:DWORD
                                        ; implicit-def: $vgpr48
	s_and_saveexec_b64 s[20:21], vcc
	s_xor_b64 s[24:25], exec, s[20:21]
	s_cbranch_execz .LBB2_2299
; %bb.2290:                             ;   in Loop: Header=BB2_2140 Depth=2
	v_mov_b32_e32 v48, 0
	v_cmp_ne_u32_e32 vcc, 0, v18
	s_and_saveexec_b64 s[26:27], vcc
	s_cbranch_execz .LBB2_2298
; %bb.2291:                             ;   in Loop: Header=BB2_2140 Depth=2
	v_and_b32_e32 v2, 0x7fffff, v18
	v_bfe_u32 v18, v18, 23, 8
	v_cmp_gt_u32_e64 s[20:21], s53, v18
	v_sub_u32_e32 v19, 0x79, v18
	v_cmp_eq_u32_e32 vcc, 0, v18
	v_cndmask_b32_e64 v19, 0, v19, s[20:21]
	v_or_b32_e32 v24, 0x800000, v2
	v_cndmask_b32_e32 v19, v19, v60, vcc
	v_cndmask_b32_e32 v34, v24, v2, vcc
	v_add_u32_e32 v2, 20, v19
	v_lshlrev_b64 v[48:49], v2, -1
	v_add_u32_e32 v2, 19, v19
	v_lshlrev_b64 v[50:51], v2, 1
	v_lshrrev_b64 v[41:42], v19, v[34:35]
	v_bfi_b32 v49, v49, 0, 0
	v_bfi_b32 v48, v48, 0, v34
	v_cmp_eq_u64_e64 s[20:21], v[48:49], v[50:51]
	v_mov_b32_e32 v43, v42
	v_mov_b32_e32 v42, v41
	s_and_saveexec_b64 s[30:31], s[20:21]
; %bb.2292:                             ;   in Loop: Header=BB2_2140 Depth=2
	v_bfe_u32 v2, v41, 20, 1
	v_add_co_u32_e64 v2, s[20:21], v41, v2
	v_add_co_u32_e64 v42, s[20:21], -1, v2
; %bb.2293:                             ;   in Loop: Header=BB2_2140 Depth=2
	s_or_b64 exec, exec, s[30:31]
	v_add_u32_e32 v2, 0xffffff81, v18
	v_cndmask_b32_e32 v2, v2, v61, vcc
	v_lshrrev_b32_e32 v18, 23, v41
	v_add3_u32 v19, v19, v2, v18
	v_add_u32_e32 v18, 6, v19
	v_and_b32_e32 v2, 0xfffff, v42
	v_add_u32_e32 v34, v2, v41
	v_cmp_ne_u32_e32 vcc, 0, v18
                                        ; implicit-def: $vgpr41_vgpr42
                                        ; implicit-def: $vgpr2
	s_and_saveexec_b64 s[20:21], vcc
	s_xor_b64 s[20:21], exec, s[20:21]
; %bb.2294:                             ;   in Loop: Header=BB2_2140 Depth=2
	v_cmp_lt_u64_e32 vcc, s[74:75], v[34:35]
	v_add_u32_e32 v2, 7, v19
	v_cndmask_b32_e32 v2, v18, v2, vcc
	v_cndmask_b32_e64 v18, 0, 1, vcc
	v_lshrrev_b64 v[41:42], v18, v[34:35]
; %bb.2295:                             ;   in Loop: Header=BB2_2140 Depth=2
	s_andn2_saveexec_b64 s[20:21], s[20:21]
; %bb.2296:                             ;   in Loop: Header=BB2_2140 Depth=2
	v_mov_b32_e32 v42, v35
	v_bfe_u32 v2, v34, 23, 1
	v_mov_b32_e32 v41, v34
; %bb.2297:                             ;   in Loop: Header=BB2_2140 Depth=2
	s_or_b64 exec, exec, s[20:21]
	v_lshrrev_b64 v[18:19], 20, v[41:42]
	v_cmp_gt_i32_e32 vcc, 16, v2
	v_cndmask_b32_e32 v19, 0, v19, vcc
	v_cndmask_b32_e32 v18, 7, v18, vcc
	v_cmp_eq_u32_e32 vcc, 0, v2
	v_min_i32_e32 v2, 15, v2
	v_cmp_eq_u64_e64 s[20:21], 0, v[18:19]
	v_lshlrev_b32_e32 v2, 3, v2
	v_and_b32_e32 v2, 0xf8, v2
	v_and_or_b32 v2, v18, 7, v2
	s_and_b64 s[20:21], vcc, s[20:21]
	v_cndmask_b32_e64 v2, v2, 0, s[20:21]
	v_or_b32_e32 v48, v2, v0
.LBB2_2298:                             ;   in Loop: Header=BB2_2140 Depth=2
	s_or_b64 exec, exec, s[26:27]
                                        ; implicit-def: $vgpr0
.LBB2_2299:                             ;   in Loop: Header=BB2_2140 Depth=2
	s_andn2_saveexec_b64 s[20:21], s[24:25]
; %bb.2300:                             ;   in Loop: Header=BB2_2140 Depth=2
	v_or_b32_e32 v48, 0x7e, v0
; %bb.2301:                             ;   in Loop: Header=BB2_2140 Depth=2
	s_or_b64 exec, exec, s[20:21]
                                        ; implicit-def: $vgpr18
.LBB2_2302:                             ;   in Loop: Header=BB2_2140 Depth=2
	s_andn2_saveexec_b64 s[20:21], s[22:23]
; %bb.2303:                             ;   in Loop: Header=BB2_2140 Depth=2
	v_or_b32_sdwa v48, v18, s49 dst_sel:DWORD dst_unused:UNUSED_PAD src0_sel:BYTE_3 src1_sel:DWORD
; %bb.2304:                             ;   in Loop: Header=BB2_2140 Depth=2
	s_or_b64 exec, exec, s[20:21]
	v_and_b32_e32 v0, 7, v15
	v_ffbh_u32_e32 v0, v0
	v_and_b32_e32 v2, 0x7f, v15
	v_min_u32_e32 v0, 32, v0
	v_cmp_eq_u32_e64 s[20:21], s49, v2
	v_cmp_gt_u32_e32 vcc, 8, v2
	v_subrev_u32_e32 v2, 28, v0
	v_mov_b32_e32 v34, v15
	v_bfe_u32 v18, v15, 3, 4
	v_sub_u32_e32 v0, 29, v0
	v_cndmask_b32_e32 v2, 0, v2, vcc
	v_cndmask_b32_e32 v0, v18, v0, vcc
	v_lshlrev_b64 v[18:19], v2, v[34:35]
	v_lshl_add_u32 v0, v0, 23, v56
	v_lshlrev_b32_e32 v2, 20, v18
	v_lshlrev_b32_e32 v18, 24, v15
	v_and_b32_e32 v2, 0x700000, v2
	v_and_b32_e32 v18, 0x80000000, v18
	v_or3_b32 v0, v18, v0, v2
	v_mov_b32_e32 v41, v11
	v_mov_b32_e32 v42, v35
	v_cmp_ne_u16_sdwa s[22:23], v11, v35 src0_sel:BYTE_0 src1_sel:DWORD
	s_mov_b64 s[24:25], -1
	s_and_b64 vcc, exec, s[94:95]
                                        ; implicit-def: $vgpr18
	s_cbranch_vccz .LBB2_2318
; %bb.2305:                             ;   in Loop: Header=BB2_2140 Depth=2
	v_mov_b32_e32 v18, 0
	s_and_saveexec_b64 s[24:25], s[22:23]
	s_cbranch_execz .LBB2_2311
; %bb.2306:                             ;   in Loop: Header=BB2_2140 Depth=2
	v_cmp_ne_u16_sdwa vcc, v11, s52 src0_sel:BYTE_0 src1_sel:DWORD
	v_bfrev_b32_e32 v18, 1
	s_and_saveexec_b64 s[26:27], vcc
	s_cbranch_execz .LBB2_2310
; %bb.2307:                             ;   in Loop: Header=BB2_2140 Depth=2
	v_and_b32_e32 v2, 0x7f, v11
	v_cmp_ne_u32_e32 vcc, s49, v2
	v_mov_b32_e32 v18, 0x7f800001
	s_and_saveexec_b64 s[30:31], vcc
	s_cbranch_execz .LBB2_2309
; %bb.2308:                             ;   in Loop: Header=BB2_2140 Depth=2
	v_and_b32_e32 v18, 7, v11
	v_lshrrev_b32_e32 v19, 3, v2
	v_cmp_gt_u32_e32 vcc, 8, v2
	v_ffbh_u32_e32 v2, v18
	v_min_u32_e32 v2, 32, v2
	v_subrev_u32_e32 v18, 28, v2
	v_sub_u32_e32 v2, 29, v2
	v_cndmask_b32_e32 v18, 0, v18, vcc
	v_cndmask_b32_e32 v2, v19, v2, vcc
	v_lshlrev_b64 v[18:19], v18, v[41:42]
	v_lshlrev_b32_e32 v19, 24, v41
	v_lshlrev_b32_e32 v18, 20, v18
	v_and_b32_e32 v18, 0x700000, v18
	v_and_b32_e32 v19, 0x80000000, v19
	v_lshl_add_u32 v2, v2, 23, v56
	v_or3_b32 v18, v19, v2, v18
.LBB2_2309:                             ;   in Loop: Header=BB2_2140 Depth=2
	s_or_b64 exec, exec, s[30:31]
.LBB2_2310:                             ;   in Loop: Header=BB2_2140 Depth=2
	s_or_b64 exec, exec, s[26:27]
.LBB2_2311:                             ;   in Loop: Header=BB2_2140 Depth=2
	s_or_b64 exec, exec, s[24:25]
	v_cmp_gt_i16_sdwa s[26:27], v15, s49 src0_sel:BYTE_0 src1_sel:DWORD
	s_mov_b64 s[24:25], 0
	s_and_saveexec_b64 vcc, s[26:27]
	s_xor_b64 s[26:27], exec, vcc
	s_cbranch_execz .LBB2_2808
; %bb.2312:                             ;   in Loop: Header=BB2_2140 Depth=2
	v_cmp_eq_u16_sdwa s[30:31], v15, s52 src0_sel:BYTE_0 src1_sel:DWORD
	s_mov_b64 s[24:25], -1
	s_and_saveexec_b64 vcc, s[30:31]
; %bb.2313:                             ;   in Loop: Header=BB2_2140 Depth=2
	s_xor_b64 s[24:25], exec, -1
; %bb.2314:                             ;   in Loop: Header=BB2_2140 Depth=2
	s_or_b64 exec, exec, vcc
	s_and_b64 s[24:25], s[24:25], exec
	s_or_saveexec_b64 s[26:27], s[26:27]
	v_bfrev_b32_e32 v2, 1
	s_xor_b64 exec, exec, s[26:27]
	s_cbranch_execnz .LBB2_2809
.LBB2_2315:                             ;   in Loop: Header=BB2_2140 Depth=2
	s_or_b64 exec, exec, s[26:27]
	s_and_saveexec_b64 s[26:27], s[24:25]
.LBB2_2316:                             ;   in Loop: Header=BB2_2140 Depth=2
	v_cndmask_b32_e64 v2, v0, v59, s[20:21]
.LBB2_2317:                             ;   in Loop: Header=BB2_2140 Depth=2
	s_or_b64 exec, exec, s[26:27]
	v_max_f32_e32 v2, v2, v2
	v_max_f32_e32 v18, v18, v18
	;; [unrolled: 1-line block ×3, first 2 shown]
	s_mov_b64 s[24:25], 0
.LBB2_2318:                             ;   in Loop: Header=BB2_2140 Depth=2
	s_and_b64 vcc, exec, s[24:25]
	s_cbranch_vccz .LBB2_2332
; %bb.2319:                             ;   in Loop: Header=BB2_2140 Depth=2
	v_mov_b32_e32 v18, 0
	s_and_saveexec_b64 s[24:25], s[22:23]
	s_cbranch_execz .LBB2_2325
; %bb.2320:                             ;   in Loop: Header=BB2_2140 Depth=2
	v_cmp_ne_u16_sdwa s[26:27], v11, s52 src0_sel:BYTE_0 src1_sel:DWORD
	v_bfrev_b32_e32 v18, 1
	s_and_saveexec_b64 s[22:23], s[26:27]
	s_cbranch_execz .LBB2_2324
; %bb.2321:                             ;   in Loop: Header=BB2_2140 Depth=2
	v_and_b32_e32 v2, 0x7f, v11
	v_cmp_ne_u32_e32 vcc, s49, v2
	v_mov_b32_e32 v18, 0x7f800001
	s_and_saveexec_b64 s[26:27], vcc
	s_cbranch_execz .LBB2_2323
; %bb.2322:                             ;   in Loop: Header=BB2_2140 Depth=2
	v_and_b32_e32 v18, 7, v11
	v_lshrrev_b32_e32 v19, 3, v2
	v_cmp_gt_u32_e32 vcc, 8, v2
	v_ffbh_u32_e32 v2, v18
	v_min_u32_e32 v2, 32, v2
	v_subrev_u32_e32 v18, 28, v2
	v_sub_u32_e32 v2, 29, v2
	v_cndmask_b32_e32 v18, 0, v18, vcc
	v_cndmask_b32_e32 v2, v19, v2, vcc
	v_lshlrev_b64 v[18:19], v18, v[41:42]
	v_lshlrev_b32_e32 v19, 24, v41
	v_lshlrev_b32_e32 v18, 20, v18
	v_and_b32_e32 v18, 0x700000, v18
	v_and_b32_e32 v19, 0x80000000, v19
	v_lshl_add_u32 v2, v2, 23, v56
	v_or3_b32 v18, v19, v2, v18
.LBB2_2323:                             ;   in Loop: Header=BB2_2140 Depth=2
	s_or_b64 exec, exec, s[26:27]
.LBB2_2324:                             ;   in Loop: Header=BB2_2140 Depth=2
	s_or_b64 exec, exec, s[22:23]
.LBB2_2325:                             ;   in Loop: Header=BB2_2140 Depth=2
	s_or_b64 exec, exec, s[24:25]
	v_cmp_gt_i16_sdwa s[24:25], v15, s49 src0_sel:BYTE_0 src1_sel:DWORD
	s_mov_b64 s[22:23], 0
	s_and_saveexec_b64 s[26:27], s[24:25]
	s_xor_b64 s[24:25], exec, s[26:27]
	s_cbranch_execz .LBB2_2810
; %bb.2326:                             ;   in Loop: Header=BB2_2140 Depth=2
	v_cmp_eq_u16_sdwa vcc, v15, s52 src0_sel:BYTE_0 src1_sel:DWORD
	s_mov_b64 s[22:23], -1
	s_and_saveexec_b64 s[26:27], vcc
; %bb.2327:                             ;   in Loop: Header=BB2_2140 Depth=2
	s_xor_b64 s[22:23], exec, -1
; %bb.2328:                             ;   in Loop: Header=BB2_2140 Depth=2
	s_or_b64 exec, exec, s[26:27]
	s_and_b64 s[22:23], s[22:23], exec
	s_or_saveexec_b64 s[24:25], s[24:25]
	v_bfrev_b32_e32 v2, 1
	s_xor_b64 exec, exec, s[24:25]
	s_cbranch_execnz .LBB2_2811
.LBB2_2329:                             ;   in Loop: Header=BB2_2140 Depth=2
	s_or_b64 exec, exec, s[24:25]
	s_and_saveexec_b64 s[24:25], s[22:23]
.LBB2_2330:                             ;   in Loop: Header=BB2_2140 Depth=2
	v_cndmask_b32_e64 v2, v0, v59, s[20:21]
.LBB2_2331:                             ;   in Loop: Header=BB2_2140 Depth=2
	s_or_b64 exec, exec, s[24:25]
	v_max_f32_e32 v0, v2, v2
	v_max_f32_e32 v2, v18, v18
	v_min_f32_e32 v18, v2, v0
.LBB2_2332:                             ;   in Loop: Header=BB2_2140 Depth=2
	v_and_b32_e32 v49, 0x7f800000, v18
	v_mov_b32_e32 v50, v35
	v_cmp_ne_u64_e32 vcc, s[62:63], v[49:50]
                                        ; implicit-def: $vgpr49
	s_and_saveexec_b64 s[20:21], vcc
	s_xor_b64 s[22:23], exec, s[20:21]
	s_cbranch_execz .LBB2_2346
; %bb.2333:                             ;   in Loop: Header=BB2_2140 Depth=2
	v_and_b32_e32 v49, 0x7fffffff, v18
	v_mov_b32_e32 v50, v35
	v_cmp_gt_u64_e32 vcc, s[72:73], v[49:50]
	v_and_b32_sdwa v0, v18, s52 dst_sel:DWORD dst_unused:UNUSED_PAD src0_sel:BYTE_3 src1_sel:DWORD
                                        ; implicit-def: $vgpr49
	s_and_saveexec_b64 s[20:21], vcc
	s_xor_b64 s[24:25], exec, s[20:21]
	s_cbranch_execz .LBB2_2343
; %bb.2334:                             ;   in Loop: Header=BB2_2140 Depth=2
	v_mov_b32_e32 v49, 0
	v_cmp_ne_u32_e32 vcc, 0, v18
	s_and_saveexec_b64 s[26:27], vcc
	s_cbranch_execz .LBB2_2342
; %bb.2335:                             ;   in Loop: Header=BB2_2140 Depth=2
	v_and_b32_e32 v2, 0x7fffff, v18
	v_bfe_u32 v18, v18, 23, 8
	v_cmp_gt_u32_e64 s[20:21], s53, v18
	v_sub_u32_e32 v19, 0x79, v18
	v_cmp_eq_u32_e32 vcc, 0, v18
	v_cndmask_b32_e64 v19, 0, v19, s[20:21]
	v_or_b32_e32 v24, 0x800000, v2
	v_cndmask_b32_e32 v19, v19, v60, vcc
	v_cndmask_b32_e32 v49, v24, v2, vcc
	v_add_u32_e32 v2, 20, v19
	v_lshlrev_b64 v[42:43], v2, -1
	v_add_u32_e32 v2, 19, v19
	v_lshlrev_b64 v[24:25], v2, 1
	v_mov_b32_e32 v50, v35
	v_bfi_b32 v43, v43, 0, 0
	v_bfi_b32 v42, v42, 0, v49
	v_cmp_eq_u64_e64 s[20:21], v[42:43], v[24:25]
	v_lshrrev_b64 v[42:43], v19, v[49:50]
	v_mov_b32_e32 v44, v43
	v_mov_b32_e32 v43, v42
	s_and_saveexec_b64 s[30:31], s[20:21]
; %bb.2336:                             ;   in Loop: Header=BB2_2140 Depth=2
	v_bfe_u32 v2, v42, 20, 1
	v_add_co_u32_e64 v2, s[20:21], v42, v2
	v_add_co_u32_e64 v43, s[20:21], -1, v2
; %bb.2337:                             ;   in Loop: Header=BB2_2140 Depth=2
	s_or_b64 exec, exec, s[30:31]
	v_add_u32_e32 v2, 0xffffff81, v18
	v_cndmask_b32_e32 v2, v2, v61, vcc
	v_lshrrev_b32_e32 v18, 23, v42
	v_add3_u32 v19, v19, v2, v18
	v_add_u32_e32 v18, 6, v19
	v_and_b32_e32 v2, 0xfffff, v43
	v_add_u32_e32 v42, v2, v42
	v_mov_b32_e32 v43, v35
	v_cmp_ne_u32_e32 vcc, 0, v18
                                        ; implicit-def: $vgpr2
	s_and_saveexec_b64 s[20:21], vcc
	s_xor_b64 s[20:21], exec, s[20:21]
; %bb.2338:                             ;   in Loop: Header=BB2_2140 Depth=2
	v_cmp_lt_u64_e32 vcc, s[74:75], v[42:43]
	v_add_u32_e32 v2, 7, v19
	v_cndmask_b32_e32 v2, v18, v2, vcc
	v_cndmask_b32_e64 v18, 0, 1, vcc
	v_lshrrev_b64 v[42:43], v18, v[42:43]
; %bb.2339:                             ;   in Loop: Header=BB2_2140 Depth=2
	s_andn2_saveexec_b64 s[20:21], s[20:21]
; %bb.2340:                             ;   in Loop: Header=BB2_2140 Depth=2
	v_bfe_u32 v2, v42, 23, 1
; %bb.2341:                             ;   in Loop: Header=BB2_2140 Depth=2
	s_or_b64 exec, exec, s[20:21]
	v_lshrrev_b64 v[18:19], 20, v[42:43]
	v_cmp_gt_i32_e32 vcc, 16, v2
	v_cndmask_b32_e32 v19, 0, v19, vcc
	v_cndmask_b32_e32 v18, 7, v18, vcc
	v_cmp_eq_u32_e32 vcc, 0, v2
	v_min_i32_e32 v2, 15, v2
	v_cmp_eq_u64_e64 s[20:21], 0, v[18:19]
	v_lshlrev_b32_e32 v2, 3, v2
	v_and_b32_e32 v2, 0xf8, v2
	v_and_or_b32 v2, v18, 7, v2
	s_and_b64 s[20:21], vcc, s[20:21]
	v_cndmask_b32_e64 v2, v2, 0, s[20:21]
	v_or_b32_e32 v49, v2, v0
.LBB2_2342:                             ;   in Loop: Header=BB2_2140 Depth=2
	s_or_b64 exec, exec, s[26:27]
                                        ; implicit-def: $vgpr0
.LBB2_2343:                             ;   in Loop: Header=BB2_2140 Depth=2
	s_andn2_saveexec_b64 s[20:21], s[24:25]
; %bb.2344:                             ;   in Loop: Header=BB2_2140 Depth=2
	v_or_b32_e32 v49, 0x7e, v0
; %bb.2345:                             ;   in Loop: Header=BB2_2140 Depth=2
	s_or_b64 exec, exec, s[20:21]
                                        ; implicit-def: $vgpr18
.LBB2_2346:                             ;   in Loop: Header=BB2_2140 Depth=2
	s_andn2_saveexec_b64 s[20:21], s[22:23]
; %bb.2347:                             ;   in Loop: Header=BB2_2140 Depth=2
	v_or_b32_sdwa v49, v18, s49 dst_sel:DWORD dst_unused:UNUSED_PAD src0_sel:BYTE_3 src1_sel:DWORD
; %bb.2348:                             ;   in Loop: Header=BB2_2140 Depth=2
	s_or_b64 exec, exec, s[20:21]
	v_lshrrev_b16_e32 v34, 8, v34
	v_and_b32_e32 v0, 7, v34
	v_and_b32_e32 v2, 0x7f, v34
	v_cmp_eq_u32_e64 s[20:21], s49, v2
	v_cmp_gt_u32_e32 vcc, 8, v2
	v_ffbh_u32_e32 v2, v0
	v_min_u32_e32 v2, 32, v2
	v_subrev_u32_e32 v18, 28, v2
	v_lshlrev_b64 v[18:19], v18, v[34:35]
	v_bfe_u32 v24, v34, 3, 4
	v_sub_u32_e32 v2, 29, v2
	v_and_b32_e32 v18, 7, v18
	v_cndmask_b32_e32 v2, v24, v2, vcc
	v_cndmask_b32_e32 v0, v0, v18, vcc
	v_lshlrev_b32_e32 v18, 24, v34
	v_lshrrev_b16_e32 v30, 8, v41
	v_lshlrev_b32_e32 v0, 20, v0
	v_and_b32_e32 v18, 0x80000000, v18
	v_lshl_add_u32 v2, v2, 23, v56
	v_or3_b32 v0, v18, v2, v0
	v_cmp_ne_u16_e64 s[22:23], 0, v30
	s_mov_b64 s[24:25], -1
	s_and_b64 vcc, exec, s[94:95]
                                        ; implicit-def: $vgpr18
	s_cbranch_vccz .LBB2_2362
; %bb.2349:                             ;   in Loop: Header=BB2_2140 Depth=2
	v_mov_b32_e32 v18, 0
	s_and_saveexec_b64 s[24:25], s[22:23]
	s_cbranch_execz .LBB2_2355
; %bb.2350:                             ;   in Loop: Header=BB2_2140 Depth=2
	v_cmp_ne_u16_e32 vcc, s52, v30
	v_bfrev_b32_e32 v18, 1
	s_and_saveexec_b64 s[26:27], vcc
	s_cbranch_execz .LBB2_2354
; %bb.2351:                             ;   in Loop: Header=BB2_2140 Depth=2
	v_and_b32_e32 v2, 0x7f, v30
	v_cmp_ne_u32_e32 vcc, s49, v2
	v_mov_b32_e32 v18, 0x7f800001
	s_and_saveexec_b64 s[30:31], vcc
	s_cbranch_execz .LBB2_2353
; %bb.2352:                             ;   in Loop: Header=BB2_2140 Depth=2
	v_and_b32_e32 v24, 7, v30
	v_lshrrev_b32_e32 v25, 3, v2
	v_cmp_gt_u32_e32 vcc, 8, v2
	v_ffbh_u32_e32 v2, v24
	v_min_u32_e32 v2, 32, v2
	v_subrev_u32_e32 v18, 28, v2
	v_lshlrev_b64 v[18:19], v18, v[30:31]
	v_sub_u32_e32 v2, 29, v2
	v_and_b32_e32 v18, 7, v18
	v_cndmask_b32_e32 v2, v25, v2, vcc
	v_cndmask_b32_e32 v18, v24, v18, vcc
	v_lshlrev_b32_e32 v19, 16, v41
	v_lshlrev_b32_e32 v18, 20, v18
	v_and_b32_e32 v19, 0x80000000, v19
	v_lshl_add_u32 v2, v2, 23, v56
	v_or3_b32 v18, v19, v2, v18
.LBB2_2353:                             ;   in Loop: Header=BB2_2140 Depth=2
	s_or_b64 exec, exec, s[30:31]
.LBB2_2354:                             ;   in Loop: Header=BB2_2140 Depth=2
	s_or_b64 exec, exec, s[26:27]
.LBB2_2355:                             ;   in Loop: Header=BB2_2140 Depth=2
	s_or_b64 exec, exec, s[24:25]
	v_cmp_lt_i16_e32 vcc, s49, v34
	s_mov_b64 s[24:25], 0
	s_and_saveexec_b64 s[26:27], vcc
	s_xor_b64 s[26:27], exec, s[26:27]
	s_cbranch_execz .LBB2_2812
; %bb.2356:                             ;   in Loop: Header=BB2_2140 Depth=2
	v_cmp_eq_u16_e32 vcc, s52, v34
	s_mov_b64 s[24:25], -1
	s_and_saveexec_b64 s[30:31], vcc
; %bb.2357:                             ;   in Loop: Header=BB2_2140 Depth=2
	s_xor_b64 s[24:25], exec, -1
; %bb.2358:                             ;   in Loop: Header=BB2_2140 Depth=2
	s_or_b64 exec, exec, s[30:31]
	s_and_b64 s[24:25], s[24:25], exec
	s_or_saveexec_b64 s[26:27], s[26:27]
	v_bfrev_b32_e32 v2, 1
	s_xor_b64 exec, exec, s[26:27]
	s_cbranch_execnz .LBB2_2813
.LBB2_2359:                             ;   in Loop: Header=BB2_2140 Depth=2
	s_or_b64 exec, exec, s[26:27]
	s_and_saveexec_b64 s[26:27], s[24:25]
.LBB2_2360:                             ;   in Loop: Header=BB2_2140 Depth=2
	v_cndmask_b32_e64 v2, v0, v59, s[20:21]
.LBB2_2361:                             ;   in Loop: Header=BB2_2140 Depth=2
	s_or_b64 exec, exec, s[26:27]
	v_max_f32_e32 v2, v2, v2
	v_max_f32_e32 v18, v18, v18
	;; [unrolled: 1-line block ×3, first 2 shown]
	s_mov_b64 s[24:25], 0
.LBB2_2362:                             ;   in Loop: Header=BB2_2140 Depth=2
	s_and_b64 vcc, exec, s[24:25]
	s_cbranch_vccz .LBB2_2376
; %bb.2363:                             ;   in Loop: Header=BB2_2140 Depth=2
	v_mov_b32_e32 v18, 0
	s_and_saveexec_b64 s[24:25], s[22:23]
	s_cbranch_execz .LBB2_2369
; %bb.2364:                             ;   in Loop: Header=BB2_2140 Depth=2
	v_cmp_ne_u16_e32 vcc, s52, v30
	v_bfrev_b32_e32 v18, 1
	s_and_saveexec_b64 s[22:23], vcc
	s_cbranch_execz .LBB2_2368
; %bb.2365:                             ;   in Loop: Header=BB2_2140 Depth=2
	v_and_b32_e32 v2, 0x7f, v30
	v_cmp_ne_u32_e32 vcc, s49, v2
	v_mov_b32_e32 v18, 0x7f800001
	s_and_saveexec_b64 s[26:27], vcc
	s_cbranch_execz .LBB2_2367
; %bb.2366:                             ;   in Loop: Header=BB2_2140 Depth=2
	v_and_b32_e32 v24, 7, v30
	v_lshrrev_b32_e32 v25, 3, v2
	v_cmp_gt_u32_e32 vcc, 8, v2
	v_ffbh_u32_e32 v2, v24
	v_min_u32_e32 v2, 32, v2
	v_subrev_u32_e32 v18, 28, v2
	v_lshlrev_b64 v[18:19], v18, v[30:31]
	v_sub_u32_e32 v2, 29, v2
	v_and_b32_e32 v18, 7, v18
	v_cndmask_b32_e32 v2, v25, v2, vcc
	v_cndmask_b32_e32 v18, v24, v18, vcc
	v_lshlrev_b32_e32 v19, 16, v41
	v_lshlrev_b32_e32 v18, 20, v18
	v_and_b32_e32 v19, 0x80000000, v19
	v_lshl_add_u32 v2, v2, 23, v56
	v_or3_b32 v18, v19, v2, v18
.LBB2_2367:                             ;   in Loop: Header=BB2_2140 Depth=2
	s_or_b64 exec, exec, s[26:27]
.LBB2_2368:                             ;   in Loop: Header=BB2_2140 Depth=2
	s_or_b64 exec, exec, s[22:23]
.LBB2_2369:                             ;   in Loop: Header=BB2_2140 Depth=2
	s_or_b64 exec, exec, s[24:25]
	v_cmp_lt_i16_e32 vcc, s49, v34
	s_mov_b64 s[22:23], 0
	s_and_saveexec_b64 s[24:25], vcc
	s_xor_b64 s[24:25], exec, s[24:25]
	s_cbranch_execz .LBB2_2814
; %bb.2370:                             ;   in Loop: Header=BB2_2140 Depth=2
	v_cmp_eq_u16_e32 vcc, s52, v34
	s_mov_b64 s[22:23], -1
	s_and_saveexec_b64 s[26:27], vcc
; %bb.2371:                             ;   in Loop: Header=BB2_2140 Depth=2
	s_xor_b64 s[22:23], exec, -1
; %bb.2372:                             ;   in Loop: Header=BB2_2140 Depth=2
	s_or_b64 exec, exec, s[26:27]
	s_and_b64 s[22:23], s[22:23], exec
	s_or_saveexec_b64 s[24:25], s[24:25]
	v_bfrev_b32_e32 v2, 1
	s_xor_b64 exec, exec, s[24:25]
	s_cbranch_execnz .LBB2_2815
.LBB2_2373:                             ;   in Loop: Header=BB2_2140 Depth=2
	s_or_b64 exec, exec, s[24:25]
	s_and_saveexec_b64 s[24:25], s[22:23]
.LBB2_2374:                             ;   in Loop: Header=BB2_2140 Depth=2
	v_cndmask_b32_e64 v2, v0, v59, s[20:21]
.LBB2_2375:                             ;   in Loop: Header=BB2_2140 Depth=2
	s_or_b64 exec, exec, s[24:25]
	v_max_f32_e32 v0, v2, v2
	v_max_f32_e32 v2, v18, v18
	v_min_f32_e32 v18, v2, v0
.LBB2_2376:                             ;   in Loop: Header=BB2_2140 Depth=2
	v_and_b32_e32 v34, 0x7f800000, v18
	v_cmp_ne_u64_e32 vcc, s[62:63], v[34:35]
                                        ; implicit-def: $vgpr44
	s_and_saveexec_b64 s[20:21], vcc
	s_xor_b64 s[22:23], exec, s[20:21]
	s_cbranch_execz .LBB2_2390
; %bb.2377:                             ;   in Loop: Header=BB2_2140 Depth=2
	v_and_b32_e32 v34, 0x7fffffff, v18
	v_cmp_gt_u64_e32 vcc, s[72:73], v[34:35]
	v_and_b32_sdwa v0, v18, s52 dst_sel:DWORD dst_unused:UNUSED_PAD src0_sel:BYTE_3 src1_sel:DWORD
                                        ; implicit-def: $vgpr44
	s_and_saveexec_b64 s[20:21], vcc
	s_xor_b64 s[24:25], exec, s[20:21]
	s_cbranch_execz .LBB2_2387
; %bb.2378:                             ;   in Loop: Header=BB2_2140 Depth=2
	v_mov_b32_e32 v44, 0
	v_cmp_ne_u32_e32 vcc, 0, v18
	s_and_saveexec_b64 s[26:27], vcc
	s_cbranch_execz .LBB2_2386
; %bb.2379:                             ;   in Loop: Header=BB2_2140 Depth=2
	v_and_b32_e32 v2, 0x7fffff, v18
	v_bfe_u32 v18, v18, 23, 8
	v_cmp_gt_u32_e64 s[20:21], s53, v18
	v_sub_u32_e32 v19, 0x79, v18
	v_cmp_eq_u32_e32 vcc, 0, v18
	v_cndmask_b32_e64 v19, 0, v19, s[20:21]
	v_or_b32_e32 v24, 0x800000, v2
	v_cndmask_b32_e32 v19, v19, v60, vcc
	v_cndmask_b32_e32 v34, v24, v2, vcc
	v_add_u32_e32 v2, 20, v19
	v_lshlrev_b64 v[24:25], v2, -1
	v_add_u32_e32 v2, 19, v19
	v_lshlrev_b64 v[50:51], v2, 1
	v_lshrrev_b64 v[41:42], v19, v[34:35]
	v_bfi_b32 v25, v25, 0, 0
	v_bfi_b32 v24, v24, 0, v34
	v_cmp_eq_u64_e64 s[20:21], v[24:25], v[50:51]
	v_mov_b32_e32 v43, v42
	v_mov_b32_e32 v42, v41
	s_and_saveexec_b64 s[30:31], s[20:21]
; %bb.2380:                             ;   in Loop: Header=BB2_2140 Depth=2
	v_bfe_u32 v2, v41, 20, 1
	v_add_co_u32_e64 v2, s[20:21], v41, v2
	v_add_co_u32_e64 v42, s[20:21], -1, v2
; %bb.2381:                             ;   in Loop: Header=BB2_2140 Depth=2
	s_or_b64 exec, exec, s[30:31]
	v_add_u32_e32 v2, 0xffffff81, v18
	v_cndmask_b32_e32 v2, v2, v61, vcc
	v_lshrrev_b32_e32 v18, 23, v41
	v_add3_u32 v19, v19, v2, v18
	v_add_u32_e32 v18, 6, v19
	v_and_b32_e32 v2, 0xfffff, v42
	v_add_u32_e32 v34, v2, v41
	v_cmp_ne_u32_e32 vcc, 0, v18
                                        ; implicit-def: $vgpr41_vgpr42
                                        ; implicit-def: $vgpr2
	s_and_saveexec_b64 s[20:21], vcc
	s_xor_b64 s[20:21], exec, s[20:21]
; %bb.2382:                             ;   in Loop: Header=BB2_2140 Depth=2
	v_cmp_lt_u64_e32 vcc, s[74:75], v[34:35]
	v_add_u32_e32 v2, 7, v19
	v_cndmask_b32_e32 v2, v18, v2, vcc
	v_cndmask_b32_e64 v18, 0, 1, vcc
	v_lshrrev_b64 v[41:42], v18, v[34:35]
; %bb.2383:                             ;   in Loop: Header=BB2_2140 Depth=2
	s_andn2_saveexec_b64 s[20:21], s[20:21]
; %bb.2384:                             ;   in Loop: Header=BB2_2140 Depth=2
	v_mov_b32_e32 v42, v35
	v_bfe_u32 v2, v34, 23, 1
	v_mov_b32_e32 v41, v34
; %bb.2385:                             ;   in Loop: Header=BB2_2140 Depth=2
	s_or_b64 exec, exec, s[20:21]
	v_lshrrev_b64 v[18:19], 20, v[41:42]
	v_cmp_gt_i32_e32 vcc, 16, v2
	v_cndmask_b32_e32 v19, 0, v19, vcc
	v_cndmask_b32_e32 v18, 7, v18, vcc
	v_cmp_eq_u32_e32 vcc, 0, v2
	v_min_i32_e32 v2, 15, v2
	v_cmp_eq_u64_e64 s[20:21], 0, v[18:19]
	v_lshlrev_b32_e32 v2, 3, v2
	v_and_b32_e32 v2, 0xf8, v2
	v_and_or_b32 v2, v18, 7, v2
	s_and_b64 s[20:21], vcc, s[20:21]
	v_cndmask_b32_e64 v2, v2, 0, s[20:21]
	v_or_b32_e32 v44, v2, v0
.LBB2_2386:                             ;   in Loop: Header=BB2_2140 Depth=2
	s_or_b64 exec, exec, s[26:27]
                                        ; implicit-def: $vgpr0
.LBB2_2387:                             ;   in Loop: Header=BB2_2140 Depth=2
	s_andn2_saveexec_b64 s[20:21], s[24:25]
; %bb.2388:                             ;   in Loop: Header=BB2_2140 Depth=2
	v_or_b32_e32 v44, 0x7e, v0
; %bb.2389:                             ;   in Loop: Header=BB2_2140 Depth=2
	s_or_b64 exec, exec, s[20:21]
                                        ; implicit-def: $vgpr18
.LBB2_2390:                             ;   in Loop: Header=BB2_2140 Depth=2
	s_andn2_saveexec_b64 s[20:21], s[22:23]
; %bb.2391:                             ;   in Loop: Header=BB2_2140 Depth=2
	v_or_b32_sdwa v44, v18, s49 dst_sel:DWORD dst_unused:UNUSED_PAD src0_sel:BYTE_3 src1_sel:DWORD
; %bb.2392:                             ;   in Loop: Header=BB2_2140 Depth=2
	s_or_b64 exec, exec, s[20:21]
	v_bfe_u32 v0, v15, 16, 3
	v_bfe_u32 v2, v15, 16, 7
	v_cmp_eq_u32_e64 s[20:21], s49, v2
	v_cmp_gt_u32_e32 vcc, 8, v2
	v_ffbh_u32_e32 v2, v0
	v_min_u32_e32 v2, 32, v2
	v_lshrrev_b32_e32 v30, 16, v15
	v_subrev_u32_e32 v18, 28, v2
	v_lshlrev_b64 v[18:19], v18, v[30:31]
	v_bfe_u32 v24, v30, 3, 4
	v_sub_u32_e32 v2, 29, v2
	v_and_b32_e32 v18, 7, v18
	v_cndmask_b32_e32 v2, v24, v2, vcc
	v_cndmask_b32_e32 v0, v0, v18, vcc
	v_lshlrev_b32_e32 v18, 8, v15
	v_lshlrev_b32_e32 v0, 20, v0
	v_and_b32_e32 v18, 0x80000000, v18
	v_lshl_add_u32 v2, v2, 23, v56
	v_lshrrev_b32_e32 v34, 16, v11
	v_or3_b32 v0, v18, v2, v0
	v_cmp_ne_u16_sdwa s[22:23], v34, v35 src0_sel:BYTE_0 src1_sel:DWORD
	s_mov_b64 s[24:25], -1
	s_and_b64 vcc, exec, s[94:95]
                                        ; implicit-def: $vgpr19
	s_cbranch_vccz .LBB2_2406
; %bb.2393:                             ;   in Loop: Header=BB2_2140 Depth=2
	v_mov_b32_e32 v18, 0
	s_and_saveexec_b64 s[24:25], s[22:23]
	s_cbranch_execz .LBB2_2399
; %bb.2394:                             ;   in Loop: Header=BB2_2140 Depth=2
	v_cmp_ne_u16_sdwa vcc, v34, s52 src0_sel:BYTE_0 src1_sel:DWORD
	v_bfrev_b32_e32 v18, 1
	s_and_saveexec_b64 s[26:27], vcc
	s_cbranch_execz .LBB2_2398
; %bb.2395:                             ;   in Loop: Header=BB2_2140 Depth=2
	v_bfe_u32 v2, v11, 16, 7
	v_cmp_ne_u32_e32 vcc, s49, v2
	v_mov_b32_e32 v18, 0x7f800001
	s_and_saveexec_b64 s[30:31], vcc
	s_cbranch_execz .LBB2_2397
; %bb.2396:                             ;   in Loop: Header=BB2_2140 Depth=2
	v_and_b32_e32 v24, 7, v34
	v_lshrrev_b32_e32 v25, 3, v2
	v_cmp_gt_u32_e32 vcc, 8, v2
	v_ffbh_u32_e32 v2, v24
	v_min_u32_e32 v2, 32, v2
	v_subrev_u32_e32 v18, 28, v2
	v_lshlrev_b64 v[18:19], v18, v[34:35]
	v_sub_u32_e32 v2, 29, v2
	v_and_b32_e32 v18, 7, v18
	v_cndmask_b32_e32 v2, v25, v2, vcc
	v_cndmask_b32_e32 v18, v24, v18, vcc
	v_lshlrev_b32_e32 v19, 24, v34
	v_lshlrev_b32_e32 v18, 20, v18
	v_and_b32_e32 v19, 0x80000000, v19
	v_lshl_add_u32 v2, v2, 23, v56
	v_or3_b32 v18, v19, v2, v18
.LBB2_2397:                             ;   in Loop: Header=BB2_2140 Depth=2
	s_or_b64 exec, exec, s[30:31]
.LBB2_2398:                             ;   in Loop: Header=BB2_2140 Depth=2
	s_or_b64 exec, exec, s[26:27]
.LBB2_2399:                             ;   in Loop: Header=BB2_2140 Depth=2
	s_or_b64 exec, exec, s[24:25]
	v_cmp_gt_i16_sdwa s[26:27], v30, s49 src0_sel:BYTE_0 src1_sel:DWORD
	s_mov_b64 s[24:25], 0
	s_and_saveexec_b64 vcc, s[26:27]
	s_xor_b64 s[26:27], exec, vcc
	s_cbranch_execz .LBB2_2816
; %bb.2400:                             ;   in Loop: Header=BB2_2140 Depth=2
	v_cmp_eq_u16_sdwa s[30:31], v30, s52 src0_sel:BYTE_0 src1_sel:DWORD
	s_mov_b64 s[24:25], -1
	s_and_saveexec_b64 vcc, s[30:31]
; %bb.2401:                             ;   in Loop: Header=BB2_2140 Depth=2
	s_xor_b64 s[24:25], exec, -1
; %bb.2402:                             ;   in Loop: Header=BB2_2140 Depth=2
	s_or_b64 exec, exec, vcc
	s_and_b64 s[24:25], s[24:25], exec
	s_or_saveexec_b64 s[26:27], s[26:27]
	v_bfrev_b32_e32 v2, 1
	s_xor_b64 exec, exec, s[26:27]
	s_cbranch_execnz .LBB2_2817
.LBB2_2403:                             ;   in Loop: Header=BB2_2140 Depth=2
	s_or_b64 exec, exec, s[26:27]
	s_and_saveexec_b64 s[26:27], s[24:25]
.LBB2_2404:                             ;   in Loop: Header=BB2_2140 Depth=2
	v_cndmask_b32_e64 v2, v0, v59, s[20:21]
.LBB2_2405:                             ;   in Loop: Header=BB2_2140 Depth=2
	s_or_b64 exec, exec, s[26:27]
	v_max_f32_e32 v2, v2, v2
	v_max_f32_e32 v18, v18, v18
	v_max_f32_e32 v19, v18, v2
	s_mov_b64 s[24:25], 0
.LBB2_2406:                             ;   in Loop: Header=BB2_2140 Depth=2
	s_and_b64 vcc, exec, s[24:25]
	s_cbranch_vccz .LBB2_2420
; %bb.2407:                             ;   in Loop: Header=BB2_2140 Depth=2
	v_mov_b32_e32 v18, 0
	s_and_saveexec_b64 s[24:25], s[22:23]
	s_cbranch_execz .LBB2_2413
; %bb.2408:                             ;   in Loop: Header=BB2_2140 Depth=2
	v_cmp_ne_u16_sdwa s[26:27], v34, s52 src0_sel:BYTE_0 src1_sel:DWORD
	v_bfrev_b32_e32 v18, 1
	s_and_saveexec_b64 s[22:23], s[26:27]
	s_cbranch_execz .LBB2_2412
; %bb.2409:                             ;   in Loop: Header=BB2_2140 Depth=2
	v_bfe_u32 v2, v11, 16, 7
	v_cmp_ne_u32_e32 vcc, s49, v2
	v_mov_b32_e32 v18, 0x7f800001
	s_and_saveexec_b64 s[26:27], vcc
	s_cbranch_execz .LBB2_2411
; %bb.2410:                             ;   in Loop: Header=BB2_2140 Depth=2
	v_and_b32_e32 v24, 7, v34
	v_lshrrev_b32_e32 v25, 3, v2
	v_cmp_gt_u32_e32 vcc, 8, v2
	v_ffbh_u32_e32 v2, v24
	v_min_u32_e32 v2, 32, v2
	v_subrev_u32_e32 v18, 28, v2
	v_lshlrev_b64 v[18:19], v18, v[34:35]
	v_sub_u32_e32 v2, 29, v2
	v_and_b32_e32 v18, 7, v18
	v_cndmask_b32_e32 v2, v25, v2, vcc
	v_cndmask_b32_e32 v18, v24, v18, vcc
	v_lshlrev_b32_e32 v19, 24, v34
	v_lshlrev_b32_e32 v18, 20, v18
	v_and_b32_e32 v19, 0x80000000, v19
	v_lshl_add_u32 v2, v2, 23, v56
	v_or3_b32 v18, v19, v2, v18
.LBB2_2411:                             ;   in Loop: Header=BB2_2140 Depth=2
	s_or_b64 exec, exec, s[26:27]
.LBB2_2412:                             ;   in Loop: Header=BB2_2140 Depth=2
	s_or_b64 exec, exec, s[22:23]
.LBB2_2413:                             ;   in Loop: Header=BB2_2140 Depth=2
	s_or_b64 exec, exec, s[24:25]
	v_cmp_gt_i16_sdwa s[24:25], v30, s49 src0_sel:BYTE_0 src1_sel:DWORD
	s_mov_b64 s[22:23], 0
	s_and_saveexec_b64 s[26:27], s[24:25]
	s_xor_b64 s[24:25], exec, s[26:27]
	s_cbranch_execz .LBB2_2818
; %bb.2414:                             ;   in Loop: Header=BB2_2140 Depth=2
	v_cmp_eq_u16_sdwa vcc, v30, s52 src0_sel:BYTE_0 src1_sel:DWORD
	s_mov_b64 s[22:23], -1
	s_and_saveexec_b64 s[26:27], vcc
; %bb.2415:                             ;   in Loop: Header=BB2_2140 Depth=2
	s_xor_b64 s[22:23], exec, -1
; %bb.2416:                             ;   in Loop: Header=BB2_2140 Depth=2
	s_or_b64 exec, exec, s[26:27]
	s_and_b64 s[22:23], s[22:23], exec
                                        ; implicit-def: $vgpr30
	s_or_saveexec_b64 s[24:25], s[24:25]
	v_bfrev_b32_e32 v2, 1
	s_xor_b64 exec, exec, s[24:25]
	s_cbranch_execnz .LBB2_2819
.LBB2_2417:                             ;   in Loop: Header=BB2_2140 Depth=2
	s_or_b64 exec, exec, s[24:25]
	s_and_saveexec_b64 s[24:25], s[22:23]
.LBB2_2418:                             ;   in Loop: Header=BB2_2140 Depth=2
	v_cndmask_b32_e64 v2, v0, v59, s[20:21]
.LBB2_2419:                             ;   in Loop: Header=BB2_2140 Depth=2
	s_or_b64 exec, exec, s[24:25]
	v_max_f32_e32 v0, v2, v2
	v_max_f32_e32 v2, v18, v18
	v_min_f32_e32 v19, v2, v0
.LBB2_2420:                             ;   in Loop: Header=BB2_2140 Depth=2
	v_and_b32_e32 v34, 0x7f800000, v19
	v_cmp_ne_u64_e32 vcc, s[62:63], v[34:35]
                                        ; implicit-def: $vgpr0
	s_and_saveexec_b64 s[20:21], vcc
	s_xor_b64 s[22:23], exec, s[20:21]
	s_cbranch_execz .LBB2_2434
; %bb.2421:                             ;   in Loop: Header=BB2_2140 Depth=2
	v_and_b32_e32 v34, 0x7fffffff, v19
	v_cmp_gt_u64_e32 vcc, s[72:73], v[34:35]
	v_and_b32_sdwa v18, v19, s52 dst_sel:DWORD dst_unused:UNUSED_PAD src0_sel:BYTE_3 src1_sel:DWORD
                                        ; implicit-def: $vgpr0
	s_and_saveexec_b64 s[20:21], vcc
	s_xor_b64 s[24:25], exec, s[20:21]
	s_cbranch_execz .LBB2_2431
; %bb.2422:                             ;   in Loop: Header=BB2_2140 Depth=2
	v_mov_b32_e32 v0, 0
	v_cmp_ne_u32_e32 vcc, 0, v19
	s_and_saveexec_b64 s[26:27], vcc
	s_cbranch_execz .LBB2_2430
; %bb.2423:                             ;   in Loop: Header=BB2_2140 Depth=2
	v_bfe_u32 v0, v19, 23, 8
	v_and_b32_e32 v2, 0x7fffff, v19
	v_cmp_gt_u32_e64 s[20:21], s53, v0
	v_sub_u32_e32 v19, 0x79, v0
	v_cmp_eq_u32_e32 vcc, 0, v0
	v_cndmask_b32_e64 v19, 0, v19, s[20:21]
	v_or_b32_e32 v24, 0x800000, v2
	v_cndmask_b32_e32 v19, v19, v60, vcc
	v_cndmask_b32_e32 v34, v24, v2, vcc
	v_add_u32_e32 v2, 20, v19
	v_lshlrev_b64 v[24:25], v2, -1
	v_add_u32_e32 v2, 19, v19
	v_lshlrev_b64 v[50:51], v2, 1
	v_lshrrev_b64 v[41:42], v19, v[34:35]
	v_bfi_b32 v25, v25, 0, 0
	v_bfi_b32 v24, v24, 0, v34
	v_cmp_eq_u64_e64 s[20:21], v[24:25], v[50:51]
	v_mov_b32_e32 v43, v42
	v_mov_b32_e32 v42, v41
	s_and_saveexec_b64 s[30:31], s[20:21]
; %bb.2424:                             ;   in Loop: Header=BB2_2140 Depth=2
	v_bfe_u32 v2, v41, 20, 1
	v_add_co_u32_e64 v2, s[20:21], v41, v2
	v_add_co_u32_e64 v42, s[20:21], -1, v2
; %bb.2425:                             ;   in Loop: Header=BB2_2140 Depth=2
	s_or_b64 exec, exec, s[30:31]
	v_add_u32_e32 v0, 0xffffff81, v0
	v_cndmask_b32_e32 v0, v0, v61, vcc
	v_lshrrev_b32_e32 v2, 23, v41
	v_add3_u32 v19, v19, v0, v2
	v_add_u32_e32 v2, 6, v19
	v_and_b32_e32 v0, 0xfffff, v42
	v_add_u32_e32 v34, v0, v41
	v_cmp_ne_u32_e32 vcc, 0, v2
                                        ; implicit-def: $vgpr41_vgpr42
                                        ; implicit-def: $vgpr0
	s_and_saveexec_b64 s[20:21], vcc
	s_xor_b64 s[20:21], exec, s[20:21]
; %bb.2426:                             ;   in Loop: Header=BB2_2140 Depth=2
	v_cmp_lt_u64_e32 vcc, s[74:75], v[34:35]
	v_add_u32_e32 v0, 7, v19
	v_cndmask_b32_e32 v0, v2, v0, vcc
	v_cndmask_b32_e64 v2, 0, 1, vcc
	v_lshrrev_b64 v[41:42], v2, v[34:35]
; %bb.2427:                             ;   in Loop: Header=BB2_2140 Depth=2
	s_andn2_saveexec_b64 s[20:21], s[20:21]
; %bb.2428:                             ;   in Loop: Header=BB2_2140 Depth=2
	v_mov_b32_e32 v42, v35
	v_bfe_u32 v0, v34, 23, 1
	v_mov_b32_e32 v41, v34
; %bb.2429:                             ;   in Loop: Header=BB2_2140 Depth=2
	s_or_b64 exec, exec, s[20:21]
	v_lshrrev_b64 v[24:25], 20, v[41:42]
	v_cmp_gt_i32_e32 vcc, 16, v0
	v_cndmask_b32_e32 v25, 0, v25, vcc
	v_cndmask_b32_e32 v24, 7, v24, vcc
	v_cmp_eq_u32_e32 vcc, 0, v0
	v_min_i32_e32 v0, 15, v0
	v_cmp_eq_u64_e64 s[20:21], 0, v[24:25]
	v_lshlrev_b32_e32 v0, 3, v0
	v_and_b32_e32 v0, 0xf8, v0
	v_and_or_b32 v0, v24, 7, v0
	s_and_b64 s[20:21], vcc, s[20:21]
	v_cndmask_b32_e64 v0, v0, 0, s[20:21]
	v_or_b32_e32 v0, v0, v18
.LBB2_2430:                             ;   in Loop: Header=BB2_2140 Depth=2
	s_or_b64 exec, exec, s[26:27]
                                        ; implicit-def: $vgpr18
.LBB2_2431:                             ;   in Loop: Header=BB2_2140 Depth=2
	s_andn2_saveexec_b64 s[20:21], s[24:25]
; %bb.2432:                             ;   in Loop: Header=BB2_2140 Depth=2
	v_or_b32_e32 v0, 0x7e, v18
; %bb.2433:                             ;   in Loop: Header=BB2_2140 Depth=2
	s_or_b64 exec, exec, s[20:21]
                                        ; implicit-def: $vgpr19
.LBB2_2434:                             ;   in Loop: Header=BB2_2140 Depth=2
	s_andn2_saveexec_b64 s[20:21], s[22:23]
; %bb.2435:                             ;   in Loop: Header=BB2_2140 Depth=2
	v_or_b32_sdwa v0, v19, s49 dst_sel:DWORD dst_unused:UNUSED_PAD src0_sel:BYTE_3 src1_sel:DWORD
; %bb.2436:                             ;   in Loop: Header=BB2_2140 Depth=2
	s_or_b64 exec, exec, s[20:21]
	v_cmp_gt_u64_e64 s[20:21], s[56:57], v[14:15]
	v_bfe_u32 v14, v15, 24, 3
	v_bfe_u32 v18, v15, 24, 7
	v_cmp_eq_u32_e64 s[24:25], s49, v18
	v_cmp_gt_u32_e32 vcc, 8, v18
	v_ffbh_u32_e32 v18, v14
	v_min_u32_e32 v25, 32, v18
	v_lshrrev_b32_e32 v2, 24, v15
	v_subrev_u32_e32 v18, 28, v25
	v_lshlrev_b64 v[18:19], v18, v[2:3]
	v_bfe_u32 v24, v2, 3, 4
	v_cmp_eq_u32_e64 s[22:23], s52, v2
	v_sub_u32_e32 v2, 29, v25
	v_and_b32_e32 v18, 7, v18
	v_cndmask_b32_e32 v2, v24, v2, vcc
	v_cndmask_b32_e32 v14, v14, v18, vcc
	v_lshlrev_b32_e32 v14, 20, v14
	v_and_b32_e32 v15, 0x80000000, v15
	v_lshl_add_u32 v2, v2, 23, v56
	v_cmp_lt_u64_e64 s[26:27], s[76:77], v[10:11]
	v_lshrrev_b32_e32 v30, 24, v11
	v_or3_b32 v14, v15, v2, v14
	s_mov_b64 s[30:31], -1
	s_and_b64 vcc, exec, s[94:95]
                                        ; implicit-def: $vgpr10
	s_cbranch_vccz .LBB2_2444
; %bb.2437:                             ;   in Loop: Header=BB2_2140 Depth=2
	v_mov_b32_e32 v2, 0
	s_and_saveexec_b64 s[30:31], s[26:27]
	s_cbranch_execz .LBB2_2443
; %bb.2438:                             ;   in Loop: Header=BB2_2140 Depth=2
	v_cmp_ne_u32_e32 vcc, s52, v30
	v_bfrev_b32_e32 v2, 1
	s_and_saveexec_b64 s[34:35], vcc
	s_cbranch_execz .LBB2_2442
; %bb.2439:                             ;   in Loop: Header=BB2_2140 Depth=2
	v_bfe_u32 v10, v11, 24, 7
	v_cmp_ne_u32_e32 vcc, s49, v10
	v_mov_b32_e32 v2, 0x7f800001
	s_and_saveexec_b64 s[36:37], vcc
	s_cbranch_execz .LBB2_2441
; %bb.2440:                             ;   in Loop: Header=BB2_2140 Depth=2
	v_and_b32_e32 v2, 7, v30
	v_lshrrev_b32_e32 v15, 3, v10
	v_cmp_gt_u32_e32 vcc, 8, v10
	v_ffbh_u32_e32 v10, v2
	v_min_u32_e32 v10, 32, v10
	v_subrev_u32_e32 v18, 28, v10
	v_lshlrev_b64 v[18:19], v18, v[30:31]
	v_sub_u32_e32 v10, 29, v10
	v_and_b32_e32 v18, 7, v18
	v_cndmask_b32_e32 v10, v15, v10, vcc
	v_cndmask_b32_e32 v2, v2, v18, vcc
	v_lshlrev_b32_e32 v15, 24, v30
	v_lshlrev_b32_e32 v2, 20, v2
	v_and_b32_e32 v15, 0x80000000, v15
	v_lshl_add_u32 v10, v10, 23, v56
	v_or3_b32 v2, v15, v10, v2
.LBB2_2441:                             ;   in Loop: Header=BB2_2140 Depth=2
	s_or_b64 exec, exec, s[36:37]
.LBB2_2442:                             ;   in Loop: Header=BB2_2140 Depth=2
	s_or_b64 exec, exec, s[34:35]
.LBB2_2443:                             ;   in Loop: Header=BB2_2140 Depth=2
	s_or_b64 exec, exec, s[30:31]
	v_cndmask_b32_e64 v10, v14, v59, s[24:25]
	v_cndmask_b32_e64 v10, v10, v62, s[22:23]
	;; [unrolled: 1-line block ×3, first 2 shown]
	v_max_f32_e32 v10, v10, v10
	v_max_f32_e32 v2, v2, v2
	v_max_f32_e32 v10, v2, v10
	s_mov_b64 s[30:31], 0
.LBB2_2444:                             ;   in Loop: Header=BB2_2140 Depth=2
	s_and_b64 vcc, exec, s[30:31]
	s_cbranch_vccz .LBB2_2452
; %bb.2445:                             ;   in Loop: Header=BB2_2140 Depth=2
	v_mov_b32_e32 v2, 0
	s_and_saveexec_b64 s[30:31], s[26:27]
	s_cbranch_execz .LBB2_2451
; %bb.2446:                             ;   in Loop: Header=BB2_2140 Depth=2
	v_cmp_ne_u32_e32 vcc, s52, v30
	v_bfrev_b32_e32 v2, 1
	s_and_saveexec_b64 s[26:27], vcc
	s_cbranch_execz .LBB2_2450
; %bb.2447:                             ;   in Loop: Header=BB2_2140 Depth=2
	v_bfe_u32 v10, v11, 24, 7
	v_cmp_ne_u32_e32 vcc, s49, v10
	v_mov_b32_e32 v2, 0x7f800001
	s_and_saveexec_b64 s[34:35], vcc
	s_cbranch_execz .LBB2_2449
; %bb.2448:                             ;   in Loop: Header=BB2_2140 Depth=2
	v_and_b32_e32 v2, 7, v30
	v_lshrrev_b32_e32 v15, 3, v10
	v_cmp_gt_u32_e32 vcc, 8, v10
	v_ffbh_u32_e32 v10, v2
	v_min_u32_e32 v18, 32, v10
	v_subrev_u32_e32 v10, 28, v18
	v_lshlrev_b64 v[10:11], v10, v[30:31]
	v_sub_u32_e32 v11, 29, v18
	v_and_b32_e32 v10, 7, v10
	v_cndmask_b32_e32 v11, v15, v11, vcc
	v_cndmask_b32_e32 v2, v2, v10, vcc
	v_lshlrev_b32_e32 v10, 24, v30
	v_lshlrev_b32_e32 v2, 20, v2
	v_and_b32_e32 v10, 0x80000000, v10
	v_lshl_add_u32 v11, v11, 23, v56
	v_or3_b32 v2, v10, v11, v2
.LBB2_2449:                             ;   in Loop: Header=BB2_2140 Depth=2
	s_or_b64 exec, exec, s[34:35]
.LBB2_2450:                             ;   in Loop: Header=BB2_2140 Depth=2
	s_or_b64 exec, exec, s[26:27]
.LBB2_2451:                             ;   in Loop: Header=BB2_2140 Depth=2
	s_or_b64 exec, exec, s[30:31]
	v_cndmask_b32_e64 v10, v14, v59, s[24:25]
	v_cndmask_b32_e64 v10, v10, v62, s[22:23]
	;; [unrolled: 1-line block ×3, first 2 shown]
	v_max_f32_e32 v10, v10, v10
	v_max_f32_e32 v2, v2, v2
	v_min_f32_e32 v10, v2, v10
.LBB2_2452:                             ;   in Loop: Header=BB2_2140 Depth=2
	v_and_b32_e32 v34, 0x7f800000, v10
	v_cmp_ne_u64_e32 vcc, s[62:63], v[34:35]
                                        ; implicit-def: $vgpr30
	s_and_saveexec_b64 s[20:21], vcc
	s_xor_b64 s[22:23], exec, s[20:21]
	s_cbranch_execz .LBB2_2466
; %bb.2453:                             ;   in Loop: Header=BB2_2140 Depth=2
	v_and_b32_e32 v34, 0x7fffffff, v10
	v_cmp_gt_u64_e32 vcc, s[72:73], v[34:35]
	v_and_b32_sdwa v18, v10, s52 dst_sel:DWORD dst_unused:UNUSED_PAD src0_sel:BYTE_3 src1_sel:DWORD
                                        ; implicit-def: $vgpr30
	s_and_saveexec_b64 s[20:21], vcc
	s_xor_b64 s[24:25], exec, s[20:21]
	s_cbranch_execz .LBB2_2463
; %bb.2454:                             ;   in Loop: Header=BB2_2140 Depth=2
	v_mov_b32_e32 v30, 0
	v_cmp_ne_u32_e32 vcc, 0, v10
	s_and_saveexec_b64 s[26:27], vcc
	s_cbranch_execz .LBB2_2462
; %bb.2455:                             ;   in Loop: Header=BB2_2140 Depth=2
	v_bfe_u32 v19, v10, 23, 8
	v_and_b32_e32 v2, 0x7fffff, v10
	v_cmp_gt_u32_e64 s[20:21], s53, v19
	v_sub_u32_e32 v10, 0x79, v19
	v_cmp_eq_u32_e32 vcc, 0, v19
	v_cndmask_b32_e64 v10, 0, v10, s[20:21]
	v_or_b32_e32 v11, 0x800000, v2
	v_cndmask_b32_e32 v30, v10, v60, vcc
	v_cndmask_b32_e32 v34, v11, v2, vcc
	v_add_u32_e32 v2, 20, v30
	v_lshlrev_b64 v[10:11], v2, -1
	v_add_u32_e32 v2, 19, v30
	v_lshlrev_b64 v[14:15], v2, 1
	v_bfi_b32 v11, v11, 0, 0
	v_bfi_b32 v10, v10, 0, v34
	v_cmp_eq_u64_e64 s[20:21], v[10:11], v[14:15]
	v_lshrrev_b64 v[10:11], v30, v[34:35]
	v_mov_b32_e32 v15, v11
	v_mov_b32_e32 v14, v10
	s_and_saveexec_b64 s[30:31], s[20:21]
; %bb.2456:                             ;   in Loop: Header=BB2_2140 Depth=2
	v_bfe_u32 v2, v10, 20, 1
	v_add_co_u32_e64 v2, s[20:21], v10, v2
	v_add_co_u32_e64 v14, s[20:21], -1, v2
; %bb.2457:                             ;   in Loop: Header=BB2_2140 Depth=2
	s_or_b64 exec, exec, s[30:31]
	v_add_u32_e32 v2, 0xffffff81, v19
	v_cndmask_b32_e32 v2, v2, v61, vcc
	v_lshrrev_b32_e32 v11, 23, v10
	v_add3_u32 v19, v30, v2, v11
	v_add_u32_e32 v15, 6, v19
	v_and_b32_e32 v2, 0xfffff, v14
	v_add_u32_e32 v34, v2, v10
	v_cmp_ne_u32_e32 vcc, 0, v15
                                        ; implicit-def: $vgpr10_vgpr11
                                        ; implicit-def: $vgpr2
	s_and_saveexec_b64 s[20:21], vcc
	s_xor_b64 s[20:21], exec, s[20:21]
; %bb.2458:                             ;   in Loop: Header=BB2_2140 Depth=2
	v_cmp_lt_u64_e32 vcc, s[74:75], v[34:35]
	v_add_u32_e32 v2, 7, v19
	v_cndmask_b32_e64 v10, 0, 1, vcc
	v_cndmask_b32_e32 v2, v15, v2, vcc
	v_lshrrev_b64 v[10:11], v10, v[34:35]
; %bb.2459:                             ;   in Loop: Header=BB2_2140 Depth=2
	s_andn2_saveexec_b64 s[20:21], s[20:21]
; %bb.2460:                             ;   in Loop: Header=BB2_2140 Depth=2
	v_mov_b32_e32 v10, v34
	v_bfe_u32 v2, v34, 23, 1
	v_mov_b32_e32 v11, v35
; %bb.2461:                             ;   in Loop: Header=BB2_2140 Depth=2
	s_or_b64 exec, exec, s[20:21]
	v_lshrrev_b64 v[10:11], 20, v[10:11]
	v_cmp_gt_i32_e32 vcc, 16, v2
	v_cndmask_b32_e32 v11, 0, v11, vcc
	v_cndmask_b32_e32 v10, 7, v10, vcc
	v_cmp_eq_u32_e32 vcc, 0, v2
	v_min_i32_e32 v2, 15, v2
	v_cmp_eq_u64_e64 s[20:21], 0, v[10:11]
	v_lshlrev_b32_e32 v2, 3, v2
	v_and_b32_e32 v2, 0xf8, v2
	v_and_or_b32 v2, v10, 7, v2
	s_and_b64 s[20:21], vcc, s[20:21]
	v_cndmask_b32_e64 v2, v2, 0, s[20:21]
	v_or_b32_e32 v30, v2, v18
.LBB2_2462:                             ;   in Loop: Header=BB2_2140 Depth=2
	s_or_b64 exec, exec, s[26:27]
                                        ; implicit-def: $vgpr18
.LBB2_2463:                             ;   in Loop: Header=BB2_2140 Depth=2
	s_andn2_saveexec_b64 s[20:21], s[24:25]
; %bb.2464:                             ;   in Loop: Header=BB2_2140 Depth=2
	v_or_b32_e32 v30, 0x7e, v18
; %bb.2465:                             ;   in Loop: Header=BB2_2140 Depth=2
	s_or_b64 exec, exec, s[20:21]
                                        ; implicit-def: $vgpr10
.LBB2_2466:                             ;   in Loop: Header=BB2_2140 Depth=2
	s_andn2_saveexec_b64 s[20:21], s[22:23]
; %bb.2467:                             ;   in Loop: Header=BB2_2140 Depth=2
	v_or_b32_sdwa v30, v10, s49 dst_sel:DWORD dst_unused:UNUSED_PAD src0_sel:BYTE_3 src1_sel:DWORD
; %bb.2468:                             ;   in Loop: Header=BB2_2140 Depth=2
	s_or_b64 exec, exec, s[20:21]
	v_and_b32_e32 v2, 7, v16
	v_ffbh_u32_e32 v2, v2
	v_and_b32_e32 v10, 0x7f, v16
	v_min_u32_e32 v2, 32, v2
	v_cmp_eq_u32_e64 s[20:21], s49, v10
	v_cmp_gt_u32_e32 vcc, 8, v10
	v_subrev_u32_e32 v10, 28, v2
	v_bfe_u32 v11, v16, 3, 4
	v_sub_u32_e32 v2, 29, v2
	v_cndmask_b32_e32 v10, 0, v10, vcc
	v_cndmask_b32_e32 v2, v11, v2, vcc
	v_lshlrev_b64 v[10:11], v10, v[16:17]
	v_lshlrev_b32_e32 v11, 24, v16
	v_lshlrev_b32_e32 v10, 20, v10
	v_and_b32_e32 v10, 0x700000, v10
	v_and_b32_e32 v11, 0x80000000, v11
	v_lshl_add_u32 v2, v2, 23, v56
	v_or3_b32 v10, v11, v2, v10
	v_cmp_ne_u16_sdwa s[22:23], v12, v35 src0_sel:BYTE_0 src1_sel:DWORD
	s_mov_b64 s[24:25], -1
	s_and_b64 vcc, exec, s[94:95]
                                        ; implicit-def: $vgpr11
	s_cbranch_vccz .LBB2_2482
; %bb.2469:                             ;   in Loop: Header=BB2_2140 Depth=2
	v_mov_b32_e32 v11, 0
	s_and_saveexec_b64 s[24:25], s[22:23]
	s_cbranch_execz .LBB2_2475
; %bb.2470:                             ;   in Loop: Header=BB2_2140 Depth=2
	v_cmp_ne_u16_sdwa vcc, v12, s52 src0_sel:BYTE_0 src1_sel:DWORD
	v_bfrev_b32_e32 v11, 1
	s_and_saveexec_b64 s[26:27], vcc
	s_cbranch_execz .LBB2_2474
; %bb.2471:                             ;   in Loop: Header=BB2_2140 Depth=2
	v_and_b32_e32 v2, 0x7f, v12
	v_cmp_ne_u32_e32 vcc, s49, v2
	v_mov_b32_e32 v11, 0x7f800001
	s_and_saveexec_b64 s[30:31], vcc
	s_cbranch_execz .LBB2_2473
; %bb.2472:                             ;   in Loop: Header=BB2_2140 Depth=2
	v_and_b32_e32 v11, 7, v12
	v_lshrrev_b32_e32 v14, 3, v2
	v_cmp_gt_u32_e32 vcc, 8, v2
	v_ffbh_u32_e32 v2, v11
	v_min_u32_e32 v2, 32, v2
	v_subrev_u32_e32 v11, 28, v2
	v_sub_u32_e32 v2, 29, v2
	v_cndmask_b32_e32 v11, 0, v11, vcc
	v_cndmask_b32_e32 v2, v14, v2, vcc
	v_lshlrev_b64 v[14:15], v11, v[12:13]
	v_lshl_add_u32 v2, v2, 23, v56
	v_lshlrev_b32_e32 v11, 20, v14
	v_lshlrev_b32_e32 v14, 24, v12
	v_and_b32_e32 v11, 0x700000, v11
	v_and_b32_e32 v14, 0x80000000, v14
	v_or3_b32 v11, v14, v2, v11
.LBB2_2473:                             ;   in Loop: Header=BB2_2140 Depth=2
	s_or_b64 exec, exec, s[30:31]
.LBB2_2474:                             ;   in Loop: Header=BB2_2140 Depth=2
	s_or_b64 exec, exec, s[26:27]
.LBB2_2475:                             ;   in Loop: Header=BB2_2140 Depth=2
	s_or_b64 exec, exec, s[24:25]
	v_cmp_gt_i16_sdwa s[26:27], v16, s49 src0_sel:BYTE_0 src1_sel:DWORD
	s_mov_b64 s[24:25], 0
	s_and_saveexec_b64 vcc, s[26:27]
	s_xor_b64 s[26:27], exec, vcc
	s_cbranch_execz .LBB2_2820
; %bb.2476:                             ;   in Loop: Header=BB2_2140 Depth=2
	v_cmp_eq_u16_sdwa s[30:31], v16, s52 src0_sel:BYTE_0 src1_sel:DWORD
	s_mov_b64 s[24:25], -1
	s_and_saveexec_b64 vcc, s[30:31]
; %bb.2477:                             ;   in Loop: Header=BB2_2140 Depth=2
	s_xor_b64 s[24:25], exec, -1
; %bb.2478:                             ;   in Loop: Header=BB2_2140 Depth=2
	s_or_b64 exec, exec, vcc
	s_and_b64 s[24:25], s[24:25], exec
	s_or_saveexec_b64 s[26:27], s[26:27]
	v_bfrev_b32_e32 v2, 1
	s_xor_b64 exec, exec, s[26:27]
	s_cbranch_execnz .LBB2_2821
.LBB2_2479:                             ;   in Loop: Header=BB2_2140 Depth=2
	s_or_b64 exec, exec, s[26:27]
	s_and_saveexec_b64 s[26:27], s[24:25]
.LBB2_2480:                             ;   in Loop: Header=BB2_2140 Depth=2
	v_cndmask_b32_e64 v2, v10, v59, s[20:21]
.LBB2_2481:                             ;   in Loop: Header=BB2_2140 Depth=2
	s_or_b64 exec, exec, s[26:27]
	v_max_f32_e32 v2, v2, v2
	v_max_f32_e32 v11, v11, v11
	;; [unrolled: 1-line block ×3, first 2 shown]
	s_mov_b64 s[24:25], 0
.LBB2_2482:                             ;   in Loop: Header=BB2_2140 Depth=2
	s_and_b64 vcc, exec, s[24:25]
	s_cbranch_vccz .LBB2_2496
; %bb.2483:                             ;   in Loop: Header=BB2_2140 Depth=2
	v_mov_b32_e32 v11, 0
	s_and_saveexec_b64 s[24:25], s[22:23]
	s_cbranch_execz .LBB2_2489
; %bb.2484:                             ;   in Loop: Header=BB2_2140 Depth=2
	v_cmp_ne_u16_sdwa s[26:27], v12, s52 src0_sel:BYTE_0 src1_sel:DWORD
	v_bfrev_b32_e32 v11, 1
	s_and_saveexec_b64 s[22:23], s[26:27]
	s_cbranch_execz .LBB2_2488
; %bb.2485:                             ;   in Loop: Header=BB2_2140 Depth=2
	v_and_b32_e32 v2, 0x7f, v12
	v_cmp_ne_u32_e32 vcc, s49, v2
	v_mov_b32_e32 v11, 0x7f800001
	s_and_saveexec_b64 s[26:27], vcc
	s_cbranch_execz .LBB2_2487
; %bb.2486:                             ;   in Loop: Header=BB2_2140 Depth=2
	v_and_b32_e32 v11, 7, v12
	v_lshrrev_b32_e32 v14, 3, v2
	v_cmp_gt_u32_e32 vcc, 8, v2
	v_ffbh_u32_e32 v2, v11
	v_min_u32_e32 v2, 32, v2
	v_subrev_u32_e32 v11, 28, v2
	v_sub_u32_e32 v2, 29, v2
	v_cndmask_b32_e32 v11, 0, v11, vcc
	v_cndmask_b32_e32 v2, v14, v2, vcc
	v_lshlrev_b64 v[14:15], v11, v[12:13]
	v_lshl_add_u32 v2, v2, 23, v56
	v_lshlrev_b32_e32 v11, 20, v14
	v_lshlrev_b32_e32 v14, 24, v12
	v_and_b32_e32 v11, 0x700000, v11
	v_and_b32_e32 v14, 0x80000000, v14
	v_or3_b32 v11, v14, v2, v11
.LBB2_2487:                             ;   in Loop: Header=BB2_2140 Depth=2
	s_or_b64 exec, exec, s[26:27]
.LBB2_2488:                             ;   in Loop: Header=BB2_2140 Depth=2
	s_or_b64 exec, exec, s[22:23]
.LBB2_2489:                             ;   in Loop: Header=BB2_2140 Depth=2
	s_or_b64 exec, exec, s[24:25]
	v_cmp_gt_i16_sdwa s[24:25], v16, s49 src0_sel:BYTE_0 src1_sel:DWORD
	s_mov_b64 s[22:23], 0
	s_and_saveexec_b64 s[26:27], s[24:25]
	s_xor_b64 s[24:25], exec, s[26:27]
	s_cbranch_execz .LBB2_2822
; %bb.2490:                             ;   in Loop: Header=BB2_2140 Depth=2
	v_cmp_eq_u16_sdwa vcc, v16, s52 src0_sel:BYTE_0 src1_sel:DWORD
	s_mov_b64 s[22:23], -1
	s_and_saveexec_b64 s[26:27], vcc
; %bb.2491:                             ;   in Loop: Header=BB2_2140 Depth=2
	s_xor_b64 s[22:23], exec, -1
; %bb.2492:                             ;   in Loop: Header=BB2_2140 Depth=2
	s_or_b64 exec, exec, s[26:27]
	s_and_b64 s[22:23], s[22:23], exec
	s_or_saveexec_b64 s[24:25], s[24:25]
	v_bfrev_b32_e32 v2, 1
	s_xor_b64 exec, exec, s[24:25]
	s_cbranch_execnz .LBB2_2823
.LBB2_2493:                             ;   in Loop: Header=BB2_2140 Depth=2
	s_or_b64 exec, exec, s[24:25]
	s_and_saveexec_b64 s[24:25], s[22:23]
.LBB2_2494:                             ;   in Loop: Header=BB2_2140 Depth=2
	v_cndmask_b32_e64 v2, v10, v59, s[20:21]
.LBB2_2495:                             ;   in Loop: Header=BB2_2140 Depth=2
	s_or_b64 exec, exec, s[24:25]
	v_max_f32_e32 v2, v2, v2
	v_max_f32_e32 v10, v11, v11
	v_min_f32_e32 v11, v10, v2
.LBB2_2496:                             ;   in Loop: Header=BB2_2140 Depth=2
	v_and_b32_e32 v34, 0x7f800000, v11
	v_cmp_ne_u64_e32 vcc, s[62:63], v[34:35]
                                        ; implicit-def: $vgpr43
	s_and_saveexec_b64 s[20:21], vcc
	s_xor_b64 s[22:23], exec, s[20:21]
	s_cbranch_execz .LBB2_2510
; %bb.2497:                             ;   in Loop: Header=BB2_2140 Depth=2
	v_and_b32_e32 v34, 0x7fffffff, v11
	v_cmp_gt_u64_e32 vcc, s[72:73], v[34:35]
	v_and_b32_sdwa v18, v11, s52 dst_sel:DWORD dst_unused:UNUSED_PAD src0_sel:BYTE_3 src1_sel:DWORD
                                        ; implicit-def: $vgpr43
	s_and_saveexec_b64 s[20:21], vcc
	s_xor_b64 s[24:25], exec, s[20:21]
	s_cbranch_execz .LBB2_2507
; %bb.2498:                             ;   in Loop: Header=BB2_2140 Depth=2
	v_mov_b32_e32 v43, 0
	v_cmp_ne_u32_e32 vcc, 0, v11
	s_and_saveexec_b64 s[26:27], vcc
	s_cbranch_execz .LBB2_2506
; %bb.2499:                             ;   in Loop: Header=BB2_2140 Depth=2
	v_bfe_u32 v19, v11, 23, 8
	v_cmp_gt_u32_e64 s[20:21], s53, v19
	v_sub_u32_e32 v10, 0x79, v19
	v_and_b32_e32 v2, 0x7fffff, v11
	v_cmp_eq_u32_e32 vcc, 0, v19
	v_cndmask_b32_e64 v10, 0, v10, s[20:21]
	v_or_b32_e32 v11, 0x800000, v2
	v_cndmask_b32_e32 v50, v10, v60, vcc
	v_cndmask_b32_e32 v34, v11, v2, vcc
	v_add_u32_e32 v2, 20, v50
	v_lshlrev_b64 v[10:11], v2, -1
	v_add_u32_e32 v2, 19, v50
	v_lshlrev_b64 v[14:15], v2, 1
	v_bfi_b32 v11, v11, 0, 0
	v_bfi_b32 v10, v10, 0, v34
	v_cmp_eq_u64_e64 s[20:21], v[10:11], v[14:15]
	v_lshrrev_b64 v[10:11], v50, v[34:35]
	v_mov_b32_e32 v15, v11
	v_mov_b32_e32 v14, v10
	s_and_saveexec_b64 s[30:31], s[20:21]
; %bb.2500:                             ;   in Loop: Header=BB2_2140 Depth=2
	v_bfe_u32 v2, v10, 20, 1
	v_add_co_u32_e64 v2, s[20:21], v10, v2
	v_add_co_u32_e64 v14, s[20:21], -1, v2
; %bb.2501:                             ;   in Loop: Header=BB2_2140 Depth=2
	s_or_b64 exec, exec, s[30:31]
	v_add_u32_e32 v2, 0xffffff81, v19
	v_cndmask_b32_e32 v2, v2, v61, vcc
	v_lshrrev_b32_e32 v11, 23, v10
	v_add3_u32 v19, v50, v2, v11
	v_add_u32_e32 v15, 6, v19
	v_and_b32_e32 v2, 0xfffff, v14
	v_add_u32_e32 v34, v2, v10
	v_cmp_ne_u32_e32 vcc, 0, v15
                                        ; implicit-def: $vgpr10_vgpr11
                                        ; implicit-def: $vgpr2
	s_and_saveexec_b64 s[20:21], vcc
	s_xor_b64 s[20:21], exec, s[20:21]
; %bb.2502:                             ;   in Loop: Header=BB2_2140 Depth=2
	v_cmp_lt_u64_e32 vcc, s[74:75], v[34:35]
	v_add_u32_e32 v2, 7, v19
	v_cndmask_b32_e64 v10, 0, 1, vcc
	v_cndmask_b32_e32 v2, v15, v2, vcc
	v_lshrrev_b64 v[10:11], v10, v[34:35]
; %bb.2503:                             ;   in Loop: Header=BB2_2140 Depth=2
	s_andn2_saveexec_b64 s[20:21], s[20:21]
; %bb.2504:                             ;   in Loop: Header=BB2_2140 Depth=2
	v_mov_b32_e32 v10, v34
	v_bfe_u32 v2, v34, 23, 1
	v_mov_b32_e32 v11, v35
; %bb.2505:                             ;   in Loop: Header=BB2_2140 Depth=2
	s_or_b64 exec, exec, s[20:21]
	v_lshrrev_b64 v[10:11], 20, v[10:11]
	v_cmp_gt_i32_e32 vcc, 16, v2
	v_cndmask_b32_e32 v11, 0, v11, vcc
	v_cndmask_b32_e32 v10, 7, v10, vcc
	v_cmp_eq_u32_e32 vcc, 0, v2
	v_min_i32_e32 v2, 15, v2
	v_cmp_eq_u64_e64 s[20:21], 0, v[10:11]
	v_lshlrev_b32_e32 v2, 3, v2
	v_and_b32_e32 v2, 0xf8, v2
	v_and_or_b32 v2, v10, 7, v2
	s_and_b64 s[20:21], vcc, s[20:21]
	v_cndmask_b32_e64 v2, v2, 0, s[20:21]
	v_or_b32_e32 v43, v2, v18
.LBB2_2506:                             ;   in Loop: Header=BB2_2140 Depth=2
	s_or_b64 exec, exec, s[26:27]
                                        ; implicit-def: $vgpr18
.LBB2_2507:                             ;   in Loop: Header=BB2_2140 Depth=2
	s_andn2_saveexec_b64 s[20:21], s[24:25]
; %bb.2508:                             ;   in Loop: Header=BB2_2140 Depth=2
	v_or_b32_e32 v43, 0x7e, v18
; %bb.2509:                             ;   in Loop: Header=BB2_2140 Depth=2
	s_or_b64 exec, exec, s[20:21]
                                        ; implicit-def: $vgpr11
.LBB2_2510:                             ;   in Loop: Header=BB2_2140 Depth=2
	s_andn2_saveexec_b64 s[20:21], s[22:23]
; %bb.2511:                             ;   in Loop: Header=BB2_2140 Depth=2
	v_or_b32_sdwa v43, v11, s49 dst_sel:DWORD dst_unused:UNUSED_PAD src0_sel:BYTE_3 src1_sel:DWORD
; %bb.2512:                             ;   in Loop: Header=BB2_2140 Depth=2
	s_or_b64 exec, exec, s[20:21]
	v_lshrrev_b16_e32 v34, 8, v16
	v_and_b32_e32 v2, 7, v34
	v_and_b32_e32 v11, 0x7f, v34
	v_cmp_eq_u32_e64 s[20:21], s49, v11
	v_cmp_gt_u32_e32 vcc, 8, v11
	v_ffbh_u32_e32 v11, v2
	v_min_u32_e32 v11, 32, v11
	v_subrev_u32_e32 v14, 28, v11
	v_lshlrev_b64 v[14:15], v14, v[34:35]
	v_bfe_u32 v18, v34, 3, 4
	v_sub_u32_e32 v11, 29, v11
	v_and_b32_e32 v14, 7, v14
	v_cndmask_b32_e32 v11, v18, v11, vcc
	v_cndmask_b32_e32 v2, v2, v14, vcc
	v_lshlrev_b32_e32 v14, 24, v34
	v_lshrrev_b16_e32 v10, 8, v12
	v_lshlrev_b32_e32 v2, 20, v2
	v_and_b32_e32 v14, 0x80000000, v14
	v_lshl_add_u32 v11, v11, 23, v56
	v_or3_b32 v11, v14, v11, v2
	v_cmp_ne_u16_e64 s[22:23], 0, v10
	s_mov_b64 s[24:25], -1
	s_and_b64 vcc, exec, s[94:95]
                                        ; implicit-def: $vgpr14
	s_cbranch_vccz .LBB2_2526
; %bb.2513:                             ;   in Loop: Header=BB2_2140 Depth=2
	v_mov_b32_e32 v14, 0
	s_and_saveexec_b64 s[24:25], s[22:23]
	s_cbranch_execz .LBB2_2519
; %bb.2514:                             ;   in Loop: Header=BB2_2140 Depth=2
	v_cmp_ne_u16_e32 vcc, s52, v10
	v_bfrev_b32_e32 v14, 1
	s_and_saveexec_b64 s[26:27], vcc
	s_cbranch_execz .LBB2_2518
; %bb.2515:                             ;   in Loop: Header=BB2_2140 Depth=2
	v_and_b32_e32 v2, 0x7f, v10
	v_cmp_ne_u32_e32 vcc, s49, v2
	v_mov_b32_e32 v14, 0x7f800001
	s_and_saveexec_b64 s[30:31], vcc
	s_cbranch_execz .LBB2_2517
; %bb.2516:                             ;   in Loop: Header=BB2_2140 Depth=2
	v_and_b32_e32 v18, 7, v10
	v_lshrrev_b32_e32 v19, 3, v2
	v_cmp_gt_u32_e32 vcc, 8, v2
	v_ffbh_u32_e32 v2, v18
	v_min_u32_e32 v2, 32, v2
	v_subrev_u32_e32 v14, 28, v2
	v_lshlrev_b64 v[14:15], v14, v[10:11]
	v_sub_u32_e32 v2, 29, v2
	v_and_b32_e32 v14, 7, v14
	v_cndmask_b32_e32 v2, v19, v2, vcc
	v_cndmask_b32_e32 v14, v18, v14, vcc
	v_lshlrev_b32_e32 v15, 16, v12
	v_lshlrev_b32_e32 v14, 20, v14
	v_and_b32_e32 v15, 0x80000000, v15
	v_lshl_add_u32 v2, v2, 23, v56
	v_or3_b32 v14, v15, v2, v14
.LBB2_2517:                             ;   in Loop: Header=BB2_2140 Depth=2
	s_or_b64 exec, exec, s[30:31]
.LBB2_2518:                             ;   in Loop: Header=BB2_2140 Depth=2
	s_or_b64 exec, exec, s[26:27]
.LBB2_2519:                             ;   in Loop: Header=BB2_2140 Depth=2
	s_or_b64 exec, exec, s[24:25]
	v_cmp_lt_i16_e32 vcc, s49, v34
	s_mov_b64 s[24:25], 0
	s_and_saveexec_b64 s[26:27], vcc
	s_xor_b64 s[26:27], exec, s[26:27]
	s_cbranch_execz .LBB2_2824
; %bb.2520:                             ;   in Loop: Header=BB2_2140 Depth=2
	v_cmp_eq_u16_e32 vcc, s52, v34
	s_mov_b64 s[24:25], -1
	s_and_saveexec_b64 s[30:31], vcc
; %bb.2521:                             ;   in Loop: Header=BB2_2140 Depth=2
	s_xor_b64 s[24:25], exec, -1
; %bb.2522:                             ;   in Loop: Header=BB2_2140 Depth=2
	s_or_b64 exec, exec, s[30:31]
	s_and_b64 s[24:25], s[24:25], exec
	s_or_saveexec_b64 s[26:27], s[26:27]
	v_bfrev_b32_e32 v2, 1
	s_xor_b64 exec, exec, s[26:27]
	s_cbranch_execnz .LBB2_2825
.LBB2_2523:                             ;   in Loop: Header=BB2_2140 Depth=2
	s_or_b64 exec, exec, s[26:27]
	s_and_saveexec_b64 s[26:27], s[24:25]
.LBB2_2524:                             ;   in Loop: Header=BB2_2140 Depth=2
	v_cndmask_b32_e64 v2, v11, v59, s[20:21]
.LBB2_2525:                             ;   in Loop: Header=BB2_2140 Depth=2
	s_or_b64 exec, exec, s[26:27]
	v_max_f32_e32 v2, v2, v2
	v_max_f32_e32 v14, v14, v14
	;; [unrolled: 1-line block ×3, first 2 shown]
	s_mov_b64 s[24:25], 0
.LBB2_2526:                             ;   in Loop: Header=BB2_2140 Depth=2
	s_and_b64 vcc, exec, s[24:25]
	s_cbranch_vccz .LBB2_2540
; %bb.2527:                             ;   in Loop: Header=BB2_2140 Depth=2
	v_mov_b32_e32 v14, 0
	s_and_saveexec_b64 s[24:25], s[22:23]
	s_cbranch_execz .LBB2_2533
; %bb.2528:                             ;   in Loop: Header=BB2_2140 Depth=2
	v_cmp_ne_u16_e32 vcc, s52, v10
	v_bfrev_b32_e32 v14, 1
	s_and_saveexec_b64 s[22:23], vcc
	s_cbranch_execz .LBB2_2532
; %bb.2529:                             ;   in Loop: Header=BB2_2140 Depth=2
	v_and_b32_e32 v2, 0x7f, v10
	v_cmp_ne_u32_e32 vcc, s49, v2
	v_mov_b32_e32 v14, 0x7f800001
	s_and_saveexec_b64 s[26:27], vcc
	s_cbranch_execz .LBB2_2531
; %bb.2530:                             ;   in Loop: Header=BB2_2140 Depth=2
	v_and_b32_e32 v18, 7, v10
	v_lshrrev_b32_e32 v19, 3, v2
	v_cmp_gt_u32_e32 vcc, 8, v2
	v_ffbh_u32_e32 v2, v18
	v_min_u32_e32 v2, 32, v2
	v_subrev_u32_e32 v14, 28, v2
	v_lshlrev_b64 v[14:15], v14, v[10:11]
	v_sub_u32_e32 v2, 29, v2
	v_and_b32_e32 v10, 7, v14
	v_cndmask_b32_e32 v2, v19, v2, vcc
	v_cndmask_b32_e32 v10, v18, v10, vcc
	v_lshlrev_b32_e32 v14, 16, v12
	v_lshlrev_b32_e32 v10, 20, v10
	v_and_b32_e32 v14, 0x80000000, v14
	v_lshl_add_u32 v2, v2, 23, v56
	v_or3_b32 v14, v14, v2, v10
.LBB2_2531:                             ;   in Loop: Header=BB2_2140 Depth=2
	s_or_b64 exec, exec, s[26:27]
.LBB2_2532:                             ;   in Loop: Header=BB2_2140 Depth=2
	s_or_b64 exec, exec, s[22:23]
.LBB2_2533:                             ;   in Loop: Header=BB2_2140 Depth=2
	s_or_b64 exec, exec, s[24:25]
	v_cmp_lt_i16_e32 vcc, s49, v34
	s_mov_b64 s[22:23], 0
	s_and_saveexec_b64 s[24:25], vcc
	s_xor_b64 s[24:25], exec, s[24:25]
	s_cbranch_execz .LBB2_2826
; %bb.2534:                             ;   in Loop: Header=BB2_2140 Depth=2
	v_cmp_eq_u16_e32 vcc, s52, v34
	s_mov_b64 s[22:23], -1
	s_and_saveexec_b64 s[26:27], vcc
; %bb.2535:                             ;   in Loop: Header=BB2_2140 Depth=2
	s_xor_b64 s[22:23], exec, -1
; %bb.2536:                             ;   in Loop: Header=BB2_2140 Depth=2
	s_or_b64 exec, exec, s[26:27]
	s_and_b64 s[22:23], s[22:23], exec
	s_or_saveexec_b64 s[24:25], s[24:25]
	v_bfrev_b32_e32 v2, 1
	s_xor_b64 exec, exec, s[24:25]
	s_cbranch_execnz .LBB2_2827
.LBB2_2537:                             ;   in Loop: Header=BB2_2140 Depth=2
	s_or_b64 exec, exec, s[24:25]
	s_and_saveexec_b64 s[24:25], s[22:23]
.LBB2_2538:                             ;   in Loop: Header=BB2_2140 Depth=2
	v_cndmask_b32_e64 v2, v11, v59, s[20:21]
.LBB2_2539:                             ;   in Loop: Header=BB2_2140 Depth=2
	s_or_b64 exec, exec, s[24:25]
	v_max_f32_e32 v2, v2, v2
	v_max_f32_e32 v10, v14, v14
	v_min_f32_e32 v14, v10, v2
.LBB2_2540:                             ;   in Loop: Header=BB2_2140 Depth=2
	v_and_b32_e32 v34, 0x7f800000, v14
	v_cmp_ne_u64_e32 vcc, s[62:63], v[34:35]
                                        ; implicit-def: $vgpr18
	s_and_saveexec_b64 s[20:21], vcc
	s_xor_b64 s[22:23], exec, s[20:21]
	s_cbranch_execz .LBB2_2554
; %bb.2541:                             ;   in Loop: Header=BB2_2140 Depth=2
	v_and_b32_e32 v34, 0x7fffffff, v14
	v_cmp_gt_u64_e32 vcc, s[72:73], v[34:35]
	v_and_b32_sdwa v19, v14, s52 dst_sel:DWORD dst_unused:UNUSED_PAD src0_sel:BYTE_3 src1_sel:DWORD
                                        ; implicit-def: $vgpr18
	s_and_saveexec_b64 s[20:21], vcc
	s_xor_b64 s[24:25], exec, s[20:21]
	s_cbranch_execz .LBB2_2551
; %bb.2542:                             ;   in Loop: Header=BB2_2140 Depth=2
	v_mov_b32_e32 v18, 0
	v_cmp_ne_u32_e32 vcc, 0, v14
	s_and_saveexec_b64 s[26:27], vcc
	s_cbranch_execz .LBB2_2550
; %bb.2543:                             ;   in Loop: Header=BB2_2140 Depth=2
	v_bfe_u32 v18, v14, 23, 8
	v_cmp_gt_u32_e64 s[20:21], s53, v18
	v_sub_u32_e32 v10, 0x79, v18
	v_and_b32_e32 v2, 0x7fffff, v14
	v_cmp_eq_u32_e32 vcc, 0, v18
	v_cndmask_b32_e64 v10, 0, v10, s[20:21]
	v_or_b32_e32 v11, 0x800000, v2
	v_cndmask_b32_e32 v50, v10, v60, vcc
	v_cndmask_b32_e32 v34, v11, v2, vcc
	v_add_u32_e32 v2, 20, v50
	v_lshlrev_b64 v[10:11], v2, -1
	v_add_u32_e32 v2, 19, v50
	v_lshlrev_b64 v[14:15], v2, 1
	v_bfi_b32 v11, v11, 0, 0
	v_bfi_b32 v10, v10, 0, v34
	v_cmp_eq_u64_e64 s[20:21], v[10:11], v[14:15]
	v_lshrrev_b64 v[10:11], v50, v[34:35]
	v_mov_b32_e32 v15, v11
	v_mov_b32_e32 v14, v10
	s_and_saveexec_b64 s[30:31], s[20:21]
; %bb.2544:                             ;   in Loop: Header=BB2_2140 Depth=2
	v_bfe_u32 v2, v10, 20, 1
	v_add_co_u32_e64 v2, s[20:21], v10, v2
	v_add_co_u32_e64 v14, s[20:21], -1, v2
; %bb.2545:                             ;   in Loop: Header=BB2_2140 Depth=2
	s_or_b64 exec, exec, s[30:31]
	v_add_u32_e32 v2, 0xffffff81, v18
	v_cndmask_b32_e32 v2, v2, v61, vcc
	v_lshrrev_b32_e32 v11, 23, v10
	v_add3_u32 v18, v50, v2, v11
	v_add_u32_e32 v15, 6, v18
	v_and_b32_e32 v2, 0xfffff, v14
	v_add_u32_e32 v34, v2, v10
	v_cmp_ne_u32_e32 vcc, 0, v15
                                        ; implicit-def: $vgpr10_vgpr11
                                        ; implicit-def: $vgpr2
	s_and_saveexec_b64 s[20:21], vcc
	s_xor_b64 s[20:21], exec, s[20:21]
; %bb.2546:                             ;   in Loop: Header=BB2_2140 Depth=2
	v_cmp_lt_u64_e32 vcc, s[74:75], v[34:35]
	v_add_u32_e32 v2, 7, v18
	v_cndmask_b32_e64 v10, 0, 1, vcc
	v_cndmask_b32_e32 v2, v15, v2, vcc
	v_lshrrev_b64 v[10:11], v10, v[34:35]
; %bb.2547:                             ;   in Loop: Header=BB2_2140 Depth=2
	s_andn2_saveexec_b64 s[20:21], s[20:21]
; %bb.2548:                             ;   in Loop: Header=BB2_2140 Depth=2
	v_mov_b32_e32 v10, v34
	v_bfe_u32 v2, v34, 23, 1
	v_mov_b32_e32 v11, v35
; %bb.2549:                             ;   in Loop: Header=BB2_2140 Depth=2
	s_or_b64 exec, exec, s[20:21]
	v_lshrrev_b64 v[10:11], 20, v[10:11]
	v_cmp_gt_i32_e32 vcc, 16, v2
	v_cndmask_b32_e32 v11, 0, v11, vcc
	v_cndmask_b32_e32 v10, 7, v10, vcc
	v_cmp_eq_u32_e32 vcc, 0, v2
	v_min_i32_e32 v2, 15, v2
	v_cmp_eq_u64_e64 s[20:21], 0, v[10:11]
	v_lshlrev_b32_e32 v2, 3, v2
	v_and_b32_e32 v2, 0xf8, v2
	v_and_or_b32 v2, v10, 7, v2
	s_and_b64 s[20:21], vcc, s[20:21]
	v_cndmask_b32_e64 v2, v2, 0, s[20:21]
	v_or_b32_e32 v18, v2, v19
.LBB2_2550:                             ;   in Loop: Header=BB2_2140 Depth=2
	s_or_b64 exec, exec, s[26:27]
                                        ; implicit-def: $vgpr19
.LBB2_2551:                             ;   in Loop: Header=BB2_2140 Depth=2
	s_andn2_saveexec_b64 s[20:21], s[24:25]
; %bb.2552:                             ;   in Loop: Header=BB2_2140 Depth=2
	v_or_b32_e32 v18, 0x7e, v19
; %bb.2553:                             ;   in Loop: Header=BB2_2140 Depth=2
	s_or_b64 exec, exec, s[20:21]
                                        ; implicit-def: $vgpr14
.LBB2_2554:                             ;   in Loop: Header=BB2_2140 Depth=2
	s_andn2_saveexec_b64 s[20:21], s[22:23]
; %bb.2555:                             ;   in Loop: Header=BB2_2140 Depth=2
	v_or_b32_sdwa v18, v14, s49 dst_sel:DWORD dst_unused:UNUSED_PAD src0_sel:BYTE_3 src1_sel:DWORD
; %bb.2556:                             ;   in Loop: Header=BB2_2140 Depth=2
	s_or_b64 exec, exec, s[20:21]
	v_bfe_u32 v2, v16, 16, 3
	v_bfe_u32 v11, v16, 16, 7
	v_cmp_eq_u32_e64 s[20:21], s49, v11
	v_cmp_gt_u32_e32 vcc, 8, v11
	v_ffbh_u32_e32 v11, v2
	v_min_u32_e32 v11, 32, v11
	v_lshrrev_b32_e32 v10, 16, v16
	v_subrev_u32_e32 v14, 28, v11
	v_lshlrev_b64 v[14:15], v14, v[10:11]
	v_bfe_u32 v19, v10, 3, 4
	v_sub_u32_e32 v11, 29, v11
	v_and_b32_e32 v14, 7, v14
	v_cndmask_b32_e32 v11, v19, v11, vcc
	v_cndmask_b32_e32 v2, v2, v14, vcc
	v_lshlrev_b32_e32 v14, 8, v16
	v_lshlrev_b32_e32 v2, 20, v2
	v_and_b32_e32 v14, 0x80000000, v14
	v_lshl_add_u32 v11, v11, 23, v56
	v_or3_b32 v14, v14, v11, v2
	v_lshrrev_b32_e32 v11, 16, v12
	v_cmp_ne_u16_sdwa s[22:23], v11, v35 src0_sel:BYTE_0 src1_sel:DWORD
	s_mov_b64 s[24:25], -1
	s_and_b64 vcc, exec, s[94:95]
                                        ; implicit-def: $vgpr15
	s_cbranch_vccz .LBB2_2570
; %bb.2557:                             ;   in Loop: Header=BB2_2140 Depth=2
	v_mov_b32_e32 v15, 0
	s_and_saveexec_b64 s[24:25], s[22:23]
	s_cbranch_execz .LBB2_2563
; %bb.2558:                             ;   in Loop: Header=BB2_2140 Depth=2
	v_cmp_ne_u16_sdwa vcc, v11, s52 src0_sel:BYTE_0 src1_sel:DWORD
	v_bfrev_b32_e32 v15, 1
	s_and_saveexec_b64 s[26:27], vcc
	s_cbranch_execz .LBB2_2562
; %bb.2559:                             ;   in Loop: Header=BB2_2140 Depth=2
	v_bfe_u32 v2, v12, 16, 7
	v_cmp_ne_u32_e32 vcc, s49, v2
	v_mov_b32_e32 v15, 0x7f800001
	s_and_saveexec_b64 s[30:31], vcc
	s_cbranch_execz .LBB2_2561
; %bb.2560:                             ;   in Loop: Header=BB2_2140 Depth=2
	v_and_b32_e32 v15, 7, v11
	v_lshrrev_b32_e32 v19, 3, v2
	v_cmp_gt_u32_e32 vcc, 8, v2
	v_ffbh_u32_e32 v2, v15
	v_min_u32_e32 v2, 32, v2
	v_subrev_u32_e32 v24, 28, v2
	v_lshlrev_b64 v[24:25], v24, v[11:12]
	v_sub_u32_e32 v2, 29, v2
	v_and_b32_e32 v24, 7, v24
	v_cndmask_b32_e32 v2, v19, v2, vcc
	v_cndmask_b32_e32 v15, v15, v24, vcc
	v_lshlrev_b32_e32 v19, 24, v11
	v_lshlrev_b32_e32 v15, 20, v15
	v_and_b32_e32 v19, 0x80000000, v19
	v_lshl_add_u32 v2, v2, 23, v56
	v_or3_b32 v15, v19, v2, v15
.LBB2_2561:                             ;   in Loop: Header=BB2_2140 Depth=2
	s_or_b64 exec, exec, s[30:31]
.LBB2_2562:                             ;   in Loop: Header=BB2_2140 Depth=2
	s_or_b64 exec, exec, s[26:27]
.LBB2_2563:                             ;   in Loop: Header=BB2_2140 Depth=2
	s_or_b64 exec, exec, s[24:25]
	v_cmp_gt_i16_sdwa s[26:27], v10, s49 src0_sel:BYTE_0 src1_sel:DWORD
	s_mov_b64 s[24:25], 0
	s_and_saveexec_b64 vcc, s[26:27]
	s_xor_b64 s[26:27], exec, vcc
	s_cbranch_execz .LBB2_2828
; %bb.2564:                             ;   in Loop: Header=BB2_2140 Depth=2
	v_cmp_eq_u16_sdwa s[30:31], v10, s52 src0_sel:BYTE_0 src1_sel:DWORD
	s_mov_b64 s[24:25], -1
	s_and_saveexec_b64 vcc, s[30:31]
; %bb.2565:                             ;   in Loop: Header=BB2_2140 Depth=2
	s_xor_b64 s[24:25], exec, -1
; %bb.2566:                             ;   in Loop: Header=BB2_2140 Depth=2
	s_or_b64 exec, exec, vcc
	s_and_b64 s[24:25], s[24:25], exec
	s_or_saveexec_b64 s[26:27], s[26:27]
	v_bfrev_b32_e32 v2, 1
	s_xor_b64 exec, exec, s[26:27]
	s_cbranch_execnz .LBB2_2829
.LBB2_2567:                             ;   in Loop: Header=BB2_2140 Depth=2
	s_or_b64 exec, exec, s[26:27]
	s_and_saveexec_b64 s[26:27], s[24:25]
.LBB2_2568:                             ;   in Loop: Header=BB2_2140 Depth=2
	v_cndmask_b32_e64 v2, v14, v59, s[20:21]
.LBB2_2569:                             ;   in Loop: Header=BB2_2140 Depth=2
	s_or_b64 exec, exec, s[26:27]
	v_max_f32_e32 v2, v2, v2
	v_max_f32_e32 v15, v15, v15
	;; [unrolled: 1-line block ×3, first 2 shown]
	s_mov_b64 s[24:25], 0
.LBB2_2570:                             ;   in Loop: Header=BB2_2140 Depth=2
	s_and_b64 vcc, exec, s[24:25]
	s_cbranch_vccz .LBB2_2584
; %bb.2571:                             ;   in Loop: Header=BB2_2140 Depth=2
	v_mov_b32_e32 v15, 0
	s_and_saveexec_b64 s[24:25], s[22:23]
	s_cbranch_execz .LBB2_2577
; %bb.2572:                             ;   in Loop: Header=BB2_2140 Depth=2
	v_cmp_ne_u16_sdwa s[26:27], v11, s52 src0_sel:BYTE_0 src1_sel:DWORD
	v_bfrev_b32_e32 v15, 1
	s_and_saveexec_b64 s[22:23], s[26:27]
	s_cbranch_execz .LBB2_2576
; %bb.2573:                             ;   in Loop: Header=BB2_2140 Depth=2
	v_bfe_u32 v2, v12, 16, 7
	v_cmp_ne_u32_e32 vcc, s49, v2
	v_mov_b32_e32 v15, 0x7f800001
	s_and_saveexec_b64 s[26:27], vcc
	s_cbranch_execz .LBB2_2575
; %bb.2574:                             ;   in Loop: Header=BB2_2140 Depth=2
	v_and_b32_e32 v15, 7, v11
	v_lshrrev_b32_e32 v19, 3, v2
	v_cmp_gt_u32_e32 vcc, 8, v2
	v_ffbh_u32_e32 v2, v15
	v_min_u32_e32 v2, 32, v2
	v_subrev_u32_e32 v24, 28, v2
	v_lshlrev_b64 v[24:25], v24, v[11:12]
	v_sub_u32_e32 v2, 29, v2
	v_and_b32_e32 v24, 7, v24
	v_cndmask_b32_e32 v2, v19, v2, vcc
	v_cndmask_b32_e32 v15, v15, v24, vcc
	v_lshlrev_b32_e32 v11, 24, v11
	v_lshlrev_b32_e32 v15, 20, v15
	v_and_b32_e32 v11, 0x80000000, v11
	v_lshl_add_u32 v2, v2, 23, v56
	v_or3_b32 v15, v11, v2, v15
.LBB2_2575:                             ;   in Loop: Header=BB2_2140 Depth=2
	s_or_b64 exec, exec, s[26:27]
.LBB2_2576:                             ;   in Loop: Header=BB2_2140 Depth=2
	s_or_b64 exec, exec, s[22:23]
.LBB2_2577:                             ;   in Loop: Header=BB2_2140 Depth=2
	s_or_b64 exec, exec, s[24:25]
	v_cmp_gt_i16_sdwa s[24:25], v10, s49 src0_sel:BYTE_0 src1_sel:DWORD
	s_mov_b64 s[22:23], 0
	s_and_saveexec_b64 s[26:27], s[24:25]
	s_xor_b64 s[24:25], exec, s[26:27]
	s_cbranch_execz .LBB2_2830
; %bb.2578:                             ;   in Loop: Header=BB2_2140 Depth=2
	v_cmp_eq_u16_sdwa vcc, v10, s52 src0_sel:BYTE_0 src1_sel:DWORD
	s_mov_b64 s[22:23], -1
	s_and_saveexec_b64 s[26:27], vcc
; %bb.2579:                             ;   in Loop: Header=BB2_2140 Depth=2
	s_xor_b64 s[22:23], exec, -1
; %bb.2580:                             ;   in Loop: Header=BB2_2140 Depth=2
	s_or_b64 exec, exec, s[26:27]
	s_and_b64 s[22:23], s[22:23], exec
                                        ; implicit-def: $vgpr10
	s_or_saveexec_b64 s[24:25], s[24:25]
	v_bfrev_b32_e32 v2, 1
	s_xor_b64 exec, exec, s[24:25]
	s_cbranch_execnz .LBB2_2831
.LBB2_2581:                             ;   in Loop: Header=BB2_2140 Depth=2
	s_or_b64 exec, exec, s[24:25]
	s_and_saveexec_b64 s[24:25], s[22:23]
.LBB2_2582:                             ;   in Loop: Header=BB2_2140 Depth=2
	v_cndmask_b32_e64 v2, v14, v59, s[20:21]
.LBB2_2583:                             ;   in Loop: Header=BB2_2140 Depth=2
	s_or_b64 exec, exec, s[24:25]
	v_max_f32_e32 v2, v2, v2
	v_max_f32_e32 v10, v15, v15
	v_min_f32_e32 v15, v10, v2
.LBB2_2584:                             ;   in Loop: Header=BB2_2140 Depth=2
	v_and_b32_e32 v34, 0x7f800000, v15
	v_cmp_ne_u64_e32 vcc, s[62:63], v[34:35]
                                        ; implicit-def: $vgpr19
	s_and_saveexec_b64 s[20:21], vcc
	s_xor_b64 s[22:23], exec, s[20:21]
	s_cbranch_execz .LBB2_2598
; %bb.2585:                             ;   in Loop: Header=BB2_2140 Depth=2
	v_and_b32_e32 v34, 0x7fffffff, v15
	v_cmp_gt_u64_e32 vcc, s[72:73], v[34:35]
	v_and_b32_sdwa v41, v15, s52 dst_sel:DWORD dst_unused:UNUSED_PAD src0_sel:BYTE_3 src1_sel:DWORD
                                        ; implicit-def: $vgpr19
	s_and_saveexec_b64 s[20:21], vcc
	s_xor_b64 s[24:25], exec, s[20:21]
	s_cbranch_execz .LBB2_2595
; %bb.2586:                             ;   in Loop: Header=BB2_2140 Depth=2
	v_mov_b32_e32 v19, 0
	v_cmp_ne_u32_e32 vcc, 0, v15
	s_and_saveexec_b64 s[26:27], vcc
	s_cbranch_execz .LBB2_2594
; %bb.2587:                             ;   in Loop: Header=BB2_2140 Depth=2
	v_bfe_u32 v19, v15, 23, 8
	v_cmp_gt_u32_e64 s[20:21], s53, v19
	v_sub_u32_e32 v10, 0x79, v19
	v_and_b32_e32 v2, 0x7fffff, v15
	v_cmp_eq_u32_e32 vcc, 0, v19
	v_cndmask_b32_e64 v10, 0, v10, s[20:21]
	v_or_b32_e32 v11, 0x800000, v2
	v_cndmask_b32_e32 v50, v10, v60, vcc
	v_cndmask_b32_e32 v34, v11, v2, vcc
	v_add_u32_e32 v2, 20, v50
	v_lshlrev_b64 v[10:11], v2, -1
	v_add_u32_e32 v2, 19, v50
	v_lshlrev_b64 v[14:15], v2, 1
	v_bfi_b32 v11, v11, 0, 0
	v_bfi_b32 v10, v10, 0, v34
	v_cmp_eq_u64_e64 s[20:21], v[10:11], v[14:15]
	v_lshrrev_b64 v[10:11], v50, v[34:35]
	v_mov_b32_e32 v15, v11
	v_mov_b32_e32 v14, v10
	s_and_saveexec_b64 s[30:31], s[20:21]
; %bb.2588:                             ;   in Loop: Header=BB2_2140 Depth=2
	v_bfe_u32 v2, v10, 20, 1
	v_add_co_u32_e64 v2, s[20:21], v10, v2
	v_add_co_u32_e64 v14, s[20:21], -1, v2
; %bb.2589:                             ;   in Loop: Header=BB2_2140 Depth=2
	s_or_b64 exec, exec, s[30:31]
	v_add_u32_e32 v2, 0xffffff81, v19
	v_cndmask_b32_e32 v2, v2, v61, vcc
	v_lshrrev_b32_e32 v11, 23, v10
	v_add3_u32 v19, v50, v2, v11
	v_add_u32_e32 v15, 6, v19
	v_and_b32_e32 v2, 0xfffff, v14
	v_add_u32_e32 v34, v2, v10
	v_cmp_ne_u32_e32 vcc, 0, v15
                                        ; implicit-def: $vgpr10_vgpr11
                                        ; implicit-def: $vgpr2
	s_and_saveexec_b64 s[20:21], vcc
	s_xor_b64 s[20:21], exec, s[20:21]
; %bb.2590:                             ;   in Loop: Header=BB2_2140 Depth=2
	v_cmp_lt_u64_e32 vcc, s[74:75], v[34:35]
	v_add_u32_e32 v2, 7, v19
	v_cndmask_b32_e64 v10, 0, 1, vcc
	v_cndmask_b32_e32 v2, v15, v2, vcc
	v_lshrrev_b64 v[10:11], v10, v[34:35]
; %bb.2591:                             ;   in Loop: Header=BB2_2140 Depth=2
	s_andn2_saveexec_b64 s[20:21], s[20:21]
; %bb.2592:                             ;   in Loop: Header=BB2_2140 Depth=2
	v_mov_b32_e32 v10, v34
	v_bfe_u32 v2, v34, 23, 1
	v_mov_b32_e32 v11, v35
; %bb.2593:                             ;   in Loop: Header=BB2_2140 Depth=2
	s_or_b64 exec, exec, s[20:21]
	v_lshrrev_b64 v[10:11], 20, v[10:11]
	v_cmp_gt_i32_e32 vcc, 16, v2
	v_cndmask_b32_e32 v11, 0, v11, vcc
	v_cndmask_b32_e32 v10, 7, v10, vcc
	v_cmp_eq_u32_e32 vcc, 0, v2
	v_min_i32_e32 v2, 15, v2
	v_cmp_eq_u64_e64 s[20:21], 0, v[10:11]
	v_lshlrev_b32_e32 v2, 3, v2
	v_and_b32_e32 v2, 0xf8, v2
	v_and_or_b32 v2, v10, 7, v2
	s_and_b64 s[20:21], vcc, s[20:21]
	v_cndmask_b32_e64 v2, v2, 0, s[20:21]
	v_or_b32_e32 v19, v2, v41
.LBB2_2594:                             ;   in Loop: Header=BB2_2140 Depth=2
	s_or_b64 exec, exec, s[26:27]
                                        ; implicit-def: $vgpr41
.LBB2_2595:                             ;   in Loop: Header=BB2_2140 Depth=2
	s_andn2_saveexec_b64 s[20:21], s[24:25]
; %bb.2596:                             ;   in Loop: Header=BB2_2140 Depth=2
	v_or_b32_e32 v19, 0x7e, v41
; %bb.2597:                             ;   in Loop: Header=BB2_2140 Depth=2
	s_or_b64 exec, exec, s[20:21]
                                        ; implicit-def: $vgpr15
.LBB2_2598:                             ;   in Loop: Header=BB2_2140 Depth=2
	s_andn2_saveexec_b64 s[20:21], s[22:23]
; %bb.2599:                             ;   in Loop: Header=BB2_2140 Depth=2
	v_or_b32_sdwa v19, v15, s49 dst_sel:DWORD dst_unused:UNUSED_PAD src0_sel:BYTE_3 src1_sel:DWORD
; %bb.2600:                             ;   in Loop: Header=BB2_2140 Depth=2
	s_or_b64 exec, exec, s[20:21]
	v_bfe_u32 v11, v16, 24, 3
	v_bfe_u32 v14, v16, 24, 7
	v_cmp_eq_u32_e64 s[24:25], s49, v14
	v_cmp_gt_u32_e32 vcc, 8, v14
	v_ffbh_u32_e32 v14, v11
	v_min_u32_e32 v25, 32, v14
	v_lshrrev_b32_e32 v2, 24, v16
	v_subrev_u32_e32 v14, 28, v25
	v_lshlrev_b64 v[14:15], v14, v[2:3]
	v_bfe_u32 v24, v2, 3, 4
	v_cmp_eq_u32_e64 s[22:23], s52, v2
	v_sub_u32_e32 v2, 29, v25
	v_and_b32_e32 v14, 7, v14
	v_cndmask_b32_e32 v2, v24, v2, vcc
	v_cndmask_b32_e32 v11, v11, v14, vcc
	v_lshlrev_b32_e32 v11, 20, v11
	v_and_b32_e32 v14, 0x80000000, v16
	v_lshl_add_u32 v2, v2, 23, v56
	v_lshrrev_b32_e32 v10, 24, v12
	v_cmp_gt_u32_e64 s[20:21], s57, v16
	v_or3_b32 v11, v14, v2, v11
	v_cmp_lt_u32_e64 s[26:27], s77, v12
	s_mov_b64 s[30:31], -1
	s_and_b64 vcc, exec, s[94:95]
                                        ; implicit-def: $vgpr14
	s_cbranch_vccz .LBB2_2608
; %bb.2601:                             ;   in Loop: Header=BB2_2140 Depth=2
	v_mov_b32_e32 v2, 0
	s_and_saveexec_b64 s[30:31], s[26:27]
	s_cbranch_execz .LBB2_2607
; %bb.2602:                             ;   in Loop: Header=BB2_2140 Depth=2
	v_cmp_ne_u32_e32 vcc, s52, v10
	v_bfrev_b32_e32 v2, 1
	s_and_saveexec_b64 s[34:35], vcc
	s_cbranch_execz .LBB2_2606
; %bb.2603:                             ;   in Loop: Header=BB2_2140 Depth=2
	v_bfe_u32 v14, v12, 24, 7
	v_cmp_ne_u32_e32 vcc, s49, v14
	v_mov_b32_e32 v2, 0x7f800001
	s_and_saveexec_b64 s[36:37], vcc
	s_cbranch_execz .LBB2_2605
; %bb.2604:                             ;   in Loop: Header=BB2_2140 Depth=2
	v_and_b32_e32 v2, 7, v10
	v_lshrrev_b32_e32 v24, 3, v14
	v_cmp_gt_u32_e32 vcc, 8, v14
	v_ffbh_u32_e32 v14, v2
	v_min_u32_e32 v25, 32, v14
	v_subrev_u32_e32 v14, 28, v25
	v_lshlrev_b64 v[14:15], v14, v[10:11]
	v_sub_u32_e32 v15, 29, v25
	v_and_b32_e32 v14, 7, v14
	v_cndmask_b32_e32 v15, v24, v15, vcc
	v_cndmask_b32_e32 v2, v2, v14, vcc
	v_lshlrev_b32_e32 v14, 24, v10
	v_lshlrev_b32_e32 v2, 20, v2
	v_and_b32_e32 v14, 0x80000000, v14
	v_lshl_add_u32 v15, v15, 23, v56
	v_or3_b32 v2, v14, v15, v2
.LBB2_2605:                             ;   in Loop: Header=BB2_2140 Depth=2
	s_or_b64 exec, exec, s[36:37]
.LBB2_2606:                             ;   in Loop: Header=BB2_2140 Depth=2
	s_or_b64 exec, exec, s[34:35]
.LBB2_2607:                             ;   in Loop: Header=BB2_2140 Depth=2
	s_or_b64 exec, exec, s[30:31]
	v_cndmask_b32_e64 v14, v11, v59, s[24:25]
	v_cndmask_b32_e64 v14, v14, v62, s[22:23]
	;; [unrolled: 1-line block ×3, first 2 shown]
	v_max_f32_e32 v14, v14, v14
	v_max_f32_e32 v2, v2, v2
	v_max_f32_e32 v14, v2, v14
	s_mov_b64 s[30:31], 0
.LBB2_2608:                             ;   in Loop: Header=BB2_2140 Depth=2
	s_and_b64 vcc, exec, s[30:31]
	s_cbranch_vccz .LBB2_2616
; %bb.2609:                             ;   in Loop: Header=BB2_2140 Depth=2
	v_mov_b32_e32 v2, 0
	s_and_saveexec_b64 s[30:31], s[26:27]
	s_cbranch_execz .LBB2_2615
; %bb.2610:                             ;   in Loop: Header=BB2_2140 Depth=2
	v_cmp_ne_u32_e32 vcc, s52, v10
	v_bfrev_b32_e32 v2, 1
	s_and_saveexec_b64 s[26:27], vcc
	s_cbranch_execz .LBB2_2614
; %bb.2611:                             ;   in Loop: Header=BB2_2140 Depth=2
	v_bfe_u32 v14, v12, 24, 7
	v_cmp_ne_u32_e32 vcc, s49, v14
	v_mov_b32_e32 v2, 0x7f800001
	s_and_saveexec_b64 s[34:35], vcc
	s_cbranch_execz .LBB2_2613
; %bb.2612:                             ;   in Loop: Header=BB2_2140 Depth=2
	v_and_b32_e32 v2, 7, v10
	v_lshrrev_b32_e32 v24, 3, v14
	v_cmp_gt_u32_e32 vcc, 8, v14
	v_ffbh_u32_e32 v14, v2
	v_min_u32_e32 v25, 32, v14
	v_subrev_u32_e32 v14, 28, v25
	v_lshlrev_b64 v[14:15], v14, v[10:11]
	v_sub_u32_e32 v15, 29, v25
	v_and_b32_e32 v14, 7, v14
	v_cndmask_b32_e32 v15, v24, v15, vcc
	v_cndmask_b32_e32 v2, v2, v14, vcc
	v_lshlrev_b32_e32 v10, 24, v10
	v_lshlrev_b32_e32 v2, 20, v2
	v_and_b32_e32 v10, 0x80000000, v10
	v_lshl_add_u32 v14, v15, 23, v56
	v_or3_b32 v2, v10, v14, v2
.LBB2_2613:                             ;   in Loop: Header=BB2_2140 Depth=2
	s_or_b64 exec, exec, s[34:35]
.LBB2_2614:                             ;   in Loop: Header=BB2_2140 Depth=2
	s_or_b64 exec, exec, s[26:27]
.LBB2_2615:                             ;   in Loop: Header=BB2_2140 Depth=2
	s_or_b64 exec, exec, s[30:31]
	v_cndmask_b32_e64 v10, v11, v59, s[24:25]
	v_cndmask_b32_e64 v10, v10, v62, s[22:23]
	;; [unrolled: 1-line block ×3, first 2 shown]
	v_max_f32_e32 v10, v10, v10
	v_max_f32_e32 v2, v2, v2
	v_min_f32_e32 v14, v2, v10
.LBB2_2616:                             ;   in Loop: Header=BB2_2140 Depth=2
	v_and_b32_e32 v34, 0x7f800000, v14
	v_cmp_ne_u64_e32 vcc, s[62:63], v[34:35]
                                        ; implicit-def: $vgpr46
	s_and_saveexec_b64 s[20:21], vcc
	s_xor_b64 s[22:23], exec, s[20:21]
	s_cbranch_execz .LBB2_2630
; %bb.2617:                             ;   in Loop: Header=BB2_2140 Depth=2
	v_and_b32_e32 v34, 0x7fffffff, v14
	v_cmp_gt_u64_e32 vcc, s[72:73], v[34:35]
	v_and_b32_sdwa v41, v14, s52 dst_sel:DWORD dst_unused:UNUSED_PAD src0_sel:BYTE_3 src1_sel:DWORD
                                        ; implicit-def: $vgpr46
	s_and_saveexec_b64 s[20:21], vcc
	s_xor_b64 s[24:25], exec, s[20:21]
	s_cbranch_execz .LBB2_2627
; %bb.2618:                             ;   in Loop: Header=BB2_2140 Depth=2
	v_mov_b32_e32 v46, 0
	v_cmp_ne_u32_e32 vcc, 0, v14
	s_and_saveexec_b64 s[26:27], vcc
	s_cbranch_execz .LBB2_2626
; %bb.2619:                             ;   in Loop: Header=BB2_2140 Depth=2
	v_bfe_u32 v50, v14, 23, 8
	v_cmp_gt_u32_e64 s[20:21], s53, v50
	v_sub_u32_e32 v10, 0x79, v50
	v_and_b32_e32 v2, 0x7fffff, v14
	v_cmp_eq_u32_e32 vcc, 0, v50
	v_cndmask_b32_e64 v10, 0, v10, s[20:21]
	v_or_b32_e32 v11, 0x800000, v2
	v_cndmask_b32_e32 v51, v10, v60, vcc
	v_cndmask_b32_e32 v34, v11, v2, vcc
	v_add_u32_e32 v2, 20, v51
	v_lshlrev_b64 v[10:11], v2, -1
	v_add_u32_e32 v2, 19, v51
	v_lshlrev_b64 v[14:15], v2, 1
	v_bfi_b32 v11, v11, 0, 0
	v_bfi_b32 v10, v10, 0, v34
	v_cmp_eq_u64_e64 s[20:21], v[10:11], v[14:15]
	v_lshrrev_b64 v[10:11], v51, v[34:35]
	v_mov_b32_e32 v15, v11
	v_mov_b32_e32 v14, v10
	s_and_saveexec_b64 s[30:31], s[20:21]
; %bb.2620:                             ;   in Loop: Header=BB2_2140 Depth=2
	v_bfe_u32 v2, v10, 20, 1
	v_add_co_u32_e64 v2, s[20:21], v10, v2
	v_add_co_u32_e64 v14, s[20:21], -1, v2
; %bb.2621:                             ;   in Loop: Header=BB2_2140 Depth=2
	s_or_b64 exec, exec, s[30:31]
	v_add_u32_e32 v2, 0xffffff81, v50
	v_cndmask_b32_e32 v2, v2, v61, vcc
	v_lshrrev_b32_e32 v11, 23, v10
	v_add3_u32 v50, v51, v2, v11
	v_add_u32_e32 v15, 6, v50
	v_and_b32_e32 v2, 0xfffff, v14
	v_add_u32_e32 v34, v2, v10
	v_cmp_ne_u32_e32 vcc, 0, v15
                                        ; implicit-def: $vgpr10_vgpr11
                                        ; implicit-def: $vgpr2
	s_and_saveexec_b64 s[20:21], vcc
	s_xor_b64 s[20:21], exec, s[20:21]
; %bb.2622:                             ;   in Loop: Header=BB2_2140 Depth=2
	v_cmp_lt_u64_e32 vcc, s[74:75], v[34:35]
	v_add_u32_e32 v2, 7, v50
	v_cndmask_b32_e64 v10, 0, 1, vcc
	v_cndmask_b32_e32 v2, v15, v2, vcc
	v_lshrrev_b64 v[10:11], v10, v[34:35]
; %bb.2623:                             ;   in Loop: Header=BB2_2140 Depth=2
	s_andn2_saveexec_b64 s[20:21], s[20:21]
; %bb.2624:                             ;   in Loop: Header=BB2_2140 Depth=2
	v_mov_b32_e32 v10, v34
	v_bfe_u32 v2, v34, 23, 1
	v_mov_b32_e32 v11, v35
; %bb.2625:                             ;   in Loop: Header=BB2_2140 Depth=2
	s_or_b64 exec, exec, s[20:21]
	v_lshrrev_b64 v[10:11], 20, v[10:11]
	v_cmp_gt_i32_e32 vcc, 16, v2
	v_cndmask_b32_e32 v11, 0, v11, vcc
	v_cndmask_b32_e32 v10, 7, v10, vcc
	v_cmp_eq_u32_e32 vcc, 0, v2
	v_min_i32_e32 v2, 15, v2
	v_cmp_eq_u64_e64 s[20:21], 0, v[10:11]
	v_lshlrev_b32_e32 v2, 3, v2
	v_and_b32_e32 v2, 0xf8, v2
	v_and_or_b32 v2, v10, 7, v2
	s_and_b64 s[20:21], vcc, s[20:21]
	v_cndmask_b32_e64 v2, v2, 0, s[20:21]
	v_or_b32_e32 v46, v2, v41
.LBB2_2626:                             ;   in Loop: Header=BB2_2140 Depth=2
	s_or_b64 exec, exec, s[26:27]
                                        ; implicit-def: $vgpr41
.LBB2_2627:                             ;   in Loop: Header=BB2_2140 Depth=2
	s_andn2_saveexec_b64 s[20:21], s[24:25]
; %bb.2628:                             ;   in Loop: Header=BB2_2140 Depth=2
	v_or_b32_e32 v46, 0x7e, v41
; %bb.2629:                             ;   in Loop: Header=BB2_2140 Depth=2
	s_or_b64 exec, exec, s[20:21]
                                        ; implicit-def: $vgpr14
.LBB2_2630:                             ;   in Loop: Header=BB2_2140 Depth=2
	s_andn2_saveexec_b64 s[20:21], s[22:23]
; %bb.2631:                             ;   in Loop: Header=BB2_2140 Depth=2
	v_or_b32_sdwa v46, v14, s49 dst_sel:DWORD dst_unused:UNUSED_PAD src0_sel:BYTE_3 src1_sel:DWORD
; %bb.2632:                             ;   in Loop: Header=BB2_2140 Depth=2
	s_or_b64 exec, exec, s[20:21]
	v_and_b32_e32 v2, 7, v17
	v_ffbh_u32_e32 v2, v2
	v_and_b32_e32 v14, 0x7f, v17
	v_min_u32_e32 v2, 32, v2
	v_cmp_eq_u32_e64 s[20:21], s49, v14
	v_cmp_gt_u32_e32 vcc, 8, v14
	v_subrev_u32_e32 v14, 28, v2
	v_mov_b32_e32 v10, v17
	v_mov_b32_e32 v11, v35
	v_bfe_u32 v15, v17, 3, 4
	v_sub_u32_e32 v2, 29, v2
	v_cndmask_b32_e32 v14, 0, v14, vcc
	v_cndmask_b32_e32 v2, v15, v2, vcc
	v_lshlrev_b64 v[14:15], v14, v[10:11]
	v_lshl_add_u32 v2, v2, 23, v56
	v_lshlrev_b32_e32 v11, 20, v14
	v_lshlrev_b32_e32 v14, 24, v17
	v_and_b32_e32 v11, 0x700000, v11
	v_and_b32_e32 v14, 0x80000000, v14
	v_mov_b32_e32 v34, v13
	v_or3_b32 v11, v14, v2, v11
	v_cmp_ne_u16_sdwa s[22:23], v13, v35 src0_sel:BYTE_0 src1_sel:DWORD
	s_mov_b64 s[24:25], -1
	s_and_b64 vcc, exec, s[94:95]
                                        ; implicit-def: $vgpr14
	s_cbranch_vccz .LBB2_2646
; %bb.2633:                             ;   in Loop: Header=BB2_2140 Depth=2
	v_mov_b32_e32 v14, 0
	s_and_saveexec_b64 s[24:25], s[22:23]
	s_cbranch_execz .LBB2_2639
; %bb.2634:                             ;   in Loop: Header=BB2_2140 Depth=2
	v_cmp_ne_u16_sdwa vcc, v13, s52 src0_sel:BYTE_0 src1_sel:DWORD
	v_bfrev_b32_e32 v14, 1
	s_and_saveexec_b64 s[26:27], vcc
	s_cbranch_execz .LBB2_2638
; %bb.2635:                             ;   in Loop: Header=BB2_2140 Depth=2
	v_and_b32_e32 v2, 0x7f, v13
	v_cmp_ne_u32_e32 vcc, s49, v2
	v_mov_b32_e32 v14, 0x7f800001
	s_and_saveexec_b64 s[30:31], vcc
	s_cbranch_execz .LBB2_2637
; %bb.2636:                             ;   in Loop: Header=BB2_2140 Depth=2
	v_and_b32_e32 v14, 7, v13
	v_lshrrev_b32_e32 v15, 3, v2
	v_cmp_gt_u32_e32 vcc, 8, v2
	v_ffbh_u32_e32 v2, v14
	v_min_u32_e32 v2, 32, v2
	v_subrev_u32_e32 v14, 28, v2
	v_sub_u32_e32 v2, 29, v2
	v_cndmask_b32_e32 v14, 0, v14, vcc
	v_cndmask_b32_e32 v2, v15, v2, vcc
	v_lshlrev_b64 v[14:15], v14, v[34:35]
	v_lshlrev_b32_e32 v15, 24, v34
	v_lshlrev_b32_e32 v14, 20, v14
	v_and_b32_e32 v14, 0x700000, v14
	v_and_b32_e32 v15, 0x80000000, v15
	v_lshl_add_u32 v2, v2, 23, v56
	v_or3_b32 v14, v15, v2, v14
.LBB2_2637:                             ;   in Loop: Header=BB2_2140 Depth=2
	s_or_b64 exec, exec, s[30:31]
.LBB2_2638:                             ;   in Loop: Header=BB2_2140 Depth=2
	s_or_b64 exec, exec, s[26:27]
.LBB2_2639:                             ;   in Loop: Header=BB2_2140 Depth=2
	s_or_b64 exec, exec, s[24:25]
	v_cmp_gt_i16_sdwa s[26:27], v17, s49 src0_sel:BYTE_0 src1_sel:DWORD
	s_mov_b64 s[24:25], 0
	s_and_saveexec_b64 vcc, s[26:27]
	s_xor_b64 s[26:27], exec, vcc
	s_cbranch_execz .LBB2_2832
; %bb.2640:                             ;   in Loop: Header=BB2_2140 Depth=2
	v_cmp_eq_u16_sdwa s[30:31], v17, s52 src0_sel:BYTE_0 src1_sel:DWORD
	s_mov_b64 s[24:25], -1
	s_and_saveexec_b64 vcc, s[30:31]
; %bb.2641:                             ;   in Loop: Header=BB2_2140 Depth=2
	s_xor_b64 s[24:25], exec, -1
; %bb.2642:                             ;   in Loop: Header=BB2_2140 Depth=2
	s_or_b64 exec, exec, vcc
	s_and_b64 s[24:25], s[24:25], exec
	s_or_saveexec_b64 s[26:27], s[26:27]
	v_bfrev_b32_e32 v2, 1
	s_xor_b64 exec, exec, s[26:27]
	s_cbranch_execnz .LBB2_2833
.LBB2_2643:                             ;   in Loop: Header=BB2_2140 Depth=2
	s_or_b64 exec, exec, s[26:27]
	s_and_saveexec_b64 s[26:27], s[24:25]
.LBB2_2644:                             ;   in Loop: Header=BB2_2140 Depth=2
	v_cndmask_b32_e64 v2, v11, v59, s[20:21]
.LBB2_2645:                             ;   in Loop: Header=BB2_2140 Depth=2
	s_or_b64 exec, exec, s[26:27]
	v_max_f32_e32 v2, v2, v2
	v_max_f32_e32 v14, v14, v14
	;; [unrolled: 1-line block ×3, first 2 shown]
	s_mov_b64 s[24:25], 0
.LBB2_2646:                             ;   in Loop: Header=BB2_2140 Depth=2
	s_and_b64 vcc, exec, s[24:25]
	s_cbranch_vccz .LBB2_2660
; %bb.2647:                             ;   in Loop: Header=BB2_2140 Depth=2
	v_mov_b32_e32 v14, 0
	s_and_saveexec_b64 s[24:25], s[22:23]
	s_cbranch_execz .LBB2_2653
; %bb.2648:                             ;   in Loop: Header=BB2_2140 Depth=2
	v_cmp_ne_u16_sdwa s[26:27], v13, s52 src0_sel:BYTE_0 src1_sel:DWORD
	v_bfrev_b32_e32 v14, 1
	s_and_saveexec_b64 s[22:23], s[26:27]
	s_cbranch_execz .LBB2_2652
; %bb.2649:                             ;   in Loop: Header=BB2_2140 Depth=2
	v_and_b32_e32 v2, 0x7f, v13
	v_cmp_ne_u32_e32 vcc, s49, v2
	v_mov_b32_e32 v14, 0x7f800001
	s_and_saveexec_b64 s[26:27], vcc
	s_cbranch_execz .LBB2_2651
; %bb.2650:                             ;   in Loop: Header=BB2_2140 Depth=2
	v_and_b32_e32 v14, 7, v13
	v_lshrrev_b32_e32 v15, 3, v2
	v_cmp_gt_u32_e32 vcc, 8, v2
	v_ffbh_u32_e32 v2, v14
	v_min_u32_e32 v2, 32, v2
	v_subrev_u32_e32 v14, 28, v2
	v_sub_u32_e32 v2, 29, v2
	v_cndmask_b32_e32 v14, 0, v14, vcc
	v_cndmask_b32_e32 v2, v15, v2, vcc
	v_lshlrev_b64 v[14:15], v14, v[34:35]
	v_lshlrev_b32_e32 v15, 24, v34
	v_lshlrev_b32_e32 v14, 20, v14
	v_and_b32_e32 v14, 0x700000, v14
	v_and_b32_e32 v15, 0x80000000, v15
	v_lshl_add_u32 v2, v2, 23, v56
	v_or3_b32 v14, v15, v2, v14
.LBB2_2651:                             ;   in Loop: Header=BB2_2140 Depth=2
	s_or_b64 exec, exec, s[26:27]
.LBB2_2652:                             ;   in Loop: Header=BB2_2140 Depth=2
	s_or_b64 exec, exec, s[22:23]
.LBB2_2653:                             ;   in Loop: Header=BB2_2140 Depth=2
	s_or_b64 exec, exec, s[24:25]
	v_cmp_gt_i16_sdwa s[24:25], v17, s49 src0_sel:BYTE_0 src1_sel:DWORD
	s_mov_b64 s[22:23], 0
	s_and_saveexec_b64 s[26:27], s[24:25]
	s_xor_b64 s[24:25], exec, s[26:27]
	s_cbranch_execz .LBB2_2834
; %bb.2654:                             ;   in Loop: Header=BB2_2140 Depth=2
	v_cmp_eq_u16_sdwa vcc, v17, s52 src0_sel:BYTE_0 src1_sel:DWORD
	s_mov_b64 s[22:23], -1
	s_and_saveexec_b64 s[26:27], vcc
; %bb.2655:                             ;   in Loop: Header=BB2_2140 Depth=2
	s_xor_b64 s[22:23], exec, -1
; %bb.2656:                             ;   in Loop: Header=BB2_2140 Depth=2
	s_or_b64 exec, exec, s[26:27]
	s_and_b64 s[22:23], s[22:23], exec
	s_or_saveexec_b64 s[24:25], s[24:25]
	v_bfrev_b32_e32 v2, 1
	s_xor_b64 exec, exec, s[24:25]
	s_cbranch_execnz .LBB2_2835
.LBB2_2657:                             ;   in Loop: Header=BB2_2140 Depth=2
	s_or_b64 exec, exec, s[24:25]
	s_and_saveexec_b64 s[24:25], s[22:23]
.LBB2_2658:                             ;   in Loop: Header=BB2_2140 Depth=2
	v_cndmask_b32_e64 v2, v11, v59, s[20:21]
.LBB2_2659:                             ;   in Loop: Header=BB2_2140 Depth=2
	s_or_b64 exec, exec, s[24:25]
	v_max_f32_e32 v2, v2, v2
	v_max_f32_e32 v11, v14, v14
	v_min_f32_e32 v14, v11, v2
.LBB2_2660:                             ;   in Loop: Header=BB2_2140 Depth=2
	v_and_b32_e32 v24, 0x7f800000, v14
	v_mov_b32_e32 v25, v35
	v_cmp_ne_u64_e32 vcc, s[62:63], v[24:25]
                                        ; implicit-def: $vgpr41
	s_and_saveexec_b64 s[20:21], vcc
	s_xor_b64 s[22:23], exec, s[20:21]
	s_cbranch_execz .LBB2_2674
; %bb.2661:                             ;   in Loop: Header=BB2_2140 Depth=2
	v_and_b32_e32 v24, 0x7fffffff, v14
	v_mov_b32_e32 v25, v35
	v_cmp_gt_u64_e32 vcc, s[72:73], v[24:25]
	v_and_b32_sdwa v11, v14, s52 dst_sel:DWORD dst_unused:UNUSED_PAD src0_sel:BYTE_3 src1_sel:DWORD
                                        ; implicit-def: $vgpr41
	s_and_saveexec_b64 s[20:21], vcc
	s_xor_b64 s[24:25], exec, s[20:21]
	s_cbranch_execz .LBB2_2671
; %bb.2662:                             ;   in Loop: Header=BB2_2140 Depth=2
	v_mov_b32_e32 v41, 0
	v_cmp_ne_u32_e32 vcc, 0, v14
	s_and_saveexec_b64 s[26:27], vcc
	s_cbranch_execz .LBB2_2670
; %bb.2663:                             ;   in Loop: Header=BB2_2140 Depth=2
	v_bfe_u32 v50, v14, 23, 8
	v_and_b32_e32 v2, 0x7fffff, v14
	v_cmp_gt_u32_e64 s[20:21], s53, v50
	v_sub_u32_e32 v14, 0x79, v50
	v_cmp_eq_u32_e32 vcc, 0, v50
	v_cndmask_b32_e64 v14, 0, v14, s[20:21]
	v_or_b32_e32 v15, 0x800000, v2
	v_cndmask_b32_e32 v51, v14, v60, vcc
	v_cndmask_b32_e32 v14, v15, v2, vcc
	v_add_u32_e32 v2, 20, v51
	v_lshlrev_b64 v[24:25], v2, -1
	v_mov_b32_e32 v15, v35
	v_add_u32_e32 v2, 19, v51
	v_bfi_b32 v24, v24, 0, v14
	v_lshlrev_b64 v[41:42], v2, 1
	v_lshrrev_b64 v[14:15], v51, v[14:15]
	v_bfi_b32 v25, v25, 0, 0
	v_cmp_eq_u64_e64 s[20:21], v[24:25], v[41:42]
	v_mov_b32_e32 v42, v15
	v_mov_b32_e32 v41, v14
	s_and_saveexec_b64 s[30:31], s[20:21]
; %bb.2664:                             ;   in Loop: Header=BB2_2140 Depth=2
	v_bfe_u32 v2, v14, 20, 1
	v_add_co_u32_e64 v2, s[20:21], v14, v2
	v_add_co_u32_e64 v41, s[20:21], -1, v2
; %bb.2665:                             ;   in Loop: Header=BB2_2140 Depth=2
	s_or_b64 exec, exec, s[30:31]
	v_add_u32_e32 v2, 0xffffff81, v50
	v_cndmask_b32_e32 v2, v2, v61, vcc
	v_lshrrev_b32_e32 v15, 23, v14
	v_add3_u32 v51, v51, v2, v15
	v_add_u32_e32 v50, 6, v51
	v_and_b32_e32 v2, 0xfffff, v41
	v_add_u32_e32 v14, v2, v14
	v_mov_b32_e32 v15, v35
	v_cmp_ne_u32_e32 vcc, 0, v50
                                        ; implicit-def: $vgpr2
	s_and_saveexec_b64 s[20:21], vcc
	s_xor_b64 s[20:21], exec, s[20:21]
; %bb.2666:                             ;   in Loop: Header=BB2_2140 Depth=2
	v_cmp_lt_u64_e32 vcc, s[74:75], v[14:15]
	v_add_u32_e32 v2, 7, v51
	v_cndmask_b32_e64 v24, 0, 1, vcc
	v_cndmask_b32_e32 v2, v50, v2, vcc
	v_lshrrev_b64 v[14:15], v24, v[14:15]
; %bb.2667:                             ;   in Loop: Header=BB2_2140 Depth=2
	s_andn2_saveexec_b64 s[20:21], s[20:21]
; %bb.2668:                             ;   in Loop: Header=BB2_2140 Depth=2
	v_bfe_u32 v2, v14, 23, 1
; %bb.2669:                             ;   in Loop: Header=BB2_2140 Depth=2
	s_or_b64 exec, exec, s[20:21]
	v_lshrrev_b64 v[14:15], 20, v[14:15]
	v_cmp_gt_i32_e32 vcc, 16, v2
	v_cndmask_b32_e32 v15, 0, v15, vcc
	v_cndmask_b32_e32 v14, 7, v14, vcc
	v_cmp_eq_u32_e32 vcc, 0, v2
	v_min_i32_e32 v2, 15, v2
	v_cmp_eq_u64_e64 s[20:21], 0, v[14:15]
	v_lshlrev_b32_e32 v2, 3, v2
	v_and_b32_e32 v2, 0xf8, v2
	v_and_or_b32 v2, v14, 7, v2
	s_and_b64 s[20:21], vcc, s[20:21]
	v_cndmask_b32_e64 v2, v2, 0, s[20:21]
	v_or_b32_e32 v41, v2, v11
.LBB2_2670:                             ;   in Loop: Header=BB2_2140 Depth=2
	s_or_b64 exec, exec, s[26:27]
                                        ; implicit-def: $vgpr11
.LBB2_2671:                             ;   in Loop: Header=BB2_2140 Depth=2
	s_andn2_saveexec_b64 s[20:21], s[24:25]
; %bb.2672:                             ;   in Loop: Header=BB2_2140 Depth=2
	v_or_b32_e32 v41, 0x7e, v11
; %bb.2673:                             ;   in Loop: Header=BB2_2140 Depth=2
	s_or_b64 exec, exec, s[20:21]
                                        ; implicit-def: $vgpr14
.LBB2_2674:                             ;   in Loop: Header=BB2_2140 Depth=2
	s_andn2_saveexec_b64 s[20:21], s[22:23]
; %bb.2675:                             ;   in Loop: Header=BB2_2140 Depth=2
	v_or_b32_sdwa v41, v14, s49 dst_sel:DWORD dst_unused:UNUSED_PAD src0_sel:BYTE_3 src1_sel:DWORD
; %bb.2676:                             ;   in Loop: Header=BB2_2140 Depth=2
	s_or_b64 exec, exec, s[20:21]
	v_lshrrev_b16_e32 v10, 8, v10
	v_and_b32_e32 v2, 7, v10
	v_and_b32_e32 v15, 0x7f, v10
	v_cmp_eq_u32_e64 s[20:21], s49, v15
	v_cmp_gt_u32_e32 vcc, 8, v15
	v_ffbh_u32_e32 v15, v2
	v_min_u32_e32 v15, 32, v15
	v_mov_b32_e32 v11, v35
	v_subrev_u32_e32 v24, 28, v15
	v_lshlrev_b64 v[24:25], v24, v[10:11]
	v_bfe_u32 v50, v10, 3, 4
	v_sub_u32_e32 v11, 29, v15
	v_and_b32_e32 v15, 7, v24
	v_cndmask_b32_e32 v11, v50, v11, vcc
	v_cndmask_b32_e32 v2, v2, v15, vcc
	v_lshlrev_b32_e32 v15, 24, v10
	v_lshrrev_b16_e32 v14, 8, v34
	v_lshlrev_b32_e32 v2, 20, v2
	v_and_b32_e32 v15, 0x80000000, v15
	v_lshl_add_u32 v11, v11, 23, v56
	v_or3_b32 v11, v15, v11, v2
	v_cmp_ne_u16_e64 s[22:23], 0, v14
	s_mov_b64 s[24:25], -1
	s_and_b64 vcc, exec, s[94:95]
                                        ; implicit-def: $vgpr15
	s_cbranch_vccz .LBB2_2690
; %bb.2677:                             ;   in Loop: Header=BB2_2140 Depth=2
	v_mov_b32_e32 v15, 0
	s_and_saveexec_b64 s[24:25], s[22:23]
	s_cbranch_execz .LBB2_2683
; %bb.2678:                             ;   in Loop: Header=BB2_2140 Depth=2
	v_cmp_ne_u16_e32 vcc, s52, v14
	v_bfrev_b32_e32 v15, 1
	s_and_saveexec_b64 s[26:27], vcc
	s_cbranch_execz .LBB2_2682
; %bb.2679:                             ;   in Loop: Header=BB2_2140 Depth=2
	v_and_b32_e32 v2, 0x7f, v14
	v_cmp_ne_u32_e32 vcc, s49, v2
	v_mov_b32_e32 v15, 0x7f800001
	s_and_saveexec_b64 s[30:31], vcc
	s_cbranch_execz .LBB2_2681
; %bb.2680:                             ;   in Loop: Header=BB2_2140 Depth=2
	v_and_b32_e32 v15, 7, v14
	v_lshrrev_b32_e32 v50, 3, v2
	v_cmp_gt_u32_e32 vcc, 8, v2
	v_ffbh_u32_e32 v2, v15
	v_min_u32_e32 v2, 32, v2
	v_subrev_u32_e32 v24, 28, v2
	v_lshlrev_b64 v[24:25], v24, v[14:15]
	v_sub_u32_e32 v2, 29, v2
	v_and_b32_e32 v24, 7, v24
	v_cndmask_b32_e32 v2, v50, v2, vcc
	v_cndmask_b32_e32 v15, v15, v24, vcc
	v_lshlrev_b32_e32 v24, 16, v34
	v_lshlrev_b32_e32 v15, 20, v15
	v_and_b32_e32 v24, 0x80000000, v24
	v_lshl_add_u32 v2, v2, 23, v56
	v_or3_b32 v15, v24, v2, v15
.LBB2_2681:                             ;   in Loop: Header=BB2_2140 Depth=2
	s_or_b64 exec, exec, s[30:31]
.LBB2_2682:                             ;   in Loop: Header=BB2_2140 Depth=2
	s_or_b64 exec, exec, s[26:27]
.LBB2_2683:                             ;   in Loop: Header=BB2_2140 Depth=2
	s_or_b64 exec, exec, s[24:25]
	v_cmp_lt_i16_e32 vcc, s49, v10
	s_mov_b64 s[24:25], 0
	s_and_saveexec_b64 s[26:27], vcc
	s_xor_b64 s[26:27], exec, s[26:27]
	s_cbranch_execz .LBB2_2836
; %bb.2684:                             ;   in Loop: Header=BB2_2140 Depth=2
	v_cmp_eq_u16_e32 vcc, s52, v10
	s_mov_b64 s[24:25], -1
	s_and_saveexec_b64 s[30:31], vcc
; %bb.2685:                             ;   in Loop: Header=BB2_2140 Depth=2
	s_xor_b64 s[24:25], exec, -1
; %bb.2686:                             ;   in Loop: Header=BB2_2140 Depth=2
	s_or_b64 exec, exec, s[30:31]
	s_and_b64 s[24:25], s[24:25], exec
	s_or_saveexec_b64 s[26:27], s[26:27]
	v_bfrev_b32_e32 v2, 1
	s_xor_b64 exec, exec, s[26:27]
	s_cbranch_execnz .LBB2_2837
.LBB2_2687:                             ;   in Loop: Header=BB2_2140 Depth=2
	s_or_b64 exec, exec, s[26:27]
	s_and_saveexec_b64 s[26:27], s[24:25]
.LBB2_2688:                             ;   in Loop: Header=BB2_2140 Depth=2
	v_cndmask_b32_e64 v2, v11, v59, s[20:21]
.LBB2_2689:                             ;   in Loop: Header=BB2_2140 Depth=2
	s_or_b64 exec, exec, s[26:27]
	v_max_f32_e32 v2, v2, v2
	v_max_f32_e32 v15, v15, v15
	;; [unrolled: 1-line block ×3, first 2 shown]
	s_mov_b64 s[24:25], 0
.LBB2_2690:                             ;   in Loop: Header=BB2_2140 Depth=2
	s_and_b64 vcc, exec, s[24:25]
	s_cbranch_vccz .LBB2_2704
; %bb.2691:                             ;   in Loop: Header=BB2_2140 Depth=2
	v_mov_b32_e32 v15, 0
	s_and_saveexec_b64 s[24:25], s[22:23]
	s_cbranch_execz .LBB2_2697
; %bb.2692:                             ;   in Loop: Header=BB2_2140 Depth=2
	v_cmp_ne_u16_e32 vcc, s52, v14
	v_bfrev_b32_e32 v15, 1
	s_and_saveexec_b64 s[22:23], vcc
	s_cbranch_execz .LBB2_2696
; %bb.2693:                             ;   in Loop: Header=BB2_2140 Depth=2
	v_and_b32_e32 v2, 0x7f, v14
	v_cmp_ne_u32_e32 vcc, s49, v2
	v_mov_b32_e32 v15, 0x7f800001
	s_and_saveexec_b64 s[26:27], vcc
	s_cbranch_execz .LBB2_2695
; %bb.2694:                             ;   in Loop: Header=BB2_2140 Depth=2
	v_and_b32_e32 v24, 7, v14
	v_lshrrev_b32_e32 v25, 3, v2
	v_cmp_gt_u32_e32 vcc, 8, v2
	v_ffbh_u32_e32 v2, v24
	v_min_u32_e32 v2, 32, v2
	v_subrev_u32_e32 v15, 28, v2
	v_lshlrev_b64 v[14:15], v15, v[14:15]
	v_sub_u32_e32 v2, 29, v2
	v_and_b32_e32 v14, 7, v14
	v_cndmask_b32_e32 v2, v25, v2, vcc
	v_cndmask_b32_e32 v14, v24, v14, vcc
	v_lshlrev_b32_e32 v15, 16, v34
	v_lshlrev_b32_e32 v14, 20, v14
	v_and_b32_e32 v15, 0x80000000, v15
	v_lshl_add_u32 v2, v2, 23, v56
	v_or3_b32 v15, v15, v2, v14
.LBB2_2695:                             ;   in Loop: Header=BB2_2140 Depth=2
	s_or_b64 exec, exec, s[26:27]
.LBB2_2696:                             ;   in Loop: Header=BB2_2140 Depth=2
	s_or_b64 exec, exec, s[22:23]
.LBB2_2697:                             ;   in Loop: Header=BB2_2140 Depth=2
	s_or_b64 exec, exec, s[24:25]
	v_cmp_lt_i16_e32 vcc, s49, v10
	s_mov_b64 s[22:23], 0
	s_and_saveexec_b64 s[24:25], vcc
	s_xor_b64 s[24:25], exec, s[24:25]
	s_cbranch_execz .LBB2_2838
; %bb.2698:                             ;   in Loop: Header=BB2_2140 Depth=2
	v_cmp_eq_u16_e32 vcc, s52, v10
	s_mov_b64 s[22:23], -1
	s_and_saveexec_b64 s[26:27], vcc
; %bb.2699:                             ;   in Loop: Header=BB2_2140 Depth=2
	s_xor_b64 s[22:23], exec, -1
; %bb.2700:                             ;   in Loop: Header=BB2_2140 Depth=2
	s_or_b64 exec, exec, s[26:27]
	s_and_b64 s[22:23], s[22:23], exec
                                        ; implicit-def: $vgpr10
	s_or_saveexec_b64 s[24:25], s[24:25]
	v_bfrev_b32_e32 v2, 1
	s_xor_b64 exec, exec, s[24:25]
	s_cbranch_execnz .LBB2_2839
.LBB2_2701:                             ;   in Loop: Header=BB2_2140 Depth=2
	s_or_b64 exec, exec, s[24:25]
	s_and_saveexec_b64 s[24:25], s[22:23]
.LBB2_2702:                             ;   in Loop: Header=BB2_2140 Depth=2
	v_cndmask_b32_e64 v2, v11, v59, s[20:21]
.LBB2_2703:                             ;   in Loop: Header=BB2_2140 Depth=2
	s_or_b64 exec, exec, s[24:25]
	v_max_f32_e32 v2, v2, v2
	v_max_f32_e32 v10, v15, v15
	v_min_f32_e32 v15, v10, v2
.LBB2_2704:                             ;   in Loop: Header=BB2_2140 Depth=2
	v_and_b32_e32 v34, 0x7f800000, v15
	v_cmp_ne_u64_e32 vcc, s[62:63], v[34:35]
                                        ; implicit-def: $vgpr42
	s_and_saveexec_b64 s[20:21], vcc
	s_xor_b64 s[22:23], exec, s[20:21]
	s_cbranch_execz .LBB2_2718
; %bb.2705:                             ;   in Loop: Header=BB2_2140 Depth=2
	v_and_b32_e32 v34, 0x7fffffff, v15
	v_cmp_gt_u64_e32 vcc, s[72:73], v[34:35]
	v_and_b32_sdwa v50, v15, s52 dst_sel:DWORD dst_unused:UNUSED_PAD src0_sel:BYTE_3 src1_sel:DWORD
                                        ; implicit-def: $vgpr42
	s_and_saveexec_b64 s[20:21], vcc
	s_xor_b64 s[24:25], exec, s[20:21]
	s_cbranch_execz .LBB2_2715
; %bb.2706:                             ;   in Loop: Header=BB2_2140 Depth=2
	v_mov_b32_e32 v42, 0
	v_cmp_ne_u32_e32 vcc, 0, v15
	s_and_saveexec_b64 s[26:27], vcc
	s_cbranch_execz .LBB2_2714
; %bb.2707:                             ;   in Loop: Header=BB2_2140 Depth=2
	v_bfe_u32 v51, v15, 23, 8
	v_cmp_gt_u32_e64 s[20:21], s53, v51
	v_sub_u32_e32 v10, 0x79, v51
	v_and_b32_e32 v2, 0x7fffff, v15
	v_cmp_eq_u32_e32 vcc, 0, v51
	v_cndmask_b32_e64 v10, 0, v10, s[20:21]
	v_or_b32_e32 v11, 0x800000, v2
	v_cndmask_b32_e32 v42, v10, v60, vcc
	v_cndmask_b32_e32 v34, v11, v2, vcc
	v_add_u32_e32 v2, 20, v42
	v_lshlrev_b64 v[10:11], v2, -1
	v_add_u32_e32 v2, 19, v42
	v_lshlrev_b64 v[14:15], v2, 1
	v_bfi_b32 v11, v11, 0, 0
	v_bfi_b32 v10, v10, 0, v34
	v_cmp_eq_u64_e64 s[20:21], v[10:11], v[14:15]
	v_lshrrev_b64 v[10:11], v42, v[34:35]
	v_mov_b32_e32 v15, v11
	v_mov_b32_e32 v14, v10
	s_and_saveexec_b64 s[30:31], s[20:21]
; %bb.2708:                             ;   in Loop: Header=BB2_2140 Depth=2
	v_bfe_u32 v2, v10, 20, 1
	v_add_co_u32_e64 v2, s[20:21], v10, v2
	v_add_co_u32_e64 v14, s[20:21], -1, v2
; %bb.2709:                             ;   in Loop: Header=BB2_2140 Depth=2
	s_or_b64 exec, exec, s[30:31]
	v_add_u32_e32 v2, 0xffffff81, v51
	v_cndmask_b32_e32 v2, v2, v61, vcc
	v_lshrrev_b32_e32 v11, 23, v10
	v_add3_u32 v51, v42, v2, v11
	v_add_u32_e32 v15, 6, v51
	v_and_b32_e32 v2, 0xfffff, v14
	v_add_u32_e32 v34, v2, v10
	v_cmp_ne_u32_e32 vcc, 0, v15
                                        ; implicit-def: $vgpr10_vgpr11
                                        ; implicit-def: $vgpr2
	s_and_saveexec_b64 s[20:21], vcc
	s_xor_b64 s[20:21], exec, s[20:21]
; %bb.2710:                             ;   in Loop: Header=BB2_2140 Depth=2
	v_cmp_lt_u64_e32 vcc, s[74:75], v[34:35]
	v_add_u32_e32 v2, 7, v51
	v_cndmask_b32_e64 v10, 0, 1, vcc
	v_cndmask_b32_e32 v2, v15, v2, vcc
	v_lshrrev_b64 v[10:11], v10, v[34:35]
; %bb.2711:                             ;   in Loop: Header=BB2_2140 Depth=2
	s_andn2_saveexec_b64 s[20:21], s[20:21]
; %bb.2712:                             ;   in Loop: Header=BB2_2140 Depth=2
	v_mov_b32_e32 v10, v34
	v_bfe_u32 v2, v34, 23, 1
	v_mov_b32_e32 v11, v35
; %bb.2713:                             ;   in Loop: Header=BB2_2140 Depth=2
	s_or_b64 exec, exec, s[20:21]
	v_lshrrev_b64 v[10:11], 20, v[10:11]
	v_cmp_gt_i32_e32 vcc, 16, v2
	v_cndmask_b32_e32 v11, 0, v11, vcc
	v_cndmask_b32_e32 v10, 7, v10, vcc
	v_cmp_eq_u32_e32 vcc, 0, v2
	v_min_i32_e32 v2, 15, v2
	v_cmp_eq_u64_e64 s[20:21], 0, v[10:11]
	v_lshlrev_b32_e32 v2, 3, v2
	v_and_b32_e32 v2, 0xf8, v2
	v_and_or_b32 v2, v10, 7, v2
	s_and_b64 s[20:21], vcc, s[20:21]
	v_cndmask_b32_e64 v2, v2, 0, s[20:21]
	v_or_b32_e32 v42, v2, v50
.LBB2_2714:                             ;   in Loop: Header=BB2_2140 Depth=2
	s_or_b64 exec, exec, s[26:27]
                                        ; implicit-def: $vgpr50
.LBB2_2715:                             ;   in Loop: Header=BB2_2140 Depth=2
	s_andn2_saveexec_b64 s[20:21], s[24:25]
; %bb.2716:                             ;   in Loop: Header=BB2_2140 Depth=2
	v_or_b32_e32 v42, 0x7e, v50
; %bb.2717:                             ;   in Loop: Header=BB2_2140 Depth=2
	s_or_b64 exec, exec, s[20:21]
                                        ; implicit-def: $vgpr15
.LBB2_2718:                             ;   in Loop: Header=BB2_2140 Depth=2
	s_andn2_saveexec_b64 s[20:21], s[22:23]
; %bb.2719:                             ;   in Loop: Header=BB2_2140 Depth=2
	v_or_b32_sdwa v42, v15, s49 dst_sel:DWORD dst_unused:UNUSED_PAD src0_sel:BYTE_3 src1_sel:DWORD
; %bb.2720:                             ;   in Loop: Header=BB2_2140 Depth=2
	s_or_b64 exec, exec, s[20:21]
	v_bfe_u32 v2, v17, 16, 3
	v_bfe_u32 v11, v17, 16, 7
	v_cmp_eq_u32_e64 s[20:21], s49, v11
	v_cmp_gt_u32_e32 vcc, 8, v11
	v_ffbh_u32_e32 v11, v2
	v_min_u32_e32 v11, 32, v11
	v_lshrrev_b32_e32 v10, 16, v17
	v_subrev_u32_e32 v14, 28, v11
	v_lshlrev_b64 v[14:15], v14, v[10:11]
	v_bfe_u32 v24, v10, 3, 4
	v_sub_u32_e32 v11, 29, v11
	v_and_b32_e32 v14, 7, v14
	v_cndmask_b32_e32 v11, v24, v11, vcc
	v_cndmask_b32_e32 v2, v2, v14, vcc
	v_lshlrev_b32_e32 v14, 8, v17
	v_lshlrev_b32_e32 v2, 20, v2
	v_and_b32_e32 v14, 0x80000000, v14
	v_lshl_add_u32 v11, v11, 23, v56
	v_or3_b32 v14, v14, v11, v2
	v_lshrrev_b32_e32 v11, 16, v13
	v_cmp_ne_u16_sdwa s[22:23], v11, v35 src0_sel:BYTE_0 src1_sel:DWORD
	s_mov_b64 s[24:25], -1
	s_and_b64 vcc, exec, s[94:95]
                                        ; implicit-def: $vgpr15
	s_cbranch_vccz .LBB2_2734
; %bb.2721:                             ;   in Loop: Header=BB2_2140 Depth=2
	v_mov_b32_e32 v15, 0
	s_and_saveexec_b64 s[24:25], s[22:23]
	s_cbranch_execz .LBB2_2727
; %bb.2722:                             ;   in Loop: Header=BB2_2140 Depth=2
	v_cmp_ne_u16_sdwa vcc, v11, s52 src0_sel:BYTE_0 src1_sel:DWORD
	v_bfrev_b32_e32 v15, 1
	s_and_saveexec_b64 s[26:27], vcc
	s_cbranch_execz .LBB2_2726
; %bb.2723:                             ;   in Loop: Header=BB2_2140 Depth=2
	v_bfe_u32 v2, v13, 16, 7
	v_cmp_ne_u32_e32 vcc, s49, v2
	v_mov_b32_e32 v15, 0x7f800001
	s_and_saveexec_b64 s[30:31], vcc
	s_cbranch_execz .LBB2_2725
; %bb.2724:                             ;   in Loop: Header=BB2_2140 Depth=2
	v_and_b32_e32 v15, 7, v11
	v_lshrrev_b32_e32 v34, 3, v2
	v_cmp_gt_u32_e32 vcc, 8, v2
	v_ffbh_u32_e32 v2, v15
	v_min_u32_e32 v2, 32, v2
	v_subrev_u32_e32 v24, 28, v2
	v_lshlrev_b64 v[24:25], v24, v[11:12]
	v_sub_u32_e32 v2, 29, v2
	v_and_b32_e32 v24, 7, v24
	v_cndmask_b32_e32 v2, v34, v2, vcc
	v_cndmask_b32_e32 v15, v15, v24, vcc
	v_lshlrev_b32_e32 v24, 24, v11
	v_lshlrev_b32_e32 v15, 20, v15
	v_and_b32_e32 v24, 0x80000000, v24
	v_lshl_add_u32 v2, v2, 23, v56
	v_or3_b32 v15, v24, v2, v15
.LBB2_2725:                             ;   in Loop: Header=BB2_2140 Depth=2
	s_or_b64 exec, exec, s[30:31]
.LBB2_2726:                             ;   in Loop: Header=BB2_2140 Depth=2
	s_or_b64 exec, exec, s[26:27]
.LBB2_2727:                             ;   in Loop: Header=BB2_2140 Depth=2
	s_or_b64 exec, exec, s[24:25]
	v_cmp_gt_i16_sdwa s[26:27], v10, s49 src0_sel:BYTE_0 src1_sel:DWORD
	s_mov_b64 s[24:25], 0
	s_and_saveexec_b64 vcc, s[26:27]
	s_xor_b64 s[26:27], exec, vcc
	s_cbranch_execz .LBB2_2840
; %bb.2728:                             ;   in Loop: Header=BB2_2140 Depth=2
	v_cmp_eq_u16_sdwa s[30:31], v10, s52 src0_sel:BYTE_0 src1_sel:DWORD
	s_mov_b64 s[24:25], -1
	s_and_saveexec_b64 vcc, s[30:31]
; %bb.2729:                             ;   in Loop: Header=BB2_2140 Depth=2
	s_xor_b64 s[24:25], exec, -1
; %bb.2730:                             ;   in Loop: Header=BB2_2140 Depth=2
	s_or_b64 exec, exec, vcc
	s_and_b64 s[24:25], s[24:25], exec
	s_or_saveexec_b64 s[26:27], s[26:27]
	v_bfrev_b32_e32 v2, 1
	s_xor_b64 exec, exec, s[26:27]
	s_cbranch_execnz .LBB2_2841
.LBB2_2731:                             ;   in Loop: Header=BB2_2140 Depth=2
	s_or_b64 exec, exec, s[26:27]
	s_and_saveexec_b64 s[26:27], s[24:25]
.LBB2_2732:                             ;   in Loop: Header=BB2_2140 Depth=2
	v_cndmask_b32_e64 v2, v14, v59, s[20:21]
.LBB2_2733:                             ;   in Loop: Header=BB2_2140 Depth=2
	s_or_b64 exec, exec, s[26:27]
	v_max_f32_e32 v2, v2, v2
	v_max_f32_e32 v15, v15, v15
	;; [unrolled: 1-line block ×3, first 2 shown]
	s_mov_b64 s[24:25], 0
.LBB2_2734:                             ;   in Loop: Header=BB2_2140 Depth=2
	s_and_b64 vcc, exec, s[24:25]
	s_cbranch_vccz .LBB2_2748
; %bb.2735:                             ;   in Loop: Header=BB2_2140 Depth=2
	v_mov_b32_e32 v15, 0
	s_and_saveexec_b64 s[24:25], s[22:23]
	s_cbranch_execz .LBB2_2741
; %bb.2736:                             ;   in Loop: Header=BB2_2140 Depth=2
	v_cmp_ne_u16_sdwa s[26:27], v11, s52 src0_sel:BYTE_0 src1_sel:DWORD
	v_bfrev_b32_e32 v15, 1
	s_and_saveexec_b64 s[22:23], s[26:27]
	s_cbranch_execz .LBB2_2740
; %bb.2737:                             ;   in Loop: Header=BB2_2140 Depth=2
	v_bfe_u32 v2, v13, 16, 7
	v_cmp_ne_u32_e32 vcc, s49, v2
	v_mov_b32_e32 v15, 0x7f800001
	s_and_saveexec_b64 s[26:27], vcc
	s_cbranch_execz .LBB2_2739
; %bb.2738:                             ;   in Loop: Header=BB2_2140 Depth=2
	v_and_b32_e32 v15, 7, v11
	v_lshrrev_b32_e32 v34, 3, v2
	v_cmp_gt_u32_e32 vcc, 8, v2
	v_ffbh_u32_e32 v2, v15
	v_min_u32_e32 v2, 32, v2
	v_subrev_u32_e32 v24, 28, v2
	v_lshlrev_b64 v[24:25], v24, v[11:12]
	v_sub_u32_e32 v2, 29, v2
	v_and_b32_e32 v24, 7, v24
	v_cndmask_b32_e32 v2, v34, v2, vcc
	v_cndmask_b32_e32 v15, v15, v24, vcc
	v_lshlrev_b32_e32 v11, 24, v11
	v_lshlrev_b32_e32 v15, 20, v15
	v_and_b32_e32 v11, 0x80000000, v11
	v_lshl_add_u32 v2, v2, 23, v56
	v_or3_b32 v15, v11, v2, v15
.LBB2_2739:                             ;   in Loop: Header=BB2_2140 Depth=2
	s_or_b64 exec, exec, s[26:27]
.LBB2_2740:                             ;   in Loop: Header=BB2_2140 Depth=2
	s_or_b64 exec, exec, s[22:23]
.LBB2_2741:                             ;   in Loop: Header=BB2_2140 Depth=2
	s_or_b64 exec, exec, s[24:25]
	v_cmp_gt_i16_sdwa s[24:25], v10, s49 src0_sel:BYTE_0 src1_sel:DWORD
	s_mov_b64 s[22:23], 0
	s_and_saveexec_b64 s[26:27], s[24:25]
	s_xor_b64 s[24:25], exec, s[26:27]
	s_cbranch_execz .LBB2_2842
; %bb.2742:                             ;   in Loop: Header=BB2_2140 Depth=2
	v_cmp_eq_u16_sdwa vcc, v10, s52 src0_sel:BYTE_0 src1_sel:DWORD
	s_mov_b64 s[22:23], -1
	s_and_saveexec_b64 s[26:27], vcc
; %bb.2743:                             ;   in Loop: Header=BB2_2140 Depth=2
	s_xor_b64 s[22:23], exec, -1
; %bb.2744:                             ;   in Loop: Header=BB2_2140 Depth=2
	s_or_b64 exec, exec, s[26:27]
	s_and_b64 s[22:23], s[22:23], exec
                                        ; implicit-def: $vgpr10
	s_or_saveexec_b64 s[24:25], s[24:25]
	v_bfrev_b32_e32 v2, 1
	s_xor_b64 exec, exec, s[24:25]
	s_cbranch_execnz .LBB2_2843
.LBB2_2745:                             ;   in Loop: Header=BB2_2140 Depth=2
	s_or_b64 exec, exec, s[24:25]
	s_and_saveexec_b64 s[24:25], s[22:23]
.LBB2_2746:                             ;   in Loop: Header=BB2_2140 Depth=2
	v_cndmask_b32_e64 v2, v14, v59, s[20:21]
.LBB2_2747:                             ;   in Loop: Header=BB2_2140 Depth=2
	s_or_b64 exec, exec, s[24:25]
	v_max_f32_e32 v2, v2, v2
	v_max_f32_e32 v10, v15, v15
	v_min_f32_e32 v15, v10, v2
.LBB2_2748:                             ;   in Loop: Header=BB2_2140 Depth=2
	v_and_b32_e32 v34, 0x7f800000, v15
	v_cmp_ne_u64_e32 vcc, s[62:63], v[34:35]
                                        ; implicit-def: $vgpr14
	s_and_saveexec_b64 s[20:21], vcc
	s_xor_b64 s[22:23], exec, s[20:21]
	s_cbranch_execz .LBB2_2762
; %bb.2749:                             ;   in Loop: Header=BB2_2140 Depth=2
	v_and_b32_e32 v34, 0x7fffffff, v15
	v_cmp_gt_u64_e32 vcc, s[72:73], v[34:35]
	v_and_b32_sdwa v50, v15, s52 dst_sel:DWORD dst_unused:UNUSED_PAD src0_sel:BYTE_3 src1_sel:DWORD
                                        ; implicit-def: $vgpr14
	s_and_saveexec_b64 s[20:21], vcc
	s_xor_b64 s[24:25], exec, s[20:21]
	s_cbranch_execz .LBB2_2759
; %bb.2750:                             ;   in Loop: Header=BB2_2140 Depth=2
	v_mov_b32_e32 v14, 0
	v_cmp_ne_u32_e32 vcc, 0, v15
	s_and_saveexec_b64 s[26:27], vcc
	s_cbranch_execz .LBB2_2758
; %bb.2751:                             ;   in Loop: Header=BB2_2140 Depth=2
	v_bfe_u32 v51, v15, 23, 8
	v_cmp_gt_u32_e64 s[20:21], s53, v51
	v_sub_u32_e32 v2, 0x79, v51
	v_and_b32_e32 v10, 0x7fffff, v15
	v_cmp_eq_u32_e32 vcc, 0, v51
	v_cndmask_b32_e64 v2, 0, v2, s[20:21]
	v_or_b32_e32 v11, 0x800000, v10
	v_cndmask_b32_e32 v2, v2, v60, vcc
	v_cndmask_b32_e32 v34, v11, v10, vcc
	v_add_u32_e32 v10, 20, v2
	v_lshlrev_b64 v[10:11], v10, -1
	v_add_u32_e32 v14, 19, v2
	v_lshlrev_b64 v[14:15], v14, 1
	v_bfi_b32 v11, v11, 0, 0
	v_bfi_b32 v10, v10, 0, v34
	v_cmp_eq_u64_e64 s[20:21], v[10:11], v[14:15]
	v_lshrrev_b64 v[10:11], v2, v[34:35]
	v_mov_b32_e32 v15, v11
	v_mov_b32_e32 v14, v10
	s_and_saveexec_b64 s[30:31], s[20:21]
; %bb.2752:                             ;   in Loop: Header=BB2_2140 Depth=2
	v_bfe_u32 v11, v10, 20, 1
	v_add_co_u32_e64 v11, s[20:21], v10, v11
	v_add_co_u32_e64 v14, s[20:21], -1, v11
; %bb.2753:                             ;   in Loop: Header=BB2_2140 Depth=2
	s_or_b64 exec, exec, s[30:31]
	v_add_u32_e32 v11, 0xffffff81, v51
	v_cndmask_b32_e32 v11, v11, v61, vcc
	v_lshrrev_b32_e32 v15, 23, v10
	v_add3_u32 v51, v2, v11, v15
	v_add_u32_e32 v15, 6, v51
	v_and_b32_e32 v2, 0xfffff, v14
	v_add_u32_e32 v34, v2, v10
	v_cmp_ne_u32_e32 vcc, 0, v15
                                        ; implicit-def: $vgpr10_vgpr11
                                        ; implicit-def: $vgpr2
	s_and_saveexec_b64 s[20:21], vcc
	s_xor_b64 s[20:21], exec, s[20:21]
; %bb.2754:                             ;   in Loop: Header=BB2_2140 Depth=2
	v_cmp_lt_u64_e32 vcc, s[74:75], v[34:35]
	v_add_u32_e32 v2, 7, v51
	v_cndmask_b32_e64 v10, 0, 1, vcc
	v_cndmask_b32_e32 v2, v15, v2, vcc
	v_lshrrev_b64 v[10:11], v10, v[34:35]
; %bb.2755:                             ;   in Loop: Header=BB2_2140 Depth=2
	s_andn2_saveexec_b64 s[20:21], s[20:21]
; %bb.2756:                             ;   in Loop: Header=BB2_2140 Depth=2
	v_mov_b32_e32 v10, v34
	v_bfe_u32 v2, v34, 23, 1
	v_mov_b32_e32 v11, v35
; %bb.2757:                             ;   in Loop: Header=BB2_2140 Depth=2
	s_or_b64 exec, exec, s[20:21]
	v_lshrrev_b64 v[10:11], 20, v[10:11]
	v_cmp_gt_i32_e32 vcc, 16, v2
	v_cndmask_b32_e32 v11, 0, v11, vcc
	v_cndmask_b32_e32 v10, 7, v10, vcc
	v_cmp_eq_u32_e32 vcc, 0, v2
	v_min_i32_e32 v2, 15, v2
	v_cmp_eq_u64_e64 s[20:21], 0, v[10:11]
	v_lshlrev_b32_e32 v2, 3, v2
	v_and_b32_e32 v2, 0xf8, v2
	v_and_or_b32 v2, v10, 7, v2
	s_and_b64 s[20:21], vcc, s[20:21]
	v_cndmask_b32_e64 v2, v2, 0, s[20:21]
	v_or_b32_e32 v14, v2, v50
.LBB2_2758:                             ;   in Loop: Header=BB2_2140 Depth=2
	s_or_b64 exec, exec, s[26:27]
                                        ; implicit-def: $vgpr50
.LBB2_2759:                             ;   in Loop: Header=BB2_2140 Depth=2
	s_andn2_saveexec_b64 s[20:21], s[24:25]
; %bb.2760:                             ;   in Loop: Header=BB2_2140 Depth=2
	v_or_b32_e32 v14, 0x7e, v50
; %bb.2761:                             ;   in Loop: Header=BB2_2140 Depth=2
	s_or_b64 exec, exec, s[20:21]
                                        ; implicit-def: $vgpr15
.LBB2_2762:                             ;   in Loop: Header=BB2_2140 Depth=2
	s_andn2_saveexec_b64 s[20:21], s[22:23]
; %bb.2763:                             ;   in Loop: Header=BB2_2140 Depth=2
	v_or_b32_sdwa v14, v15, s49 dst_sel:DWORD dst_unused:UNUSED_PAD src0_sel:BYTE_3 src1_sel:DWORD
; %bb.2764:                             ;   in Loop: Header=BB2_2140 Depth=2
	s_or_b64 exec, exec, s[20:21]
	v_bfe_u32 v11, v17, 24, 3
	v_bfe_u32 v15, v17, 24, 7
	v_cmp_eq_u32_e64 s[24:25], s49, v15
	v_cmp_gt_u32_e32 vcc, 8, v15
	v_ffbh_u32_e32 v15, v11
	v_min_u32_e32 v25, 32, v15
	v_lshrrev_b32_e32 v2, 24, v17
	v_subrev_u32_e32 v15, 28, v25
	v_cmp_gt_u64_e64 s[20:21], s[56:57], v[16:17]
	v_lshlrev_b64 v[15:16], v15, v[2:3]
	v_bfe_u32 v24, v2, 3, 4
	v_cmp_eq_u32_e64 s[22:23], s52, v2
	v_sub_u32_e32 v2, 29, v25
	v_and_b32_e32 v15, 7, v15
	v_cndmask_b32_e32 v2, v24, v2, vcc
	v_cndmask_b32_e32 v11, v11, v15, vcc
	v_lshlrev_b32_e32 v11, 20, v11
	v_and_b32_e32 v15, 0x80000000, v17
	v_lshl_add_u32 v2, v2, 23, v56
	v_cmp_lt_u64_e64 s[26:27], s[76:77], v[12:13]
	v_lshrrev_b32_e32 v10, 24, v13
	v_or3_b32 v11, v15, v2, v11
	s_mov_b64 s[30:31], -1
	s_and_b64 vcc, exec, s[94:95]
                                        ; implicit-def: $vgpr12
	s_cbranch_vccz .LBB2_2772
; %bb.2765:                             ;   in Loop: Header=BB2_2140 Depth=2
	v_mov_b32_e32 v2, 0
	s_and_saveexec_b64 s[30:31], s[26:27]
	s_cbranch_execz .LBB2_2771
; %bb.2766:                             ;   in Loop: Header=BB2_2140 Depth=2
	v_cmp_ne_u32_e32 vcc, s52, v10
	v_bfrev_b32_e32 v2, 1
	s_and_saveexec_b64 s[34:35], vcc
	s_cbranch_execz .LBB2_2770
; %bb.2767:                             ;   in Loop: Header=BB2_2140 Depth=2
	v_bfe_u32 v12, v13, 24, 7
	v_cmp_ne_u32_e32 vcc, s49, v12
	v_mov_b32_e32 v2, 0x7f800001
	s_and_saveexec_b64 s[36:37], vcc
	s_cbranch_execz .LBB2_2769
; %bb.2768:                             ;   in Loop: Header=BB2_2140 Depth=2
	v_and_b32_e32 v2, 7, v10
	v_lshrrev_b32_e32 v17, 3, v12
	v_cmp_gt_u32_e32 vcc, 8, v12
	v_ffbh_u32_e32 v12, v2
	v_min_u32_e32 v12, 32, v12
	v_subrev_u32_e32 v15, 28, v12
	v_lshlrev_b64 v[15:16], v15, v[10:11]
	v_sub_u32_e32 v12, 29, v12
	v_and_b32_e32 v15, 7, v15
	v_cndmask_b32_e32 v12, v17, v12, vcc
	v_cndmask_b32_e32 v2, v2, v15, vcc
	v_lshlrev_b32_e32 v15, 24, v10
	v_lshlrev_b32_e32 v2, 20, v2
	v_and_b32_e32 v15, 0x80000000, v15
	v_lshl_add_u32 v12, v12, 23, v56
	v_or3_b32 v2, v15, v12, v2
.LBB2_2769:                             ;   in Loop: Header=BB2_2140 Depth=2
	s_or_b64 exec, exec, s[36:37]
.LBB2_2770:                             ;   in Loop: Header=BB2_2140 Depth=2
	s_or_b64 exec, exec, s[34:35]
.LBB2_2771:                             ;   in Loop: Header=BB2_2140 Depth=2
	s_or_b64 exec, exec, s[30:31]
	v_cndmask_b32_e64 v12, v11, v59, s[24:25]
	v_cndmask_b32_e64 v12, v12, v62, s[22:23]
	;; [unrolled: 1-line block ×3, first 2 shown]
	v_max_f32_e32 v12, v12, v12
	v_max_f32_e32 v2, v2, v2
	;; [unrolled: 1-line block ×3, first 2 shown]
	s_mov_b64 s[30:31], 0
.LBB2_2772:                             ;   in Loop: Header=BB2_2140 Depth=2
	s_and_b64 vcc, exec, s[30:31]
	s_cbranch_vccz .LBB2_2780
; %bb.2773:                             ;   in Loop: Header=BB2_2140 Depth=2
	v_mov_b32_e32 v2, 0
	s_and_saveexec_b64 s[30:31], s[26:27]
	s_cbranch_execz .LBB2_2779
; %bb.2774:                             ;   in Loop: Header=BB2_2140 Depth=2
	v_cmp_ne_u32_e32 vcc, s52, v10
	v_bfrev_b32_e32 v2, 1
	s_and_saveexec_b64 s[26:27], vcc
	s_cbranch_execz .LBB2_2778
; %bb.2775:                             ;   in Loop: Header=BB2_2140 Depth=2
	v_bfe_u32 v12, v13, 24, 7
	v_cmp_ne_u32_e32 vcc, s49, v12
	v_mov_b32_e32 v2, 0x7f800001
	s_and_saveexec_b64 s[34:35], vcc
	s_cbranch_execz .LBB2_2777
; %bb.2776:                             ;   in Loop: Header=BB2_2140 Depth=2
	v_and_b32_e32 v2, 7, v10
	v_lshrrev_b32_e32 v15, 3, v12
	v_cmp_gt_u32_e32 vcc, 8, v12
	v_ffbh_u32_e32 v12, v2
	v_min_u32_e32 v16, 32, v12
	v_subrev_u32_e32 v12, 28, v16
	v_lshlrev_b64 v[12:13], v12, v[10:11]
	v_sub_u32_e32 v13, 29, v16
	v_and_b32_e32 v12, 7, v12
	v_cndmask_b32_e32 v13, v15, v13, vcc
	v_cndmask_b32_e32 v2, v2, v12, vcc
	v_lshlrev_b32_e32 v10, 24, v10
	v_lshlrev_b32_e32 v2, 20, v2
	v_and_b32_e32 v10, 0x80000000, v10
	v_lshl_add_u32 v12, v13, 23, v56
	v_or3_b32 v2, v10, v12, v2
.LBB2_2777:                             ;   in Loop: Header=BB2_2140 Depth=2
	s_or_b64 exec, exec, s[34:35]
.LBB2_2778:                             ;   in Loop: Header=BB2_2140 Depth=2
	s_or_b64 exec, exec, s[26:27]
.LBB2_2779:                             ;   in Loop: Header=BB2_2140 Depth=2
	s_or_b64 exec, exec, s[30:31]
	v_cndmask_b32_e64 v10, v11, v59, s[24:25]
	v_cndmask_b32_e64 v10, v10, v62, s[22:23]
	;; [unrolled: 1-line block ×3, first 2 shown]
	v_max_f32_e32 v10, v10, v10
	v_max_f32_e32 v2, v2, v2
	v_min_f32_e32 v12, v2, v10
.LBB2_2780:                             ;   in Loop: Header=BB2_2140 Depth=2
	v_and_b32_e32 v34, 0x7f800000, v12
	v_cmp_ne_u64_e32 vcc, s[62:63], v[34:35]
                                        ; implicit-def: $vgpr10
	s_and_saveexec_b64 s[20:21], vcc
	s_xor_b64 s[22:23], exec, s[20:21]
	s_cbranch_execz .LBB2_2794
; %bb.2781:                             ;   in Loop: Header=BB2_2140 Depth=2
	v_and_b32_e32 v34, 0x7fffffff, v12
	v_cmp_gt_u64_e32 vcc, s[72:73], v[34:35]
	v_and_b32_sdwa v13, v12, s52 dst_sel:DWORD dst_unused:UNUSED_PAD src0_sel:BYTE_3 src1_sel:DWORD
                                        ; implicit-def: $vgpr10
	s_and_saveexec_b64 s[20:21], vcc
	s_xor_b64 s[24:25], exec, s[20:21]
	s_cbranch_execz .LBB2_2791
; %bb.2782:                             ;   in Loop: Header=BB2_2140 Depth=2
	v_mov_b32_e32 v10, 0
	v_cmp_ne_u32_e32 vcc, 0, v12
	s_and_saveexec_b64 s[26:27], vcc
	s_cbranch_execz .LBB2_2790
; %bb.2783:                             ;   in Loop: Header=BB2_2140 Depth=2
	v_bfe_u32 v15, v12, 23, 8
	v_cmp_gt_u32_e64 s[20:21], s53, v15
	v_sub_u32_e32 v2, 0x79, v15
	v_and_b32_e32 v10, 0x7fffff, v12
	v_cmp_eq_u32_e32 vcc, 0, v15
	v_cndmask_b32_e64 v2, 0, v2, s[20:21]
	v_or_b32_e32 v11, 0x800000, v10
	v_cndmask_b32_e32 v2, v2, v60, vcc
	v_cndmask_b32_e32 v34, v11, v10, vcc
	v_add_u32_e32 v10, 20, v2
	v_lshlrev_b64 v[10:11], v10, -1
	v_add_u32_e32 v12, 19, v2
	v_lshlrev_b64 v[16:17], v12, 1
	v_bfi_b32 v11, v11, 0, 0
	v_bfi_b32 v10, v10, 0, v34
	v_cmp_eq_u64_e64 s[20:21], v[10:11], v[16:17]
	v_lshrrev_b64 v[10:11], v2, v[34:35]
	v_mov_b32_e32 v12, v11
	v_mov_b32_e32 v11, v10
	s_and_saveexec_b64 s[30:31], s[20:21]
; %bb.2784:                             ;   in Loop: Header=BB2_2140 Depth=2
	v_bfe_u32 v11, v10, 20, 1
	v_add_co_u32_e64 v11, s[20:21], v10, v11
	v_add_co_u32_e64 v11, s[20:21], -1, v11
; %bb.2785:                             ;   in Loop: Header=BB2_2140 Depth=2
	s_or_b64 exec, exec, s[30:31]
	v_add_u32_e32 v12, 0xffffff81, v15
	v_cndmask_b32_e32 v12, v12, v61, vcc
	v_lshrrev_b32_e32 v15, 23, v10
	v_add3_u32 v15, v2, v12, v15
	v_add_u32_e32 v12, 6, v15
	v_and_b32_e32 v2, 0xfffff, v11
	v_add_u32_e32 v34, v2, v10
	v_cmp_ne_u32_e32 vcc, 0, v12
                                        ; implicit-def: $vgpr10_vgpr11
                                        ; implicit-def: $vgpr2
	s_and_saveexec_b64 s[20:21], vcc
	s_xor_b64 s[20:21], exec, s[20:21]
; %bb.2786:                             ;   in Loop: Header=BB2_2140 Depth=2
	v_cmp_lt_u64_e32 vcc, s[74:75], v[34:35]
	v_add_u32_e32 v2, 7, v15
	v_cndmask_b32_e64 v10, 0, 1, vcc
	v_cndmask_b32_e32 v2, v12, v2, vcc
	v_lshrrev_b64 v[10:11], v10, v[34:35]
; %bb.2787:                             ;   in Loop: Header=BB2_2140 Depth=2
	s_andn2_saveexec_b64 s[20:21], s[20:21]
; %bb.2788:                             ;   in Loop: Header=BB2_2140 Depth=2
	v_mov_b32_e32 v10, v34
	v_bfe_u32 v2, v34, 23, 1
	v_mov_b32_e32 v11, v35
; %bb.2789:                             ;   in Loop: Header=BB2_2140 Depth=2
	s_or_b64 exec, exec, s[20:21]
	v_lshrrev_b64 v[10:11], 20, v[10:11]
	v_cmp_gt_i32_e32 vcc, 16, v2
	v_cndmask_b32_e32 v11, 0, v11, vcc
	v_cndmask_b32_e32 v10, 7, v10, vcc
	v_cmp_eq_u32_e32 vcc, 0, v2
	v_min_i32_e32 v2, 15, v2
	v_cmp_eq_u64_e64 s[20:21], 0, v[10:11]
	v_lshlrev_b32_e32 v2, 3, v2
	v_and_b32_e32 v2, 0xf8, v2
	v_and_or_b32 v2, v10, 7, v2
	s_and_b64 s[20:21], vcc, s[20:21]
	v_cndmask_b32_e64 v2, v2, 0, s[20:21]
	v_or_b32_e32 v10, v2, v13
.LBB2_2790:                             ;   in Loop: Header=BB2_2140 Depth=2
	s_or_b64 exec, exec, s[26:27]
                                        ; implicit-def: $vgpr13
.LBB2_2791:                             ;   in Loop: Header=BB2_2140 Depth=2
	s_andn2_saveexec_b64 s[20:21], s[24:25]
; %bb.2792:                             ;   in Loop: Header=BB2_2140 Depth=2
	v_or_b32_e32 v10, 0x7e, v13
; %bb.2793:                             ;   in Loop: Header=BB2_2140 Depth=2
	s_or_b64 exec, exec, s[20:21]
                                        ; implicit-def: $vgpr12
.LBB2_2794:                             ;   in Loop: Header=BB2_2140 Depth=2
	s_andn2_saveexec_b64 s[20:21], s[22:23]
	s_cbranch_execz .LBB2_2139
; %bb.2795:                             ;   in Loop: Header=BB2_2140 Depth=2
	v_or_b32_sdwa v10, v12, s49 dst_sel:DWORD dst_unused:UNUSED_PAD src0_sel:BYTE_3 src1_sel:DWORD
	s_branch .LBB2_2139
.LBB2_2796:                             ;   in Loop: Header=BB2_2140 Depth=2
	s_or_saveexec_b64 s[26:27], s[26:27]
	v_bfrev_b32_e32 v2, 1
	s_xor_b64 exec, exec, s[26:27]
	s_cbranch_execz .LBB2_2151
.LBB2_2797:                             ;   in Loop: Header=BB2_2140 Depth=2
	v_cmp_ne_u16_sdwa vcc, v14, v35 src0_sel:BYTE_0 src1_sel:DWORD
	s_andn2_b64 s[24:25], s[24:25], exec
	s_and_b64 vcc, vcc, exec
	v_mov_b32_e32 v2, 0
	s_or_b64 s[24:25], s[24:25], vcc
	s_or_b64 exec, exec, s[26:27]
	s_and_saveexec_b64 s[26:27], s[24:25]
	s_cbranch_execnz .LBB2_2152
	s_branch .LBB2_2153
.LBB2_2798:                             ;   in Loop: Header=BB2_2140 Depth=2
	s_or_saveexec_b64 s[24:25], s[24:25]
	v_bfrev_b32_e32 v2, 1
	s_xor_b64 exec, exec, s[24:25]
	s_cbranch_execz .LBB2_2165
.LBB2_2799:                             ;   in Loop: Header=BB2_2140 Depth=2
	v_cmp_ne_u16_sdwa s[26:27], v14, v35 src0_sel:BYTE_0 src1_sel:DWORD
	s_andn2_b64 s[22:23], s[22:23], exec
	s_and_b64 s[26:27], s[26:27], exec
	v_mov_b32_e32 v2, 0
	s_or_b64 s[22:23], s[22:23], s[26:27]
	s_or_b64 exec, exec, s[24:25]
	s_and_saveexec_b64 s[24:25], s[22:23]
	s_cbranch_execnz .LBB2_2166
	s_branch .LBB2_2167
.LBB2_2800:                             ;   in Loop: Header=BB2_2140 Depth=2
	s_or_saveexec_b64 s[26:27], s[26:27]
	v_bfrev_b32_e32 v2, 1
	s_xor_b64 exec, exec, s[26:27]
	s_cbranch_execz .LBB2_2195
.LBB2_2801:                             ;   in Loop: Header=BB2_2140 Depth=2
	v_cmp_ne_u16_e32 vcc, 0, v34
	s_andn2_b64 s[24:25], s[24:25], exec
	s_and_b64 vcc, vcc, exec
	v_mov_b32_e32 v2, 0
	s_or_b64 s[24:25], s[24:25], vcc
	s_or_b64 exec, exec, s[26:27]
	s_and_saveexec_b64 s[26:27], s[24:25]
	s_cbranch_execnz .LBB2_2196
	s_branch .LBB2_2197
.LBB2_2802:                             ;   in Loop: Header=BB2_2140 Depth=2
	s_or_saveexec_b64 s[24:25], s[24:25]
	v_bfrev_b32_e32 v2, 1
	s_xor_b64 exec, exec, s[24:25]
	s_cbranch_execz .LBB2_2209
.LBB2_2803:                             ;   in Loop: Header=BB2_2140 Depth=2
	v_cmp_ne_u16_e32 vcc, 0, v34
	s_andn2_b64 s[22:23], s[22:23], exec
	s_and_b64 s[26:27], vcc, exec
	v_mov_b32_e32 v2, 0
	s_or_b64 s[22:23], s[22:23], s[26:27]
	s_or_b64 exec, exec, s[24:25]
	s_and_saveexec_b64 s[24:25], s[22:23]
	s_cbranch_execnz .LBB2_2210
	s_branch .LBB2_2211
.LBB2_2804:                             ;   in Loop: Header=BB2_2140 Depth=2
	s_or_saveexec_b64 s[26:27], s[26:27]
	v_bfrev_b32_e32 v2, 1
	s_xor_b64 exec, exec, s[26:27]
	s_cbranch_execz .LBB2_2239
.LBB2_2805:                             ;   in Loop: Header=BB2_2140 Depth=2
	v_cmp_ne_u16_sdwa vcc, v30, v35 src0_sel:BYTE_0 src1_sel:DWORD
	s_andn2_b64 s[24:25], s[24:25], exec
	s_and_b64 vcc, vcc, exec
	v_mov_b32_e32 v2, 0
	s_or_b64 s[24:25], s[24:25], vcc
	s_or_b64 exec, exec, s[26:27]
	s_and_saveexec_b64 s[26:27], s[24:25]
	s_cbranch_execnz .LBB2_2240
	s_branch .LBB2_2241
.LBB2_2806:                             ;   in Loop: Header=BB2_2140 Depth=2
	s_or_saveexec_b64 s[24:25], s[24:25]
	v_bfrev_b32_e32 v2, 1
	s_xor_b64 exec, exec, s[24:25]
	s_cbranch_execz .LBB2_2253
.LBB2_2807:                             ;   in Loop: Header=BB2_2140 Depth=2
	v_cmp_ne_u16_sdwa s[26:27], v30, v35 src0_sel:BYTE_0 src1_sel:DWORD
	s_andn2_b64 s[22:23], s[22:23], exec
	s_and_b64 s[26:27], s[26:27], exec
	v_mov_b32_e32 v2, 0
	s_or_b64 s[22:23], s[22:23], s[26:27]
	s_or_b64 exec, exec, s[24:25]
	s_and_saveexec_b64 s[24:25], s[22:23]
	s_cbranch_execnz .LBB2_2254
	s_branch .LBB2_2255
.LBB2_2808:                             ;   in Loop: Header=BB2_2140 Depth=2
	s_or_saveexec_b64 s[26:27], s[26:27]
	v_bfrev_b32_e32 v2, 1
	s_xor_b64 exec, exec, s[26:27]
	s_cbranch_execz .LBB2_2315
.LBB2_2809:                             ;   in Loop: Header=BB2_2140 Depth=2
	v_cmp_ne_u16_sdwa vcc, v15, v35 src0_sel:BYTE_0 src1_sel:DWORD
	s_andn2_b64 s[24:25], s[24:25], exec
	s_and_b64 vcc, vcc, exec
	v_mov_b32_e32 v2, 0
	s_or_b64 s[24:25], s[24:25], vcc
	s_or_b64 exec, exec, s[26:27]
	s_and_saveexec_b64 s[26:27], s[24:25]
	s_cbranch_execnz .LBB2_2316
	s_branch .LBB2_2317
.LBB2_2810:                             ;   in Loop: Header=BB2_2140 Depth=2
	s_or_saveexec_b64 s[24:25], s[24:25]
	v_bfrev_b32_e32 v2, 1
	s_xor_b64 exec, exec, s[24:25]
	s_cbranch_execz .LBB2_2329
.LBB2_2811:                             ;   in Loop: Header=BB2_2140 Depth=2
	v_cmp_ne_u16_sdwa s[26:27], v15, v35 src0_sel:BYTE_0 src1_sel:DWORD
	s_andn2_b64 s[22:23], s[22:23], exec
	s_and_b64 s[26:27], s[26:27], exec
	v_mov_b32_e32 v2, 0
	s_or_b64 s[22:23], s[22:23], s[26:27]
	s_or_b64 exec, exec, s[24:25]
	s_and_saveexec_b64 s[24:25], s[22:23]
	s_cbranch_execnz .LBB2_2330
	s_branch .LBB2_2331
.LBB2_2812:                             ;   in Loop: Header=BB2_2140 Depth=2
	s_or_saveexec_b64 s[26:27], s[26:27]
	v_bfrev_b32_e32 v2, 1
	s_xor_b64 exec, exec, s[26:27]
	s_cbranch_execz .LBB2_2359
.LBB2_2813:                             ;   in Loop: Header=BB2_2140 Depth=2
	v_cmp_ne_u16_e32 vcc, 0, v34
	s_andn2_b64 s[24:25], s[24:25], exec
	s_and_b64 vcc, vcc, exec
	v_mov_b32_e32 v2, 0
	s_or_b64 s[24:25], s[24:25], vcc
	s_or_b64 exec, exec, s[26:27]
	s_and_saveexec_b64 s[26:27], s[24:25]
	s_cbranch_execnz .LBB2_2360
	s_branch .LBB2_2361
.LBB2_2814:                             ;   in Loop: Header=BB2_2140 Depth=2
	s_or_saveexec_b64 s[24:25], s[24:25]
	v_bfrev_b32_e32 v2, 1
	s_xor_b64 exec, exec, s[24:25]
	s_cbranch_execz .LBB2_2373
.LBB2_2815:                             ;   in Loop: Header=BB2_2140 Depth=2
	v_cmp_ne_u16_e32 vcc, 0, v34
	s_andn2_b64 s[22:23], s[22:23], exec
	s_and_b64 s[26:27], vcc, exec
	v_mov_b32_e32 v2, 0
	s_or_b64 s[22:23], s[22:23], s[26:27]
	s_or_b64 exec, exec, s[24:25]
	s_and_saveexec_b64 s[24:25], s[22:23]
	s_cbranch_execnz .LBB2_2374
	s_branch .LBB2_2375
.LBB2_2816:                             ;   in Loop: Header=BB2_2140 Depth=2
	s_or_saveexec_b64 s[26:27], s[26:27]
	v_bfrev_b32_e32 v2, 1
	s_xor_b64 exec, exec, s[26:27]
	s_cbranch_execz .LBB2_2403
.LBB2_2817:                             ;   in Loop: Header=BB2_2140 Depth=2
	v_cmp_ne_u16_sdwa vcc, v30, v35 src0_sel:BYTE_0 src1_sel:DWORD
	s_andn2_b64 s[24:25], s[24:25], exec
	s_and_b64 vcc, vcc, exec
	v_mov_b32_e32 v2, 0
	s_or_b64 s[24:25], s[24:25], vcc
	s_or_b64 exec, exec, s[26:27]
	s_and_saveexec_b64 s[26:27], s[24:25]
	s_cbranch_execnz .LBB2_2404
	s_branch .LBB2_2405
.LBB2_2818:                             ;   in Loop: Header=BB2_2140 Depth=2
	s_or_saveexec_b64 s[24:25], s[24:25]
	v_bfrev_b32_e32 v2, 1
	s_xor_b64 exec, exec, s[24:25]
	s_cbranch_execz .LBB2_2417
.LBB2_2819:                             ;   in Loop: Header=BB2_2140 Depth=2
	v_cmp_ne_u16_sdwa s[26:27], v30, v35 src0_sel:BYTE_0 src1_sel:DWORD
	s_andn2_b64 s[22:23], s[22:23], exec
	s_and_b64 s[26:27], s[26:27], exec
	v_mov_b32_e32 v2, 0
	s_or_b64 s[22:23], s[22:23], s[26:27]
	s_or_b64 exec, exec, s[24:25]
	s_and_saveexec_b64 s[24:25], s[22:23]
	s_cbranch_execnz .LBB2_2418
	s_branch .LBB2_2419
.LBB2_2820:                             ;   in Loop: Header=BB2_2140 Depth=2
	s_or_saveexec_b64 s[26:27], s[26:27]
	v_bfrev_b32_e32 v2, 1
	s_xor_b64 exec, exec, s[26:27]
	s_cbranch_execz .LBB2_2479
.LBB2_2821:                             ;   in Loop: Header=BB2_2140 Depth=2
	v_cmp_ne_u16_sdwa vcc, v16, v35 src0_sel:BYTE_0 src1_sel:DWORD
	s_andn2_b64 s[24:25], s[24:25], exec
	s_and_b64 vcc, vcc, exec
	v_mov_b32_e32 v2, 0
	s_or_b64 s[24:25], s[24:25], vcc
	s_or_b64 exec, exec, s[26:27]
	s_and_saveexec_b64 s[26:27], s[24:25]
	s_cbranch_execnz .LBB2_2480
	s_branch .LBB2_2481
.LBB2_2822:                             ;   in Loop: Header=BB2_2140 Depth=2
	s_or_saveexec_b64 s[24:25], s[24:25]
	v_bfrev_b32_e32 v2, 1
	s_xor_b64 exec, exec, s[24:25]
	s_cbranch_execz .LBB2_2493
.LBB2_2823:                             ;   in Loop: Header=BB2_2140 Depth=2
	v_cmp_ne_u16_sdwa s[26:27], v16, v35 src0_sel:BYTE_0 src1_sel:DWORD
	s_andn2_b64 s[22:23], s[22:23], exec
	s_and_b64 s[26:27], s[26:27], exec
	v_mov_b32_e32 v2, 0
	s_or_b64 s[22:23], s[22:23], s[26:27]
	s_or_b64 exec, exec, s[24:25]
	s_and_saveexec_b64 s[24:25], s[22:23]
	s_cbranch_execnz .LBB2_2494
	s_branch .LBB2_2495
.LBB2_2824:                             ;   in Loop: Header=BB2_2140 Depth=2
	s_or_saveexec_b64 s[26:27], s[26:27]
	v_bfrev_b32_e32 v2, 1
	s_xor_b64 exec, exec, s[26:27]
	s_cbranch_execz .LBB2_2523
.LBB2_2825:                             ;   in Loop: Header=BB2_2140 Depth=2
	v_cmp_ne_u16_e32 vcc, 0, v34
	s_andn2_b64 s[24:25], s[24:25], exec
	s_and_b64 vcc, vcc, exec
	v_mov_b32_e32 v2, 0
	s_or_b64 s[24:25], s[24:25], vcc
	s_or_b64 exec, exec, s[26:27]
	s_and_saveexec_b64 s[26:27], s[24:25]
	s_cbranch_execnz .LBB2_2524
	s_branch .LBB2_2525
.LBB2_2826:                             ;   in Loop: Header=BB2_2140 Depth=2
	s_or_saveexec_b64 s[24:25], s[24:25]
	v_bfrev_b32_e32 v2, 1
	s_xor_b64 exec, exec, s[24:25]
	s_cbranch_execz .LBB2_2537
.LBB2_2827:                             ;   in Loop: Header=BB2_2140 Depth=2
	v_cmp_ne_u16_e32 vcc, 0, v34
	s_andn2_b64 s[22:23], s[22:23], exec
	s_and_b64 s[26:27], vcc, exec
	v_mov_b32_e32 v2, 0
	s_or_b64 s[22:23], s[22:23], s[26:27]
	s_or_b64 exec, exec, s[24:25]
	s_and_saveexec_b64 s[24:25], s[22:23]
	s_cbranch_execnz .LBB2_2538
	s_branch .LBB2_2539
.LBB2_2828:                             ;   in Loop: Header=BB2_2140 Depth=2
	s_or_saveexec_b64 s[26:27], s[26:27]
	v_bfrev_b32_e32 v2, 1
	s_xor_b64 exec, exec, s[26:27]
	s_cbranch_execz .LBB2_2567
.LBB2_2829:                             ;   in Loop: Header=BB2_2140 Depth=2
	v_cmp_ne_u16_sdwa vcc, v10, v35 src0_sel:BYTE_0 src1_sel:DWORD
	s_andn2_b64 s[24:25], s[24:25], exec
	s_and_b64 vcc, vcc, exec
	v_mov_b32_e32 v2, 0
	s_or_b64 s[24:25], s[24:25], vcc
	s_or_b64 exec, exec, s[26:27]
	s_and_saveexec_b64 s[26:27], s[24:25]
	s_cbranch_execnz .LBB2_2568
	s_branch .LBB2_2569
.LBB2_2830:                             ;   in Loop: Header=BB2_2140 Depth=2
	s_or_saveexec_b64 s[24:25], s[24:25]
	v_bfrev_b32_e32 v2, 1
	s_xor_b64 exec, exec, s[24:25]
	s_cbranch_execz .LBB2_2581
.LBB2_2831:                             ;   in Loop: Header=BB2_2140 Depth=2
	v_cmp_ne_u16_sdwa s[26:27], v10, v35 src0_sel:BYTE_0 src1_sel:DWORD
	s_andn2_b64 s[22:23], s[22:23], exec
	s_and_b64 s[26:27], s[26:27], exec
	v_mov_b32_e32 v2, 0
	s_or_b64 s[22:23], s[22:23], s[26:27]
	s_or_b64 exec, exec, s[24:25]
	s_and_saveexec_b64 s[24:25], s[22:23]
	s_cbranch_execnz .LBB2_2582
	s_branch .LBB2_2583
.LBB2_2832:                             ;   in Loop: Header=BB2_2140 Depth=2
	s_or_saveexec_b64 s[26:27], s[26:27]
	v_bfrev_b32_e32 v2, 1
	s_xor_b64 exec, exec, s[26:27]
	s_cbranch_execz .LBB2_2643
.LBB2_2833:                             ;   in Loop: Header=BB2_2140 Depth=2
	v_cmp_ne_u16_sdwa vcc, v17, v35 src0_sel:BYTE_0 src1_sel:DWORD
	s_andn2_b64 s[24:25], s[24:25], exec
	s_and_b64 vcc, vcc, exec
	v_mov_b32_e32 v2, 0
	s_or_b64 s[24:25], s[24:25], vcc
	s_or_b64 exec, exec, s[26:27]
	s_and_saveexec_b64 s[26:27], s[24:25]
	s_cbranch_execnz .LBB2_2644
	s_branch .LBB2_2645
.LBB2_2834:                             ;   in Loop: Header=BB2_2140 Depth=2
	s_or_saveexec_b64 s[24:25], s[24:25]
	v_bfrev_b32_e32 v2, 1
	s_xor_b64 exec, exec, s[24:25]
	s_cbranch_execz .LBB2_2657
.LBB2_2835:                             ;   in Loop: Header=BB2_2140 Depth=2
	v_cmp_ne_u16_sdwa s[26:27], v17, v35 src0_sel:BYTE_0 src1_sel:DWORD
	s_andn2_b64 s[22:23], s[22:23], exec
	s_and_b64 s[26:27], s[26:27], exec
	v_mov_b32_e32 v2, 0
	s_or_b64 s[22:23], s[22:23], s[26:27]
	s_or_b64 exec, exec, s[24:25]
	s_and_saveexec_b64 s[24:25], s[22:23]
	s_cbranch_execnz .LBB2_2658
	s_branch .LBB2_2659
.LBB2_2836:                             ;   in Loop: Header=BB2_2140 Depth=2
	s_or_saveexec_b64 s[26:27], s[26:27]
	v_bfrev_b32_e32 v2, 1
	s_xor_b64 exec, exec, s[26:27]
	s_cbranch_execz .LBB2_2687
.LBB2_2837:                             ;   in Loop: Header=BB2_2140 Depth=2
	v_cmp_ne_u16_e32 vcc, 0, v10
	s_andn2_b64 s[24:25], s[24:25], exec
	s_and_b64 vcc, vcc, exec
	v_mov_b32_e32 v2, 0
	s_or_b64 s[24:25], s[24:25], vcc
	s_or_b64 exec, exec, s[26:27]
	s_and_saveexec_b64 s[26:27], s[24:25]
	s_cbranch_execnz .LBB2_2688
	s_branch .LBB2_2689
.LBB2_2838:                             ;   in Loop: Header=BB2_2140 Depth=2
	s_or_saveexec_b64 s[24:25], s[24:25]
	v_bfrev_b32_e32 v2, 1
	s_xor_b64 exec, exec, s[24:25]
	s_cbranch_execz .LBB2_2701
.LBB2_2839:                             ;   in Loop: Header=BB2_2140 Depth=2
	v_cmp_ne_u16_e32 vcc, 0, v10
	s_andn2_b64 s[22:23], s[22:23], exec
	s_and_b64 s[26:27], vcc, exec
	v_mov_b32_e32 v2, 0
	s_or_b64 s[22:23], s[22:23], s[26:27]
	s_or_b64 exec, exec, s[24:25]
	s_and_saveexec_b64 s[24:25], s[22:23]
	s_cbranch_execnz .LBB2_2702
	s_branch .LBB2_2703
.LBB2_2840:                             ;   in Loop: Header=BB2_2140 Depth=2
	s_or_saveexec_b64 s[26:27], s[26:27]
	v_bfrev_b32_e32 v2, 1
	s_xor_b64 exec, exec, s[26:27]
	s_cbranch_execz .LBB2_2731
.LBB2_2841:                             ;   in Loop: Header=BB2_2140 Depth=2
	v_cmp_ne_u16_sdwa vcc, v10, v35 src0_sel:BYTE_0 src1_sel:DWORD
	s_andn2_b64 s[24:25], s[24:25], exec
	s_and_b64 vcc, vcc, exec
	v_mov_b32_e32 v2, 0
	s_or_b64 s[24:25], s[24:25], vcc
	s_or_b64 exec, exec, s[26:27]
	s_and_saveexec_b64 s[26:27], s[24:25]
	s_cbranch_execnz .LBB2_2732
	s_branch .LBB2_2733
.LBB2_2842:                             ;   in Loop: Header=BB2_2140 Depth=2
	s_or_saveexec_b64 s[24:25], s[24:25]
	v_bfrev_b32_e32 v2, 1
	s_xor_b64 exec, exec, s[24:25]
	s_cbranch_execz .LBB2_2745
.LBB2_2843:                             ;   in Loop: Header=BB2_2140 Depth=2
	v_cmp_ne_u16_sdwa s[26:27], v10, v35 src0_sel:BYTE_0 src1_sel:DWORD
	s_andn2_b64 s[22:23], s[22:23], exec
	s_and_b64 s[26:27], s[26:27], exec
	v_mov_b32_e32 v2, 0
	s_or_b64 s[22:23], s[22:23], s[26:27]
	s_or_b64 exec, exec, s[24:25]
	s_and_saveexec_b64 s[24:25], s[22:23]
	s_cbranch_execnz .LBB2_2746
	s_branch .LBB2_2747
.LBB2_2844:                             ;   in Loop: Header=BB2_2065 Depth=1
	s_or_b64 exec, exec, s[92:93]
	buffer_load_dword v30, off, s[0:3], s33 offset:100 ; 4-byte Folded Reload
	buffer_load_dword v44, off, s[0:3], s33 offset:104 ; 4-byte Folded Reload
	;; [unrolled: 1-line block ×7, first 2 shown]
.LBB2_2845:                             ;   in Loop: Header=BB2_2065 Depth=1
	s_or_b64 exec, exec, s[90:91]
	s_waitcnt vmcnt(5)
	v_and_b32_e32 v0, 15, v44
	s_waitcnt vmcnt(0)
	v_cndmask_b32_e64 v0, v2, v0, s[18:19]
	v_mov_b32_e32 v10, 0
	v_cmp_ne_u32_e32 vcc, 0, v0
	s_mov_b64 s[20:21], 0
	buffer_store_dword v0, off, s[0:3], s33 offset:72 ; 4-byte Folded Spill
                                        ; implicit-def: $vgpr1
	s_and_saveexec_b64 s[26:27], vcc
	s_cbranch_execz .LBB2_3555
; %bb.2846:                             ;   in Loop: Header=BB2_2065 Depth=1
	buffer_load_dword v1, off, s[0:3], s33 offset:152 ; 4-byte Folded Reload
	v_and_b32_e32 v0, 0x3f0, v44
	v_cndmask_b32_e64 v0, 0, v0, s[18:19]
	v_cmp_lt_i32_e32 vcc, 0, v20
	v_and_or_b32 v10, v44, s54, v0
	v_cndmask_b32_e32 v0, 0, v46, vcc
	v_sub_u32_e32 v0, v0, v20
	s_waitcnt vmcnt(0)
	v_lshl_or_b32 v0, v0, 6, v1
	v_ashrrev_i32_e32 v1, 31, v0
	v_lshrrev_b32_e32 v1, 26, v1
	v_add_u32_e32 v2, v0, v1
	v_ashrrev_i32_e32 v3, 6, v2
	v_and_b32_e32 v2, 0xffffffc0, v2
	v_sub_u32_e32 v11, v0, v2
	buffer_load_dword v2, off, s[0:3], s33 offset:72 ; 4-byte Folded Reload
	v_lshlrev_b32_e32 v0, 4, v11
	v_lshl_add_u32 v0, v3, 10, v0
	v_sub_u32_e32 v1, 0, v3
	s_waitcnt vmcnt(0)
	v_sub_u32_e32 v20, v2, v0
	v_cmp_lt_i32_e32 vcc, 15, v20
	s_and_saveexec_b64 s[90:91], vcc
	s_cbranch_execz .LBB2_3554
; %bb.2847:                             ;   in Loop: Header=BB2_2065 Depth=1
	v_add_u32_e32 v0, v0, v10
	buffer_store_dword v11, off, s[0:3], s33 offset:164 ; 4-byte Folded Spill
	buffer_store_dword v44, off, s[0:3], s33 offset:104 ; 4-byte Folded Spill
	buffer_store_dword v10, off, s[0:3], s33 offset:160 ; 4-byte Folded Spill
	s_trap 2
	ds_read_b64 v[2:3], v0
	v_add_co_u32_e32 v52, vcc, v0, v16
	buffer_store_dword v16, off, s[0:3], s33 offset:144 ; 4-byte Folded Spill
	s_nop 0
	buffer_store_dword v17, off, s[0:3], s33 offset:148 ; 4-byte Folded Spill
	v_ashrrev_i32_e32 v10, 31, v0
	s_bitcmp1_b32 s38, 0
	s_mov_b64 s[92:93], 0
	s_cselect_b64 s[94:95], -1, 0
	v_addc_co_u32_e32 v53, vcc, v10, v17, vcc
	s_waitcnt lgkmcnt(0)
	v_add_co_u32_e32 v54, vcc, v2, v0
	v_addc_co_u32_e32 v55, vcc, v3, v10, vcc
	v_add_co_u32_e32 v39, vcc, v0, v14
	buffer_store_dword v14, off, s[0:3], s33 offset:108 ; 4-byte Folded Spill
	s_nop 0
	buffer_store_dword v15, off, s[0:3], s33 offset:112 ; 4-byte Folded Spill
	v_addc_co_u32_e32 v40, vcc, v10, v15, vcc
	s_branch .LBB2_2849
.LBB2_2848:                             ;   in Loop: Header=BB2_2849 Depth=2
	s_or_b64 exec, exec, s[18:19]
	v_lshl_or_b32 v2, v58, 8, v44
	v_lshlrev_b32_e32 v11, 16, v43
	v_lshlrev_b32_e32 v12, 24, v30
	v_or3_b32 v12, v2, v11, v12
	v_lshl_or_b32 v2, v3, 8, v31
	v_lshlrev_b32_e32 v3, 16, v48
	v_lshlrev_b32_e32 v11, 24, v49
	v_or3_b32 v11, v2, v3, v11
	v_lshlrev_b32_e32 v3, 24, v46
	buffer_load_dword v46, off, s[0:3], s33 offset:68 ; 4-byte Folded Reload
	v_add_co_u32_e32 v52, vcc, v52, v21
	v_lshl_or_b32 v0, v18, 8, v0
	v_lshlrev_b32_e32 v2, 16, v19
	v_addc_co_u32_e32 v53, vcc, 0, v53, vcc
	v_or3_b32 v13, v0, v2, v3
	v_lshlrev_b32_e32 v0, 24, v10
	v_lshlrev_b32_e32 v2, 16, v14
	v_lshl_or_b32 v3, v42, 8, v41
	v_add_co_u32_e32 v54, vcc, v54, v21
	v_or3_b32 v14, v3, v2, v0
	v_addc_co_u32_e32 v55, vcc, 0, v55, vcc
	global_store_dwordx4 v[39:40], v[11:14], off glc slc
	v_add_co_u32_e32 v39, vcc, v39, v21
	v_addc_co_u32_e32 v40, vcc, 0, v40, vcc
	v_sub_u32_e32 v20, v20, v21
	v_cmp_gt_i32_e32 vcc, 16, v20
	s_or_b64 s[92:93], vcc, s[92:93]
	s_waitcnt vmcnt(1)
	v_sub_u32_e32 v1, v1, v46
	s_andn2_b64 exec, exec, s[92:93]
	s_cbranch_execz .LBB2_3553
.LBB2_2849:                             ;   Parent Loop BB2_2065 Depth=1
                                        ; =>  This Inner Loop Header: Depth=2
	global_load_dwordx4 v[10:13], v[52:53], off glc slc
	global_load_dwordx4 v[14:17], v[54:55], off glc slc
	s_mov_b64 s[22:23], -1
	s_waitcnt vmcnt(1)
	v_cmp_ne_u16_sdwa s[20:21], v10, v35 src0_sel:BYTE_0 src1_sel:DWORD
	s_waitcnt vmcnt(0)
	v_and_b32_e32 v0, 7, v14
	v_ffbh_u32_e32 v0, v0
	v_and_b32_e32 v2, 0x7f, v14
	v_min_u32_e32 v0, 32, v0
	v_cmp_eq_u32_e64 s[18:19], s49, v2
	v_cmp_gt_u32_e32 vcc, 8, v2
	v_subrev_u32_e32 v2, 28, v0
	v_bfe_u32 v3, v14, 3, 4
	v_sub_u32_e32 v0, 29, v0
	v_cndmask_b32_e32 v2, 0, v2, vcc
	v_cndmask_b32_e32 v0, v3, v0, vcc
	v_lshlrev_b64 v[2:3], v2, v[14:15]
	v_lshlrev_b32_e32 v3, 24, v14
	v_lshlrev_b32_e32 v2, 20, v2
	v_and_b32_e32 v2, 0x700000, v2
	v_and_b32_e32 v3, 0x80000000, v3
	v_lshl_add_u32 v0, v0, 23, v56
	v_or3_b32 v0, v3, v0, v2
	s_and_b64 vcc, exec, s[94:95]
                                        ; implicit-def: $vgpr3
	s_cbranch_vccz .LBB2_2863
; %bb.2850:                             ;   in Loop: Header=BB2_2849 Depth=2
	v_mov_b32_e32 v3, 0
	s_and_saveexec_b64 s[22:23], s[20:21]
	s_cbranch_execz .LBB2_2856
; %bb.2851:                             ;   in Loop: Header=BB2_2849 Depth=2
	v_cmp_ne_u16_sdwa vcc, v10, s52 src0_sel:BYTE_0 src1_sel:DWORD
	v_bfrev_b32_e32 v3, 1
	s_and_saveexec_b64 s[24:25], vcc
	s_cbranch_execz .LBB2_2855
; %bb.2852:                             ;   in Loop: Header=BB2_2849 Depth=2
	v_and_b32_e32 v2, 0x7f, v10
	v_cmp_ne_u32_e32 vcc, s49, v2
	v_mov_b32_e32 v3, 0x7f800001
	s_and_saveexec_b64 s[30:31], vcc
	s_cbranch_execz .LBB2_2854
; %bb.2853:                             ;   in Loop: Header=BB2_2849 Depth=2
	v_and_b32_e32 v3, 7, v10
	v_lshrrev_b32_e32 v18, 3, v2
	v_cmp_gt_u32_e32 vcc, 8, v2
	v_ffbh_u32_e32 v2, v3
	v_min_u32_e32 v2, 32, v2
	v_subrev_u32_e32 v3, 28, v2
	v_sub_u32_e32 v2, 29, v2
	v_cndmask_b32_e32 v18, v18, v2, vcc
	v_cndmask_b32_e32 v2, 0, v3, vcc
	v_lshlrev_b64 v[2:3], v2, v[10:11]
	v_lshlrev_b32_e32 v3, 24, v10
	v_lshlrev_b32_e32 v2, 20, v2
	v_and_b32_e32 v2, 0x700000, v2
	v_and_b32_e32 v3, 0x80000000, v3
	v_lshl_add_u32 v18, v18, 23, v56
	v_or3_b32 v3, v3, v18, v2
.LBB2_2854:                             ;   in Loop: Header=BB2_2849 Depth=2
	s_or_b64 exec, exec, s[30:31]
.LBB2_2855:                             ;   in Loop: Header=BB2_2849 Depth=2
	s_or_b64 exec, exec, s[24:25]
.LBB2_2856:                             ;   in Loop: Header=BB2_2849 Depth=2
	s_or_b64 exec, exec, s[22:23]
	v_cmp_gt_i16_sdwa s[24:25], v14, s49 src0_sel:BYTE_0 src1_sel:DWORD
	s_mov_b64 s[22:23], 0
	s_and_saveexec_b64 vcc, s[24:25]
	s_xor_b64 s[24:25], exec, vcc
	s_cbranch_execz .LBB2_3505
; %bb.2857:                             ;   in Loop: Header=BB2_2849 Depth=2
	v_cmp_eq_u16_sdwa s[30:31], v14, s52 src0_sel:BYTE_0 src1_sel:DWORD
	s_mov_b64 s[22:23], -1
	s_and_saveexec_b64 vcc, s[30:31]
; %bb.2858:                             ;   in Loop: Header=BB2_2849 Depth=2
	s_xor_b64 s[22:23], exec, -1
; %bb.2859:                             ;   in Loop: Header=BB2_2849 Depth=2
	s_or_b64 exec, exec, vcc
	s_and_b64 s[22:23], s[22:23], exec
	s_or_saveexec_b64 s[24:25], s[24:25]
	v_bfrev_b32_e32 v2, 1
	s_xor_b64 exec, exec, s[24:25]
	s_cbranch_execnz .LBB2_3506
.LBB2_2860:                             ;   in Loop: Header=BB2_2849 Depth=2
	s_or_b64 exec, exec, s[24:25]
	s_and_saveexec_b64 s[24:25], s[22:23]
.LBB2_2861:                             ;   in Loop: Header=BB2_2849 Depth=2
	v_cndmask_b32_e64 v2, v0, v59, s[18:19]
.LBB2_2862:                             ;   in Loop: Header=BB2_2849 Depth=2
	s_or_b64 exec, exec, s[24:25]
	v_max_f32_e32 v2, v2, v2
	v_max_f32_e32 v3, v3, v3
	v_max_f32_e32 v3, v3, v2
	s_mov_b64 s[22:23], 0
.LBB2_2863:                             ;   in Loop: Header=BB2_2849 Depth=2
	s_and_b64 vcc, exec, s[22:23]
	s_cbranch_vccz .LBB2_2877
; %bb.2864:                             ;   in Loop: Header=BB2_2849 Depth=2
	v_mov_b32_e32 v3, 0
	s_and_saveexec_b64 s[22:23], s[20:21]
	s_cbranch_execz .LBB2_2870
; %bb.2865:                             ;   in Loop: Header=BB2_2849 Depth=2
	v_cmp_ne_u16_sdwa s[24:25], v10, s52 src0_sel:BYTE_0 src1_sel:DWORD
	v_bfrev_b32_e32 v3, 1
	s_and_saveexec_b64 s[20:21], s[24:25]
	s_cbranch_execz .LBB2_2869
; %bb.2866:                             ;   in Loop: Header=BB2_2849 Depth=2
	v_and_b32_e32 v2, 0x7f, v10
	v_cmp_ne_u32_e32 vcc, s49, v2
	v_mov_b32_e32 v3, 0x7f800001
	s_and_saveexec_b64 s[24:25], vcc
	s_cbranch_execz .LBB2_2868
; %bb.2867:                             ;   in Loop: Header=BB2_2849 Depth=2
	v_and_b32_e32 v3, 7, v10
	v_lshrrev_b32_e32 v18, 3, v2
	v_cmp_gt_u32_e32 vcc, 8, v2
	v_ffbh_u32_e32 v2, v3
	v_min_u32_e32 v2, 32, v2
	v_subrev_u32_e32 v3, 28, v2
	v_sub_u32_e32 v2, 29, v2
	v_cndmask_b32_e32 v18, v18, v2, vcc
	v_cndmask_b32_e32 v2, 0, v3, vcc
	v_lshlrev_b64 v[2:3], v2, v[10:11]
	v_lshlrev_b32_e32 v3, 24, v10
	v_lshlrev_b32_e32 v2, 20, v2
	v_and_b32_e32 v2, 0x700000, v2
	v_and_b32_e32 v3, 0x80000000, v3
	v_lshl_add_u32 v18, v18, 23, v56
	v_or3_b32 v3, v3, v18, v2
.LBB2_2868:                             ;   in Loop: Header=BB2_2849 Depth=2
	s_or_b64 exec, exec, s[24:25]
.LBB2_2869:                             ;   in Loop: Header=BB2_2849 Depth=2
	s_or_b64 exec, exec, s[20:21]
.LBB2_2870:                             ;   in Loop: Header=BB2_2849 Depth=2
	s_or_b64 exec, exec, s[22:23]
	v_cmp_gt_i16_sdwa s[22:23], v14, s49 src0_sel:BYTE_0 src1_sel:DWORD
	s_mov_b64 s[20:21], 0
	s_and_saveexec_b64 s[24:25], s[22:23]
	s_xor_b64 s[22:23], exec, s[24:25]
	s_cbranch_execz .LBB2_3507
; %bb.2871:                             ;   in Loop: Header=BB2_2849 Depth=2
	v_cmp_eq_u16_sdwa vcc, v14, s52 src0_sel:BYTE_0 src1_sel:DWORD
	s_mov_b64 s[20:21], -1
	s_and_saveexec_b64 s[24:25], vcc
; %bb.2872:                             ;   in Loop: Header=BB2_2849 Depth=2
	s_xor_b64 s[20:21], exec, -1
; %bb.2873:                             ;   in Loop: Header=BB2_2849 Depth=2
	s_or_b64 exec, exec, s[24:25]
	s_and_b64 s[20:21], s[20:21], exec
	s_or_saveexec_b64 s[22:23], s[22:23]
	v_bfrev_b32_e32 v2, 1
	s_xor_b64 exec, exec, s[22:23]
	s_cbranch_execnz .LBB2_3508
.LBB2_2874:                             ;   in Loop: Header=BB2_2849 Depth=2
	s_or_b64 exec, exec, s[22:23]
	s_and_saveexec_b64 s[22:23], s[20:21]
.LBB2_2875:                             ;   in Loop: Header=BB2_2849 Depth=2
	v_cndmask_b32_e64 v2, v0, v59, s[18:19]
.LBB2_2876:                             ;   in Loop: Header=BB2_2849 Depth=2
	s_or_b64 exec, exec, s[22:23]
	v_max_f32_e32 v0, v2, v2
	v_max_f32_e32 v2, v3, v3
	v_min_f32_e32 v3, v2, v0
.LBB2_2877:                             ;   in Loop: Header=BB2_2849 Depth=2
	v_and_b32_e32 v34, 0x7f800000, v3
	v_cmp_ne_u64_e32 vcc, s[62:63], v[34:35]
                                        ; implicit-def: $vgpr31
	s_and_saveexec_b64 s[18:19], vcc
	s_xor_b64 s[20:21], exec, s[18:19]
	s_cbranch_execz .LBB2_2891
; %bb.2878:                             ;   in Loop: Header=BB2_2849 Depth=2
	v_and_b32_e32 v34, 0x7fffffff, v3
	v_cmp_gt_u64_e32 vcc, s[72:73], v[34:35]
	v_and_b32_sdwa v0, v3, s52 dst_sel:DWORD dst_unused:UNUSED_PAD src0_sel:BYTE_3 src1_sel:DWORD
                                        ; implicit-def: $vgpr31
	s_and_saveexec_b64 s[18:19], vcc
	s_xor_b64 s[22:23], exec, s[18:19]
	s_cbranch_execz .LBB2_2888
; %bb.2879:                             ;   in Loop: Header=BB2_2849 Depth=2
	v_mov_b32_e32 v31, 0
	v_cmp_ne_u32_e32 vcc, 0, v3
	s_and_saveexec_b64 s[24:25], vcc
	s_cbranch_execz .LBB2_2887
; %bb.2880:                             ;   in Loop: Header=BB2_2849 Depth=2
	v_and_b32_e32 v18, 0x7fffff, v3
	v_bfe_u32 v3, v3, 23, 8
	v_cmp_gt_u32_e64 s[18:19], s53, v3
	v_sub_u32_e32 v2, 0x79, v3
	v_cmp_eq_u32_e32 vcc, 0, v3
	v_cndmask_b32_e64 v2, 0, v2, s[18:19]
	v_or_b32_e32 v19, 0x800000, v18
	v_cndmask_b32_e32 v2, v2, v60, vcc
	v_cndmask_b32_e32 v34, v19, v18, vcc
	v_add_u32_e32 v18, 20, v2
	v_lshlrev_b64 v[18:19], v18, -1
	v_add_u32_e32 v24, 19, v2
	v_lshlrev_b64 v[24:25], v24, 1
	v_lshrrev_b64 v[41:42], v2, v[34:35]
	v_bfi_b32 v19, v19, 0, 0
	v_bfi_b32 v18, v18, 0, v34
	v_cmp_eq_u64_e64 s[18:19], v[18:19], v[24:25]
	v_mov_b32_e32 v43, v42
	v_mov_b32_e32 v42, v41
	s_and_saveexec_b64 s[30:31], s[18:19]
; %bb.2881:                             ;   in Loop: Header=BB2_2849 Depth=2
	v_bfe_u32 v18, v41, 20, 1
	v_add_co_u32_e64 v18, s[18:19], v41, v18
	v_add_co_u32_e64 v42, s[18:19], -1, v18
; %bb.2882:                             ;   in Loop: Header=BB2_2849 Depth=2
	s_or_b64 exec, exec, s[30:31]
	v_add_u32_e32 v3, 0xffffff81, v3
	v_cndmask_b32_e32 v3, v3, v61, vcc
	v_lshrrev_b32_e32 v18, 23, v41
	v_add3_u32 v18, v2, v3, v18
	v_add_u32_e32 v3, 6, v18
	v_and_b32_e32 v2, 0xfffff, v42
	v_add_u32_e32 v34, v2, v41
	v_cmp_ne_u32_e32 vcc, 0, v3
                                        ; implicit-def: $vgpr41_vgpr42
                                        ; implicit-def: $vgpr2
	s_and_saveexec_b64 s[18:19], vcc
	s_xor_b64 s[18:19], exec, s[18:19]
; %bb.2883:                             ;   in Loop: Header=BB2_2849 Depth=2
	v_cmp_lt_u64_e32 vcc, s[74:75], v[34:35]
	v_add_u32_e32 v2, 7, v18
	v_cndmask_b32_e32 v2, v3, v2, vcc
	v_cndmask_b32_e64 v3, 0, 1, vcc
	v_lshrrev_b64 v[41:42], v3, v[34:35]
; %bb.2884:                             ;   in Loop: Header=BB2_2849 Depth=2
	s_andn2_saveexec_b64 s[18:19], s[18:19]
; %bb.2885:                             ;   in Loop: Header=BB2_2849 Depth=2
	v_mov_b32_e32 v42, v35
	v_bfe_u32 v2, v34, 23, 1
	v_mov_b32_e32 v41, v34
; %bb.2886:                             ;   in Loop: Header=BB2_2849 Depth=2
	s_or_b64 exec, exec, s[18:19]
	v_lshrrev_b64 v[18:19], 20, v[41:42]
	v_cmp_gt_i32_e32 vcc, 16, v2
	v_cndmask_b32_e32 v19, 0, v19, vcc
	v_cndmask_b32_e32 v18, 7, v18, vcc
	v_cmp_eq_u32_e32 vcc, 0, v2
	v_min_i32_e32 v2, 15, v2
	v_cmp_eq_u64_e64 s[18:19], 0, v[18:19]
	v_lshlrev_b32_e32 v2, 3, v2
	v_and_b32_e32 v2, 0xf8, v2
	v_and_or_b32 v2, v18, 7, v2
	s_and_b64 s[18:19], vcc, s[18:19]
	v_cndmask_b32_e64 v2, v2, 0, s[18:19]
	v_or_b32_e32 v31, v2, v0
.LBB2_2887:                             ;   in Loop: Header=BB2_2849 Depth=2
	s_or_b64 exec, exec, s[24:25]
                                        ; implicit-def: $vgpr0
.LBB2_2888:                             ;   in Loop: Header=BB2_2849 Depth=2
	s_andn2_saveexec_b64 s[18:19], s[22:23]
; %bb.2889:                             ;   in Loop: Header=BB2_2849 Depth=2
	v_or_b32_e32 v31, 0x7e, v0
; %bb.2890:                             ;   in Loop: Header=BB2_2849 Depth=2
	s_or_b64 exec, exec, s[18:19]
                                        ; implicit-def: $vgpr3
.LBB2_2891:                             ;   in Loop: Header=BB2_2849 Depth=2
	s_andn2_saveexec_b64 s[18:19], s[20:21]
; %bb.2892:                             ;   in Loop: Header=BB2_2849 Depth=2
	v_or_b32_sdwa v31, v3, s49 dst_sel:DWORD dst_unused:UNUSED_PAD src0_sel:BYTE_3 src1_sel:DWORD
; %bb.2893:                             ;   in Loop: Header=BB2_2849 Depth=2
	s_or_b64 exec, exec, s[18:19]
	v_lshrrev_b16_e32 v34, 8, v14
	v_and_b32_e32 v0, 7, v34
	v_and_b32_e32 v2, 0x7f, v34
	v_cmp_eq_u32_e64 s[18:19], s49, v2
	v_cmp_gt_u32_e32 vcc, 8, v2
	v_ffbh_u32_e32 v2, v0
	v_min_u32_e32 v19, 32, v2
	v_subrev_u32_e32 v2, 28, v19
	v_lshlrev_b64 v[2:3], v2, v[34:35]
	v_bfe_u32 v18, v34, 3, 4
	v_sub_u32_e32 v3, 29, v19
	v_and_b32_e32 v2, 7, v2
	v_cndmask_b32_e32 v3, v18, v3, vcc
	v_cndmask_b32_e32 v0, v0, v2, vcc
	v_lshlrev_b32_e32 v2, 24, v34
	v_lshlrev_b32_e32 v0, 20, v0
	v_and_b32_e32 v2, 0x80000000, v2
	v_lshl_add_u32 v3, v3, 23, v56
	v_lshrrev_b16_e32 v30, 8, v10
	v_or3_b32 v0, v2, v3, v0
	v_cmp_ne_u16_e64 s[20:21], 0, v30
	s_mov_b64 s[22:23], -1
	s_and_b64 vcc, exec, s[94:95]
                                        ; implicit-def: $vgpr18
	s_cbranch_vccz .LBB2_2907
; %bb.2894:                             ;   in Loop: Header=BB2_2849 Depth=2
	v_mov_b32_e32 v3, 0
	s_and_saveexec_b64 s[22:23], s[20:21]
	s_cbranch_execz .LBB2_2900
; %bb.2895:                             ;   in Loop: Header=BB2_2849 Depth=2
	v_cmp_ne_u16_e32 vcc, s52, v30
	v_bfrev_b32_e32 v3, 1
	s_and_saveexec_b64 s[24:25], vcc
	s_cbranch_execz .LBB2_2899
; %bb.2896:                             ;   in Loop: Header=BB2_2849 Depth=2
	v_and_b32_e32 v2, 0x7f, v30
	v_cmp_ne_u32_e32 vcc, s49, v2
	v_mov_b32_e32 v3, 0x7f800001
	s_and_saveexec_b64 s[30:31], vcc
	s_cbranch_execz .LBB2_2898
; %bb.2897:                             ;   in Loop: Header=BB2_2849 Depth=2
	v_and_b32_e32 v18, 7, v30
	v_lshrrev_b32_e32 v19, 3, v2
	v_cmp_gt_u32_e32 vcc, 8, v2
	v_ffbh_u32_e32 v2, v18
	v_min_u32_e32 v24, 32, v2
	v_subrev_u32_e32 v2, 28, v24
	v_lshlrev_b64 v[2:3], v2, v[30:31]
	v_sub_u32_e32 v3, 29, v24
	v_and_b32_e32 v2, 7, v2
	v_cndmask_b32_e32 v3, v19, v3, vcc
	v_cndmask_b32_e32 v2, v18, v2, vcc
	v_lshlrev_b32_e32 v18, 16, v10
	v_lshlrev_b32_e32 v2, 20, v2
	v_and_b32_e32 v18, 0x80000000, v18
	v_lshl_add_u32 v3, v3, 23, v56
	v_or3_b32 v3, v18, v3, v2
.LBB2_2898:                             ;   in Loop: Header=BB2_2849 Depth=2
	s_or_b64 exec, exec, s[30:31]
.LBB2_2899:                             ;   in Loop: Header=BB2_2849 Depth=2
	s_or_b64 exec, exec, s[24:25]
.LBB2_2900:                             ;   in Loop: Header=BB2_2849 Depth=2
	s_or_b64 exec, exec, s[22:23]
	v_cmp_lt_i16_e32 vcc, s49, v34
	s_mov_b64 s[22:23], 0
	s_and_saveexec_b64 s[24:25], vcc
	s_xor_b64 s[24:25], exec, s[24:25]
	s_cbranch_execz .LBB2_3509
; %bb.2901:                             ;   in Loop: Header=BB2_2849 Depth=2
	v_cmp_eq_u16_e32 vcc, s52, v34
	s_mov_b64 s[22:23], -1
	s_and_saveexec_b64 s[30:31], vcc
; %bb.2902:                             ;   in Loop: Header=BB2_2849 Depth=2
	s_xor_b64 s[22:23], exec, -1
; %bb.2903:                             ;   in Loop: Header=BB2_2849 Depth=2
	s_or_b64 exec, exec, s[30:31]
	s_and_b64 s[22:23], s[22:23], exec
	s_or_saveexec_b64 s[24:25], s[24:25]
	v_bfrev_b32_e32 v2, 1
	s_xor_b64 exec, exec, s[24:25]
	s_cbranch_execnz .LBB2_3510
.LBB2_2904:                             ;   in Loop: Header=BB2_2849 Depth=2
	s_or_b64 exec, exec, s[24:25]
	s_and_saveexec_b64 s[24:25], s[22:23]
.LBB2_2905:                             ;   in Loop: Header=BB2_2849 Depth=2
	v_cndmask_b32_e64 v2, v0, v59, s[18:19]
.LBB2_2906:                             ;   in Loop: Header=BB2_2849 Depth=2
	s_or_b64 exec, exec, s[24:25]
	v_max_f32_e32 v2, v2, v2
	v_max_f32_e32 v3, v3, v3
	;; [unrolled: 1-line block ×3, first 2 shown]
	s_mov_b64 s[22:23], 0
.LBB2_2907:                             ;   in Loop: Header=BB2_2849 Depth=2
	s_and_b64 vcc, exec, s[22:23]
	s_cbranch_vccz .LBB2_2921
; %bb.2908:                             ;   in Loop: Header=BB2_2849 Depth=2
	v_mov_b32_e32 v3, 0
	s_and_saveexec_b64 s[22:23], s[20:21]
	s_cbranch_execz .LBB2_2914
; %bb.2909:                             ;   in Loop: Header=BB2_2849 Depth=2
	v_cmp_ne_u16_e32 vcc, s52, v30
	v_bfrev_b32_e32 v3, 1
	s_and_saveexec_b64 s[20:21], vcc
	s_cbranch_execz .LBB2_2913
; %bb.2910:                             ;   in Loop: Header=BB2_2849 Depth=2
	v_and_b32_e32 v2, 0x7f, v30
	v_cmp_ne_u32_e32 vcc, s49, v2
	v_mov_b32_e32 v3, 0x7f800001
	s_and_saveexec_b64 s[24:25], vcc
	s_cbranch_execz .LBB2_2912
; %bb.2911:                             ;   in Loop: Header=BB2_2849 Depth=2
	v_and_b32_e32 v18, 7, v30
	v_lshrrev_b32_e32 v19, 3, v2
	v_cmp_gt_u32_e32 vcc, 8, v2
	v_ffbh_u32_e32 v2, v18
	v_min_u32_e32 v24, 32, v2
	v_subrev_u32_e32 v2, 28, v24
	v_lshlrev_b64 v[2:3], v2, v[30:31]
	v_sub_u32_e32 v3, 29, v24
	v_and_b32_e32 v2, 7, v2
	v_cndmask_b32_e32 v3, v19, v3, vcc
	v_cndmask_b32_e32 v2, v18, v2, vcc
	v_lshlrev_b32_e32 v18, 16, v10
	v_lshlrev_b32_e32 v2, 20, v2
	v_and_b32_e32 v18, 0x80000000, v18
	v_lshl_add_u32 v3, v3, 23, v56
	v_or3_b32 v3, v18, v3, v2
.LBB2_2912:                             ;   in Loop: Header=BB2_2849 Depth=2
	s_or_b64 exec, exec, s[24:25]
.LBB2_2913:                             ;   in Loop: Header=BB2_2849 Depth=2
	s_or_b64 exec, exec, s[20:21]
.LBB2_2914:                             ;   in Loop: Header=BB2_2849 Depth=2
	s_or_b64 exec, exec, s[22:23]
	v_cmp_lt_i16_e32 vcc, s49, v34
	s_mov_b64 s[20:21], 0
	s_and_saveexec_b64 s[22:23], vcc
	s_xor_b64 s[22:23], exec, s[22:23]
	s_cbranch_execz .LBB2_3511
; %bb.2915:                             ;   in Loop: Header=BB2_2849 Depth=2
	v_cmp_eq_u16_e32 vcc, s52, v34
	s_mov_b64 s[20:21], -1
	s_and_saveexec_b64 s[24:25], vcc
; %bb.2916:                             ;   in Loop: Header=BB2_2849 Depth=2
	s_xor_b64 s[20:21], exec, -1
; %bb.2917:                             ;   in Loop: Header=BB2_2849 Depth=2
	s_or_b64 exec, exec, s[24:25]
	s_and_b64 s[20:21], s[20:21], exec
	s_or_saveexec_b64 s[22:23], s[22:23]
	v_bfrev_b32_e32 v2, 1
	s_xor_b64 exec, exec, s[22:23]
	s_cbranch_execnz .LBB2_3512
.LBB2_2918:                             ;   in Loop: Header=BB2_2849 Depth=2
	s_or_b64 exec, exec, s[22:23]
	s_and_saveexec_b64 s[22:23], s[20:21]
.LBB2_2919:                             ;   in Loop: Header=BB2_2849 Depth=2
	v_cndmask_b32_e64 v2, v0, v59, s[18:19]
.LBB2_2920:                             ;   in Loop: Header=BB2_2849 Depth=2
	s_or_b64 exec, exec, s[22:23]
	v_max_f32_e32 v0, v2, v2
	v_max_f32_e32 v2, v3, v3
	v_min_f32_e32 v18, v2, v0
.LBB2_2921:                             ;   in Loop: Header=BB2_2849 Depth=2
	v_and_b32_e32 v34, 0x7f800000, v18
	v_cmp_ne_u64_e32 vcc, s[62:63], v[34:35]
                                        ; implicit-def: $vgpr3
	s_and_saveexec_b64 s[18:19], vcc
	s_xor_b64 s[20:21], exec, s[18:19]
	s_cbranch_execz .LBB2_2935
; %bb.2922:                             ;   in Loop: Header=BB2_2849 Depth=2
	v_and_b32_e32 v34, 0x7fffffff, v18
	v_cmp_gt_u64_e32 vcc, s[72:73], v[34:35]
	v_and_b32_sdwa v0, v18, s52 dst_sel:DWORD dst_unused:UNUSED_PAD src0_sel:BYTE_3 src1_sel:DWORD
                                        ; implicit-def: $vgpr3
	s_and_saveexec_b64 s[18:19], vcc
	s_xor_b64 s[22:23], exec, s[18:19]
	s_cbranch_execz .LBB2_2932
; %bb.2923:                             ;   in Loop: Header=BB2_2849 Depth=2
	v_mov_b32_e32 v3, 0
	v_cmp_ne_u32_e32 vcc, 0, v18
	s_and_saveexec_b64 s[24:25], vcc
	s_cbranch_execz .LBB2_2931
; %bb.2924:                             ;   in Loop: Header=BB2_2849 Depth=2
	v_bfe_u32 v3, v18, 23, 8
	v_cmp_gt_u32_e64 s[18:19], s53, v3
	v_sub_u32_e32 v2, 0x79, v3
	v_and_b32_e32 v19, 0x7fffff, v18
	v_cmp_eq_u32_e32 vcc, 0, v3
	v_cndmask_b32_e64 v2, 0, v2, s[18:19]
	v_or_b32_e32 v18, 0x800000, v19
	v_cndmask_b32_e32 v2, v2, v60, vcc
	v_cndmask_b32_e32 v34, v18, v19, vcc
	v_add_u32_e32 v18, 20, v2
	v_lshlrev_b64 v[18:19], v18, -1
	v_add_u32_e32 v24, 19, v2
	v_lshlrev_b64 v[24:25], v24, 1
	v_lshrrev_b64 v[41:42], v2, v[34:35]
	v_bfi_b32 v19, v19, 0, 0
	v_bfi_b32 v18, v18, 0, v34
	v_cmp_eq_u64_e64 s[18:19], v[18:19], v[24:25]
	v_mov_b32_e32 v43, v42
	v_mov_b32_e32 v42, v41
	s_and_saveexec_b64 s[30:31], s[18:19]
; %bb.2925:                             ;   in Loop: Header=BB2_2849 Depth=2
	v_bfe_u32 v18, v41, 20, 1
	v_add_co_u32_e64 v18, s[18:19], v41, v18
	v_add_co_u32_e64 v42, s[18:19], -1, v18
; %bb.2926:                             ;   in Loop: Header=BB2_2849 Depth=2
	s_or_b64 exec, exec, s[30:31]
	v_add_u32_e32 v3, 0xffffff81, v3
	v_cndmask_b32_e32 v3, v3, v61, vcc
	v_lshrrev_b32_e32 v18, 23, v41
	v_add3_u32 v18, v2, v3, v18
	v_add_u32_e32 v3, 6, v18
	v_and_b32_e32 v2, 0xfffff, v42
	v_add_u32_e32 v34, v2, v41
	v_cmp_ne_u32_e32 vcc, 0, v3
                                        ; implicit-def: $vgpr41_vgpr42
                                        ; implicit-def: $vgpr2
	s_and_saveexec_b64 s[18:19], vcc
	s_xor_b64 s[18:19], exec, s[18:19]
; %bb.2927:                             ;   in Loop: Header=BB2_2849 Depth=2
	v_cmp_lt_u64_e32 vcc, s[74:75], v[34:35]
	v_add_u32_e32 v2, 7, v18
	v_cndmask_b32_e32 v2, v3, v2, vcc
	v_cndmask_b32_e64 v3, 0, 1, vcc
	v_lshrrev_b64 v[41:42], v3, v[34:35]
; %bb.2928:                             ;   in Loop: Header=BB2_2849 Depth=2
	s_andn2_saveexec_b64 s[18:19], s[18:19]
; %bb.2929:                             ;   in Loop: Header=BB2_2849 Depth=2
	v_mov_b32_e32 v42, v35
	v_bfe_u32 v2, v34, 23, 1
	v_mov_b32_e32 v41, v34
; %bb.2930:                             ;   in Loop: Header=BB2_2849 Depth=2
	s_or_b64 exec, exec, s[18:19]
	v_lshrrev_b64 v[18:19], 20, v[41:42]
	v_cmp_gt_i32_e32 vcc, 16, v2
	v_cndmask_b32_e32 v19, 0, v19, vcc
	v_cndmask_b32_e32 v18, 7, v18, vcc
	v_cmp_eq_u32_e32 vcc, 0, v2
	v_min_i32_e32 v2, 15, v2
	v_cmp_eq_u64_e64 s[18:19], 0, v[18:19]
	v_lshlrev_b32_e32 v2, 3, v2
	v_and_b32_e32 v2, 0xf8, v2
	v_and_or_b32 v2, v18, 7, v2
	s_and_b64 s[18:19], vcc, s[18:19]
	v_cndmask_b32_e64 v2, v2, 0, s[18:19]
	v_or_b32_e32 v3, v2, v0
.LBB2_2931:                             ;   in Loop: Header=BB2_2849 Depth=2
	s_or_b64 exec, exec, s[24:25]
                                        ; implicit-def: $vgpr0
.LBB2_2932:                             ;   in Loop: Header=BB2_2849 Depth=2
	s_andn2_saveexec_b64 s[18:19], s[22:23]
; %bb.2933:                             ;   in Loop: Header=BB2_2849 Depth=2
	v_or_b32_e32 v3, 0x7e, v0
; %bb.2934:                             ;   in Loop: Header=BB2_2849 Depth=2
	s_or_b64 exec, exec, s[18:19]
                                        ; implicit-def: $vgpr18
.LBB2_2935:                             ;   in Loop: Header=BB2_2849 Depth=2
	s_andn2_saveexec_b64 s[18:19], s[20:21]
; %bb.2936:                             ;   in Loop: Header=BB2_2849 Depth=2
	v_or_b32_sdwa v3, v18, s49 dst_sel:DWORD dst_unused:UNUSED_PAD src0_sel:BYTE_3 src1_sel:DWORD
; %bb.2937:                             ;   in Loop: Header=BB2_2849 Depth=2
	s_or_b64 exec, exec, s[18:19]
	v_bfe_u32 v0, v14, 16, 3
	v_bfe_u32 v2, v14, 16, 7
	v_cmp_eq_u32_e64 s[18:19], s49, v2
	v_cmp_gt_u32_e32 vcc, 8, v2
	v_ffbh_u32_e32 v2, v0
	v_min_u32_e32 v2, 32, v2
	v_lshrrev_b32_e32 v30, 16, v14
	v_subrev_u32_e32 v18, 28, v2
	v_lshlrev_b64 v[18:19], v18, v[30:31]
	v_bfe_u32 v24, v30, 3, 4
	v_sub_u32_e32 v2, 29, v2
	v_and_b32_e32 v18, 7, v18
	v_cndmask_b32_e32 v2, v24, v2, vcc
	v_cndmask_b32_e32 v0, v0, v18, vcc
	v_lshlrev_b32_e32 v18, 8, v14
	v_lshlrev_b32_e32 v0, 20, v0
	v_and_b32_e32 v18, 0x80000000, v18
	v_lshl_add_u32 v2, v2, 23, v56
	v_lshrrev_b32_e32 v34, 16, v10
	v_or3_b32 v0, v18, v2, v0
	v_cmp_ne_u16_sdwa s[20:21], v34, v35 src0_sel:BYTE_0 src1_sel:DWORD
	s_mov_b64 s[22:23], -1
	s_and_b64 vcc, exec, s[94:95]
                                        ; implicit-def: $vgpr18
	s_cbranch_vccz .LBB2_2951
; %bb.2938:                             ;   in Loop: Header=BB2_2849 Depth=2
	v_mov_b32_e32 v18, 0
	s_and_saveexec_b64 s[22:23], s[20:21]
	s_cbranch_execz .LBB2_2944
; %bb.2939:                             ;   in Loop: Header=BB2_2849 Depth=2
	v_cmp_ne_u16_sdwa vcc, v34, s52 src0_sel:BYTE_0 src1_sel:DWORD
	v_bfrev_b32_e32 v18, 1
	s_and_saveexec_b64 s[24:25], vcc
	s_cbranch_execz .LBB2_2943
; %bb.2940:                             ;   in Loop: Header=BB2_2849 Depth=2
	v_bfe_u32 v2, v10, 16, 7
	v_cmp_ne_u32_e32 vcc, s49, v2
	v_mov_b32_e32 v18, 0x7f800001
	s_and_saveexec_b64 s[30:31], vcc
	s_cbranch_execz .LBB2_2942
; %bb.2941:                             ;   in Loop: Header=BB2_2849 Depth=2
	v_and_b32_e32 v24, 7, v34
	v_lshrrev_b32_e32 v25, 3, v2
	v_cmp_gt_u32_e32 vcc, 8, v2
	v_ffbh_u32_e32 v2, v24
	v_min_u32_e32 v2, 32, v2
	v_subrev_u32_e32 v18, 28, v2
	v_lshlrev_b64 v[18:19], v18, v[34:35]
	v_sub_u32_e32 v2, 29, v2
	v_and_b32_e32 v18, 7, v18
	v_cndmask_b32_e32 v2, v25, v2, vcc
	v_cndmask_b32_e32 v18, v24, v18, vcc
	v_lshlrev_b32_e32 v19, 24, v34
	v_lshlrev_b32_e32 v18, 20, v18
	v_and_b32_e32 v19, 0x80000000, v19
	v_lshl_add_u32 v2, v2, 23, v56
	v_or3_b32 v18, v19, v2, v18
.LBB2_2942:                             ;   in Loop: Header=BB2_2849 Depth=2
	s_or_b64 exec, exec, s[30:31]
.LBB2_2943:                             ;   in Loop: Header=BB2_2849 Depth=2
	s_or_b64 exec, exec, s[24:25]
.LBB2_2944:                             ;   in Loop: Header=BB2_2849 Depth=2
	s_or_b64 exec, exec, s[22:23]
	v_cmp_gt_i16_sdwa s[24:25], v30, s49 src0_sel:BYTE_0 src1_sel:DWORD
	s_mov_b64 s[22:23], 0
	s_and_saveexec_b64 vcc, s[24:25]
	s_xor_b64 s[24:25], exec, vcc
	s_cbranch_execz .LBB2_3513
; %bb.2945:                             ;   in Loop: Header=BB2_2849 Depth=2
	v_cmp_eq_u16_sdwa s[30:31], v30, s52 src0_sel:BYTE_0 src1_sel:DWORD
	s_mov_b64 s[22:23], -1
	s_and_saveexec_b64 vcc, s[30:31]
; %bb.2946:                             ;   in Loop: Header=BB2_2849 Depth=2
	s_xor_b64 s[22:23], exec, -1
; %bb.2947:                             ;   in Loop: Header=BB2_2849 Depth=2
	s_or_b64 exec, exec, vcc
	s_and_b64 s[22:23], s[22:23], exec
	s_or_saveexec_b64 s[24:25], s[24:25]
	v_bfrev_b32_e32 v2, 1
	s_xor_b64 exec, exec, s[24:25]
	s_cbranch_execnz .LBB2_3514
.LBB2_2948:                             ;   in Loop: Header=BB2_2849 Depth=2
	s_or_b64 exec, exec, s[24:25]
	s_and_saveexec_b64 s[24:25], s[22:23]
.LBB2_2949:                             ;   in Loop: Header=BB2_2849 Depth=2
	v_cndmask_b32_e64 v2, v0, v59, s[18:19]
.LBB2_2950:                             ;   in Loop: Header=BB2_2849 Depth=2
	s_or_b64 exec, exec, s[24:25]
	v_max_f32_e32 v2, v2, v2
	v_max_f32_e32 v18, v18, v18
	;; [unrolled: 1-line block ×3, first 2 shown]
	s_mov_b64 s[22:23], 0
.LBB2_2951:                             ;   in Loop: Header=BB2_2849 Depth=2
	s_and_b64 vcc, exec, s[22:23]
	s_cbranch_vccz .LBB2_2965
; %bb.2952:                             ;   in Loop: Header=BB2_2849 Depth=2
	v_mov_b32_e32 v18, 0
	s_and_saveexec_b64 s[22:23], s[20:21]
	s_cbranch_execz .LBB2_2958
; %bb.2953:                             ;   in Loop: Header=BB2_2849 Depth=2
	v_cmp_ne_u16_sdwa s[24:25], v34, s52 src0_sel:BYTE_0 src1_sel:DWORD
	v_bfrev_b32_e32 v18, 1
	s_and_saveexec_b64 s[20:21], s[24:25]
	s_cbranch_execz .LBB2_2957
; %bb.2954:                             ;   in Loop: Header=BB2_2849 Depth=2
	v_bfe_u32 v2, v10, 16, 7
	v_cmp_ne_u32_e32 vcc, s49, v2
	v_mov_b32_e32 v18, 0x7f800001
	s_and_saveexec_b64 s[24:25], vcc
	s_cbranch_execz .LBB2_2956
; %bb.2955:                             ;   in Loop: Header=BB2_2849 Depth=2
	v_and_b32_e32 v24, 7, v34
	v_lshrrev_b32_e32 v25, 3, v2
	v_cmp_gt_u32_e32 vcc, 8, v2
	v_ffbh_u32_e32 v2, v24
	v_min_u32_e32 v2, 32, v2
	v_subrev_u32_e32 v18, 28, v2
	v_lshlrev_b64 v[18:19], v18, v[34:35]
	v_sub_u32_e32 v2, 29, v2
	v_and_b32_e32 v18, 7, v18
	v_cndmask_b32_e32 v2, v25, v2, vcc
	v_cndmask_b32_e32 v18, v24, v18, vcc
	v_lshlrev_b32_e32 v19, 24, v34
	v_lshlrev_b32_e32 v18, 20, v18
	v_and_b32_e32 v19, 0x80000000, v19
	v_lshl_add_u32 v2, v2, 23, v56
	v_or3_b32 v18, v19, v2, v18
.LBB2_2956:                             ;   in Loop: Header=BB2_2849 Depth=2
	s_or_b64 exec, exec, s[24:25]
.LBB2_2957:                             ;   in Loop: Header=BB2_2849 Depth=2
	s_or_b64 exec, exec, s[20:21]
.LBB2_2958:                             ;   in Loop: Header=BB2_2849 Depth=2
	s_or_b64 exec, exec, s[22:23]
	v_cmp_gt_i16_sdwa s[22:23], v30, s49 src0_sel:BYTE_0 src1_sel:DWORD
	s_mov_b64 s[20:21], 0
	s_and_saveexec_b64 s[24:25], s[22:23]
	s_xor_b64 s[22:23], exec, s[24:25]
	s_cbranch_execz .LBB2_3515
; %bb.2959:                             ;   in Loop: Header=BB2_2849 Depth=2
	v_cmp_eq_u16_sdwa vcc, v30, s52 src0_sel:BYTE_0 src1_sel:DWORD
	s_mov_b64 s[20:21], -1
	s_and_saveexec_b64 s[24:25], vcc
; %bb.2960:                             ;   in Loop: Header=BB2_2849 Depth=2
	s_xor_b64 s[20:21], exec, -1
; %bb.2961:                             ;   in Loop: Header=BB2_2849 Depth=2
	s_or_b64 exec, exec, s[24:25]
	s_and_b64 s[20:21], s[20:21], exec
                                        ; implicit-def: $vgpr30
	s_or_saveexec_b64 s[22:23], s[22:23]
	v_bfrev_b32_e32 v2, 1
	s_xor_b64 exec, exec, s[22:23]
	s_cbranch_execnz .LBB2_3516
.LBB2_2962:                             ;   in Loop: Header=BB2_2849 Depth=2
	s_or_b64 exec, exec, s[22:23]
	s_and_saveexec_b64 s[22:23], s[20:21]
.LBB2_2963:                             ;   in Loop: Header=BB2_2849 Depth=2
	v_cndmask_b32_e64 v2, v0, v59, s[18:19]
.LBB2_2964:                             ;   in Loop: Header=BB2_2849 Depth=2
	s_or_b64 exec, exec, s[22:23]
	v_max_f32_e32 v0, v2, v2
	v_max_f32_e32 v2, v18, v18
	v_min_f32_e32 v18, v2, v0
.LBB2_2965:                             ;   in Loop: Header=BB2_2849 Depth=2
	v_and_b32_e32 v34, 0x7f800000, v18
	v_cmp_ne_u64_e32 vcc, s[62:63], v[34:35]
                                        ; implicit-def: $vgpr48
	s_and_saveexec_b64 s[18:19], vcc
	s_xor_b64 s[20:21], exec, s[18:19]
	s_cbranch_execz .LBB2_2979
; %bb.2966:                             ;   in Loop: Header=BB2_2849 Depth=2
	v_and_b32_e32 v34, 0x7fffffff, v18
	v_cmp_gt_u64_e32 vcc, s[72:73], v[34:35]
	v_and_b32_sdwa v0, v18, s52 dst_sel:DWORD dst_unused:UNUSED_PAD src0_sel:BYTE_3 src1_sel:DWORD
                                        ; implicit-def: $vgpr48
	s_and_saveexec_b64 s[18:19], vcc
	s_xor_b64 s[22:23], exec, s[18:19]
	s_cbranch_execz .LBB2_2976
; %bb.2967:                             ;   in Loop: Header=BB2_2849 Depth=2
	v_mov_b32_e32 v48, 0
	v_cmp_ne_u32_e32 vcc, 0, v18
	s_and_saveexec_b64 s[24:25], vcc
	s_cbranch_execz .LBB2_2975
; %bb.2968:                             ;   in Loop: Header=BB2_2849 Depth=2
	v_and_b32_e32 v19, 0x7fffff, v18
	v_bfe_u32 v18, v18, 23, 8
	v_cmp_gt_u32_e64 s[18:19], s53, v18
	v_sub_u32_e32 v2, 0x79, v18
	v_cmp_eq_u32_e32 vcc, 0, v18
	v_cndmask_b32_e64 v2, 0, v2, s[18:19]
	v_or_b32_e32 v24, 0x800000, v19
	v_cndmask_b32_e32 v2, v2, v60, vcc
	v_cndmask_b32_e32 v34, v24, v19, vcc
	v_add_u32_e32 v19, 20, v2
	v_lshlrev_b64 v[24:25], v19, -1
	v_add_u32_e32 v19, 19, v2
	v_lshlrev_b64 v[48:49], v19, 1
	v_lshrrev_b64 v[41:42], v2, v[34:35]
	v_bfi_b32 v25, v25, 0, 0
	v_bfi_b32 v24, v24, 0, v34
	v_cmp_eq_u64_e64 s[18:19], v[24:25], v[48:49]
	v_mov_b32_e32 v43, v42
	v_mov_b32_e32 v42, v41
	s_and_saveexec_b64 s[30:31], s[18:19]
; %bb.2969:                             ;   in Loop: Header=BB2_2849 Depth=2
	v_bfe_u32 v19, v41, 20, 1
	v_add_co_u32_e64 v19, s[18:19], v41, v19
	v_add_co_u32_e64 v42, s[18:19], -1, v19
; %bb.2970:                             ;   in Loop: Header=BB2_2849 Depth=2
	s_or_b64 exec, exec, s[30:31]
	v_add_u32_e32 v18, 0xffffff81, v18
	v_cndmask_b32_e32 v18, v18, v61, vcc
	v_lshrrev_b32_e32 v19, 23, v41
	v_add3_u32 v19, v2, v18, v19
	v_add_u32_e32 v18, 6, v19
	v_and_b32_e32 v2, 0xfffff, v42
	v_add_u32_e32 v34, v2, v41
	v_cmp_ne_u32_e32 vcc, 0, v18
                                        ; implicit-def: $vgpr41_vgpr42
                                        ; implicit-def: $vgpr2
	s_and_saveexec_b64 s[18:19], vcc
	s_xor_b64 s[18:19], exec, s[18:19]
; %bb.2971:                             ;   in Loop: Header=BB2_2849 Depth=2
	v_cmp_lt_u64_e32 vcc, s[74:75], v[34:35]
	v_add_u32_e32 v2, 7, v19
	v_cndmask_b32_e32 v2, v18, v2, vcc
	v_cndmask_b32_e64 v18, 0, 1, vcc
	v_lshrrev_b64 v[41:42], v18, v[34:35]
; %bb.2972:                             ;   in Loop: Header=BB2_2849 Depth=2
	s_andn2_saveexec_b64 s[18:19], s[18:19]
; %bb.2973:                             ;   in Loop: Header=BB2_2849 Depth=2
	v_mov_b32_e32 v42, v35
	v_bfe_u32 v2, v34, 23, 1
	v_mov_b32_e32 v41, v34
; %bb.2974:                             ;   in Loop: Header=BB2_2849 Depth=2
	s_or_b64 exec, exec, s[18:19]
	v_lshrrev_b64 v[18:19], 20, v[41:42]
	v_cmp_gt_i32_e32 vcc, 16, v2
	v_cndmask_b32_e32 v19, 0, v19, vcc
	v_cndmask_b32_e32 v18, 7, v18, vcc
	v_cmp_eq_u32_e32 vcc, 0, v2
	v_min_i32_e32 v2, 15, v2
	v_cmp_eq_u64_e64 s[18:19], 0, v[18:19]
	v_lshlrev_b32_e32 v2, 3, v2
	v_and_b32_e32 v2, 0xf8, v2
	v_and_or_b32 v2, v18, 7, v2
	s_and_b64 s[18:19], vcc, s[18:19]
	v_cndmask_b32_e64 v2, v2, 0, s[18:19]
	v_or_b32_e32 v48, v2, v0
.LBB2_2975:                             ;   in Loop: Header=BB2_2849 Depth=2
	s_or_b64 exec, exec, s[24:25]
                                        ; implicit-def: $vgpr0
.LBB2_2976:                             ;   in Loop: Header=BB2_2849 Depth=2
	s_andn2_saveexec_b64 s[18:19], s[22:23]
; %bb.2977:                             ;   in Loop: Header=BB2_2849 Depth=2
	v_or_b32_e32 v48, 0x7e, v0
; %bb.2978:                             ;   in Loop: Header=BB2_2849 Depth=2
	s_or_b64 exec, exec, s[18:19]
                                        ; implicit-def: $vgpr18
.LBB2_2979:                             ;   in Loop: Header=BB2_2849 Depth=2
	s_andn2_saveexec_b64 s[18:19], s[20:21]
; %bb.2980:                             ;   in Loop: Header=BB2_2849 Depth=2
	v_or_b32_sdwa v48, v18, s49 dst_sel:DWORD dst_unused:UNUSED_PAD src0_sel:BYTE_3 src1_sel:DWORD
; %bb.2981:                             ;   in Loop: Header=BB2_2849 Depth=2
	s_or_b64 exec, exec, s[18:19]
	v_bfe_u32 v2, v14, 24, 3
	v_bfe_u32 v18, v14, 24, 7
	v_cmp_eq_u32_e64 s[22:23], s49, v18
	v_cmp_gt_u32_e32 vcc, 8, v18
	v_ffbh_u32_e32 v18, v2
	v_min_u32_e32 v25, 32, v18
	v_lshrrev_b32_e32 v0, 24, v14
	v_subrev_u32_e32 v18, 28, v25
	v_lshlrev_b64 v[18:19], v18, v[0:1]
	v_bfe_u32 v24, v0, 3, 4
	v_cmp_eq_u32_e64 s[20:21], s52, v0
	v_sub_u32_e32 v0, 29, v25
	v_and_b32_e32 v18, 7, v18
	v_cndmask_b32_e32 v0, v24, v0, vcc
	v_cndmask_b32_e32 v2, v2, v18, vcc
	v_lshlrev_b32_e32 v2, 20, v2
	v_and_b32_e32 v18, 0x80000000, v14
	v_lshl_add_u32 v0, v0, 23, v56
	v_lshrrev_b32_e32 v30, 24, v10
	v_cmp_gt_u32_e64 s[18:19], s57, v14
	v_or3_b32 v0, v18, v0, v2
	v_cmp_lt_u32_e64 s[24:25], s77, v10
	s_mov_b64 s[30:31], -1
	s_and_b64 vcc, exec, s[94:95]
                                        ; implicit-def: $vgpr18
	s_cbranch_vccz .LBB2_2989
; %bb.2982:                             ;   in Loop: Header=BB2_2849 Depth=2
	v_mov_b32_e32 v2, 0
	s_and_saveexec_b64 s[30:31], s[24:25]
	s_cbranch_execz .LBB2_2988
; %bb.2983:                             ;   in Loop: Header=BB2_2849 Depth=2
	v_cmp_ne_u32_e32 vcc, s52, v30
	v_bfrev_b32_e32 v2, 1
	s_and_saveexec_b64 s[34:35], vcc
	s_cbranch_execz .LBB2_2987
; %bb.2984:                             ;   in Loop: Header=BB2_2849 Depth=2
	v_bfe_u32 v18, v10, 24, 7
	v_cmp_ne_u32_e32 vcc, s49, v18
	v_mov_b32_e32 v2, 0x7f800001
	s_and_saveexec_b64 s[36:37], vcc
	s_cbranch_execz .LBB2_2986
; %bb.2985:                             ;   in Loop: Header=BB2_2849 Depth=2
	v_and_b32_e32 v2, 7, v30
	v_lshrrev_b32_e32 v24, 3, v18
	v_cmp_gt_u32_e32 vcc, 8, v18
	v_ffbh_u32_e32 v18, v2
	v_min_u32_e32 v25, 32, v18
	v_subrev_u32_e32 v18, 28, v25
	v_lshlrev_b64 v[18:19], v18, v[30:31]
	v_sub_u32_e32 v19, 29, v25
	v_and_b32_e32 v18, 7, v18
	v_cndmask_b32_e32 v19, v24, v19, vcc
	v_cndmask_b32_e32 v2, v2, v18, vcc
	v_lshlrev_b32_e32 v18, 24, v30
	v_lshlrev_b32_e32 v2, 20, v2
	v_and_b32_e32 v18, 0x80000000, v18
	v_lshl_add_u32 v19, v19, 23, v56
	v_or3_b32 v2, v18, v19, v2
.LBB2_2986:                             ;   in Loop: Header=BB2_2849 Depth=2
	s_or_b64 exec, exec, s[36:37]
.LBB2_2987:                             ;   in Loop: Header=BB2_2849 Depth=2
	s_or_b64 exec, exec, s[34:35]
.LBB2_2988:                             ;   in Loop: Header=BB2_2849 Depth=2
	s_or_b64 exec, exec, s[30:31]
	v_cndmask_b32_e64 v18, v0, v59, s[22:23]
	v_cndmask_b32_e64 v18, v18, v62, s[20:21]
	;; [unrolled: 1-line block ×3, first 2 shown]
	v_max_f32_e32 v18, v18, v18
	v_max_f32_e32 v2, v2, v2
	;; [unrolled: 1-line block ×3, first 2 shown]
	s_mov_b64 s[30:31], 0
.LBB2_2989:                             ;   in Loop: Header=BB2_2849 Depth=2
	s_and_b64 vcc, exec, s[30:31]
	s_cbranch_vccz .LBB2_2997
; %bb.2990:                             ;   in Loop: Header=BB2_2849 Depth=2
	v_mov_b32_e32 v2, 0
	s_and_saveexec_b64 s[30:31], s[24:25]
	s_cbranch_execz .LBB2_2996
; %bb.2991:                             ;   in Loop: Header=BB2_2849 Depth=2
	v_cmp_ne_u32_e32 vcc, s52, v30
	v_bfrev_b32_e32 v2, 1
	s_and_saveexec_b64 s[24:25], vcc
	s_cbranch_execz .LBB2_2995
; %bb.2992:                             ;   in Loop: Header=BB2_2849 Depth=2
	v_bfe_u32 v18, v10, 24, 7
	v_cmp_ne_u32_e32 vcc, s49, v18
	v_mov_b32_e32 v2, 0x7f800001
	s_and_saveexec_b64 s[34:35], vcc
	s_cbranch_execz .LBB2_2994
; %bb.2993:                             ;   in Loop: Header=BB2_2849 Depth=2
	v_and_b32_e32 v2, 7, v30
	v_lshrrev_b32_e32 v24, 3, v18
	v_cmp_gt_u32_e32 vcc, 8, v18
	v_ffbh_u32_e32 v18, v2
	v_min_u32_e32 v25, 32, v18
	v_subrev_u32_e32 v18, 28, v25
	v_lshlrev_b64 v[18:19], v18, v[30:31]
	v_sub_u32_e32 v19, 29, v25
	v_and_b32_e32 v18, 7, v18
	v_cndmask_b32_e32 v19, v24, v19, vcc
	v_cndmask_b32_e32 v2, v2, v18, vcc
	v_lshlrev_b32_e32 v18, 24, v30
	v_lshlrev_b32_e32 v2, 20, v2
	v_and_b32_e32 v18, 0x80000000, v18
	v_lshl_add_u32 v19, v19, 23, v56
	v_or3_b32 v2, v18, v19, v2
.LBB2_2994:                             ;   in Loop: Header=BB2_2849 Depth=2
	s_or_b64 exec, exec, s[34:35]
.LBB2_2995:                             ;   in Loop: Header=BB2_2849 Depth=2
	s_or_b64 exec, exec, s[24:25]
.LBB2_2996:                             ;   in Loop: Header=BB2_2849 Depth=2
	s_or_b64 exec, exec, s[30:31]
	v_cndmask_b32_e64 v0, v0, v59, s[22:23]
	v_cndmask_b32_e64 v0, v0, v62, s[20:21]
	;; [unrolled: 1-line block ×3, first 2 shown]
	v_max_f32_e32 v0, v0, v0
	v_max_f32_e32 v2, v2, v2
	v_min_f32_e32 v18, v2, v0
.LBB2_2997:                             ;   in Loop: Header=BB2_2849 Depth=2
	v_and_b32_e32 v34, 0x7f800000, v18
	v_cmp_ne_u64_e32 vcc, s[62:63], v[34:35]
                                        ; implicit-def: $vgpr49
	s_and_saveexec_b64 s[18:19], vcc
	s_xor_b64 s[20:21], exec, s[18:19]
	s_cbranch_execz .LBB2_3011
; %bb.2998:                             ;   in Loop: Header=BB2_2849 Depth=2
	v_and_b32_e32 v34, 0x7fffffff, v18
	v_cmp_gt_u64_e32 vcc, s[72:73], v[34:35]
	v_and_b32_sdwa v0, v18, s52 dst_sel:DWORD dst_unused:UNUSED_PAD src0_sel:BYTE_3 src1_sel:DWORD
                                        ; implicit-def: $vgpr49
	s_and_saveexec_b64 s[18:19], vcc
	s_xor_b64 s[22:23], exec, s[18:19]
	s_cbranch_execz .LBB2_3008
; %bb.2999:                             ;   in Loop: Header=BB2_2849 Depth=2
	v_mov_b32_e32 v49, 0
	v_cmp_ne_u32_e32 vcc, 0, v18
	s_and_saveexec_b64 s[24:25], vcc
	s_cbranch_execz .LBB2_3007
; %bb.3000:                             ;   in Loop: Header=BB2_2849 Depth=2
	v_and_b32_e32 v19, 0x7fffff, v18
	v_bfe_u32 v18, v18, 23, 8
	v_cmp_gt_u32_e64 s[18:19], s53, v18
	v_sub_u32_e32 v2, 0x79, v18
	v_cmp_eq_u32_e32 vcc, 0, v18
	v_cndmask_b32_e64 v2, 0, v2, s[18:19]
	v_or_b32_e32 v24, 0x800000, v19
	v_cndmask_b32_e32 v2, v2, v60, vcc
	v_cndmask_b32_e32 v34, v24, v19, vcc
	v_add_u32_e32 v19, 20, v2
	v_lshlrev_b64 v[24:25], v19, -1
	v_add_u32_e32 v19, 19, v2
	v_lshlrev_b64 v[49:50], v19, 1
	v_lshrrev_b64 v[41:42], v2, v[34:35]
	v_bfi_b32 v25, v25, 0, 0
	v_bfi_b32 v24, v24, 0, v34
	v_cmp_eq_u64_e64 s[18:19], v[24:25], v[49:50]
	v_mov_b32_e32 v43, v42
	v_mov_b32_e32 v42, v41
	s_and_saveexec_b64 s[30:31], s[18:19]
; %bb.3001:                             ;   in Loop: Header=BB2_2849 Depth=2
	v_bfe_u32 v19, v41, 20, 1
	v_add_co_u32_e64 v19, s[18:19], v41, v19
	v_add_co_u32_e64 v42, s[18:19], -1, v19
; %bb.3002:                             ;   in Loop: Header=BB2_2849 Depth=2
	s_or_b64 exec, exec, s[30:31]
	v_add_u32_e32 v18, 0xffffff81, v18
	v_cndmask_b32_e32 v18, v18, v61, vcc
	v_lshrrev_b32_e32 v19, 23, v41
	v_add3_u32 v19, v2, v18, v19
	v_add_u32_e32 v18, 6, v19
	v_and_b32_e32 v2, 0xfffff, v42
	v_add_u32_e32 v34, v2, v41
	v_cmp_ne_u32_e32 vcc, 0, v18
                                        ; implicit-def: $vgpr41_vgpr42
                                        ; implicit-def: $vgpr2
	s_and_saveexec_b64 s[18:19], vcc
	s_xor_b64 s[18:19], exec, s[18:19]
; %bb.3003:                             ;   in Loop: Header=BB2_2849 Depth=2
	v_cmp_lt_u64_e32 vcc, s[74:75], v[34:35]
	v_add_u32_e32 v2, 7, v19
	v_cndmask_b32_e32 v2, v18, v2, vcc
	v_cndmask_b32_e64 v18, 0, 1, vcc
	v_lshrrev_b64 v[41:42], v18, v[34:35]
; %bb.3004:                             ;   in Loop: Header=BB2_2849 Depth=2
	s_andn2_saveexec_b64 s[18:19], s[18:19]
; %bb.3005:                             ;   in Loop: Header=BB2_2849 Depth=2
	v_mov_b32_e32 v42, v35
	v_bfe_u32 v2, v34, 23, 1
	v_mov_b32_e32 v41, v34
; %bb.3006:                             ;   in Loop: Header=BB2_2849 Depth=2
	s_or_b64 exec, exec, s[18:19]
	v_lshrrev_b64 v[18:19], 20, v[41:42]
	v_cmp_gt_i32_e32 vcc, 16, v2
	v_cndmask_b32_e32 v19, 0, v19, vcc
	v_cndmask_b32_e32 v18, 7, v18, vcc
	v_cmp_eq_u32_e32 vcc, 0, v2
	v_min_i32_e32 v2, 15, v2
	v_cmp_eq_u64_e64 s[18:19], 0, v[18:19]
	v_lshlrev_b32_e32 v2, 3, v2
	v_and_b32_e32 v2, 0xf8, v2
	v_and_or_b32 v2, v18, 7, v2
	s_and_b64 s[18:19], vcc, s[18:19]
	v_cndmask_b32_e64 v2, v2, 0, s[18:19]
	v_or_b32_e32 v49, v2, v0
.LBB2_3007:                             ;   in Loop: Header=BB2_2849 Depth=2
	s_or_b64 exec, exec, s[24:25]
                                        ; implicit-def: $vgpr0
.LBB2_3008:                             ;   in Loop: Header=BB2_2849 Depth=2
	s_andn2_saveexec_b64 s[18:19], s[22:23]
; %bb.3009:                             ;   in Loop: Header=BB2_2849 Depth=2
	v_or_b32_e32 v49, 0x7e, v0
; %bb.3010:                             ;   in Loop: Header=BB2_2849 Depth=2
	s_or_b64 exec, exec, s[18:19]
                                        ; implicit-def: $vgpr18
.LBB2_3011:                             ;   in Loop: Header=BB2_2849 Depth=2
	s_andn2_saveexec_b64 s[18:19], s[20:21]
; %bb.3012:                             ;   in Loop: Header=BB2_2849 Depth=2
	v_or_b32_sdwa v49, v18, s49 dst_sel:DWORD dst_unused:UNUSED_PAD src0_sel:BYTE_3 src1_sel:DWORD
; %bb.3013:                             ;   in Loop: Header=BB2_2849 Depth=2
	s_or_b64 exec, exec, s[18:19]
	v_and_b32_e32 v0, 7, v15
	v_ffbh_u32_e32 v0, v0
	v_and_b32_e32 v2, 0x7f, v15
	v_min_u32_e32 v0, 32, v0
	v_cmp_eq_u32_e64 s[18:19], s49, v2
	v_cmp_gt_u32_e32 vcc, 8, v2
	v_subrev_u32_e32 v2, 28, v0
	v_mov_b32_e32 v34, v15
	v_bfe_u32 v18, v15, 3, 4
	v_sub_u32_e32 v0, 29, v0
	v_cndmask_b32_e32 v2, 0, v2, vcc
	v_cndmask_b32_e32 v0, v18, v0, vcc
	v_lshlrev_b64 v[18:19], v2, v[34:35]
	v_lshl_add_u32 v0, v0, 23, v56
	v_lshlrev_b32_e32 v2, 20, v18
	v_lshlrev_b32_e32 v18, 24, v15
	v_and_b32_e32 v2, 0x700000, v2
	v_and_b32_e32 v18, 0x80000000, v18
	v_or3_b32 v0, v18, v0, v2
	v_mov_b32_e32 v41, v11
	v_mov_b32_e32 v42, v35
	v_cmp_ne_u16_sdwa s[20:21], v11, v35 src0_sel:BYTE_0 src1_sel:DWORD
	s_mov_b64 s[22:23], -1
	s_and_b64 vcc, exec, s[94:95]
                                        ; implicit-def: $vgpr18
	s_cbranch_vccz .LBB2_3027
; %bb.3014:                             ;   in Loop: Header=BB2_2849 Depth=2
	v_mov_b32_e32 v18, 0
	s_and_saveexec_b64 s[22:23], s[20:21]
	s_cbranch_execz .LBB2_3020
; %bb.3015:                             ;   in Loop: Header=BB2_2849 Depth=2
	v_cmp_ne_u16_sdwa vcc, v11, s52 src0_sel:BYTE_0 src1_sel:DWORD
	v_bfrev_b32_e32 v18, 1
	s_and_saveexec_b64 s[24:25], vcc
	s_cbranch_execz .LBB2_3019
; %bb.3016:                             ;   in Loop: Header=BB2_2849 Depth=2
	v_and_b32_e32 v2, 0x7f, v11
	v_cmp_ne_u32_e32 vcc, s49, v2
	v_mov_b32_e32 v18, 0x7f800001
	s_and_saveexec_b64 s[30:31], vcc
	s_cbranch_execz .LBB2_3018
; %bb.3017:                             ;   in Loop: Header=BB2_2849 Depth=2
	v_and_b32_e32 v18, 7, v11
	v_lshrrev_b32_e32 v19, 3, v2
	v_cmp_gt_u32_e32 vcc, 8, v2
	v_ffbh_u32_e32 v2, v18
	v_min_u32_e32 v2, 32, v2
	v_subrev_u32_e32 v18, 28, v2
	v_sub_u32_e32 v2, 29, v2
	v_cndmask_b32_e32 v18, 0, v18, vcc
	v_cndmask_b32_e32 v2, v19, v2, vcc
	v_lshlrev_b64 v[18:19], v18, v[41:42]
	v_lshlrev_b32_e32 v19, 24, v41
	v_lshlrev_b32_e32 v18, 20, v18
	v_and_b32_e32 v18, 0x700000, v18
	v_and_b32_e32 v19, 0x80000000, v19
	v_lshl_add_u32 v2, v2, 23, v56
	v_or3_b32 v18, v19, v2, v18
.LBB2_3018:                             ;   in Loop: Header=BB2_2849 Depth=2
	s_or_b64 exec, exec, s[30:31]
.LBB2_3019:                             ;   in Loop: Header=BB2_2849 Depth=2
	s_or_b64 exec, exec, s[24:25]
.LBB2_3020:                             ;   in Loop: Header=BB2_2849 Depth=2
	s_or_b64 exec, exec, s[22:23]
	v_cmp_gt_i16_sdwa s[24:25], v15, s49 src0_sel:BYTE_0 src1_sel:DWORD
	s_mov_b64 s[22:23], 0
	s_and_saveexec_b64 vcc, s[24:25]
	s_xor_b64 s[24:25], exec, vcc
	s_cbranch_execz .LBB2_3517
; %bb.3021:                             ;   in Loop: Header=BB2_2849 Depth=2
	v_cmp_eq_u16_sdwa s[30:31], v15, s52 src0_sel:BYTE_0 src1_sel:DWORD
	s_mov_b64 s[22:23], -1
	s_and_saveexec_b64 vcc, s[30:31]
; %bb.3022:                             ;   in Loop: Header=BB2_2849 Depth=2
	s_xor_b64 s[22:23], exec, -1
; %bb.3023:                             ;   in Loop: Header=BB2_2849 Depth=2
	s_or_b64 exec, exec, vcc
	s_and_b64 s[22:23], s[22:23], exec
	s_or_saveexec_b64 s[24:25], s[24:25]
	v_bfrev_b32_e32 v2, 1
	s_xor_b64 exec, exec, s[24:25]
	s_cbranch_execnz .LBB2_3518
.LBB2_3024:                             ;   in Loop: Header=BB2_2849 Depth=2
	s_or_b64 exec, exec, s[24:25]
	s_and_saveexec_b64 s[24:25], s[22:23]
.LBB2_3025:                             ;   in Loop: Header=BB2_2849 Depth=2
	v_cndmask_b32_e64 v2, v0, v59, s[18:19]
.LBB2_3026:                             ;   in Loop: Header=BB2_2849 Depth=2
	s_or_b64 exec, exec, s[24:25]
	v_max_f32_e32 v2, v2, v2
	v_max_f32_e32 v18, v18, v18
	;; [unrolled: 1-line block ×3, first 2 shown]
	s_mov_b64 s[22:23], 0
.LBB2_3027:                             ;   in Loop: Header=BB2_2849 Depth=2
	s_and_b64 vcc, exec, s[22:23]
	s_cbranch_vccz .LBB2_3041
; %bb.3028:                             ;   in Loop: Header=BB2_2849 Depth=2
	v_mov_b32_e32 v18, 0
	s_and_saveexec_b64 s[22:23], s[20:21]
	s_cbranch_execz .LBB2_3034
; %bb.3029:                             ;   in Loop: Header=BB2_2849 Depth=2
	v_cmp_ne_u16_sdwa s[24:25], v11, s52 src0_sel:BYTE_0 src1_sel:DWORD
	v_bfrev_b32_e32 v18, 1
	s_and_saveexec_b64 s[20:21], s[24:25]
	s_cbranch_execz .LBB2_3033
; %bb.3030:                             ;   in Loop: Header=BB2_2849 Depth=2
	v_and_b32_e32 v2, 0x7f, v11
	v_cmp_ne_u32_e32 vcc, s49, v2
	v_mov_b32_e32 v18, 0x7f800001
	s_and_saveexec_b64 s[24:25], vcc
	s_cbranch_execz .LBB2_3032
; %bb.3031:                             ;   in Loop: Header=BB2_2849 Depth=2
	v_and_b32_e32 v18, 7, v11
	v_lshrrev_b32_e32 v19, 3, v2
	v_cmp_gt_u32_e32 vcc, 8, v2
	v_ffbh_u32_e32 v2, v18
	v_min_u32_e32 v2, 32, v2
	v_subrev_u32_e32 v18, 28, v2
	v_sub_u32_e32 v2, 29, v2
	v_cndmask_b32_e32 v18, 0, v18, vcc
	v_cndmask_b32_e32 v2, v19, v2, vcc
	v_lshlrev_b64 v[18:19], v18, v[41:42]
	v_lshlrev_b32_e32 v19, 24, v41
	v_lshlrev_b32_e32 v18, 20, v18
	v_and_b32_e32 v18, 0x700000, v18
	v_and_b32_e32 v19, 0x80000000, v19
	v_lshl_add_u32 v2, v2, 23, v56
	v_or3_b32 v18, v19, v2, v18
.LBB2_3032:                             ;   in Loop: Header=BB2_2849 Depth=2
	s_or_b64 exec, exec, s[24:25]
.LBB2_3033:                             ;   in Loop: Header=BB2_2849 Depth=2
	s_or_b64 exec, exec, s[20:21]
.LBB2_3034:                             ;   in Loop: Header=BB2_2849 Depth=2
	s_or_b64 exec, exec, s[22:23]
	v_cmp_gt_i16_sdwa s[22:23], v15, s49 src0_sel:BYTE_0 src1_sel:DWORD
	s_mov_b64 s[20:21], 0
	s_and_saveexec_b64 s[24:25], s[22:23]
	s_xor_b64 s[22:23], exec, s[24:25]
	s_cbranch_execz .LBB2_3519
; %bb.3035:                             ;   in Loop: Header=BB2_2849 Depth=2
	v_cmp_eq_u16_sdwa vcc, v15, s52 src0_sel:BYTE_0 src1_sel:DWORD
	s_mov_b64 s[20:21], -1
	s_and_saveexec_b64 s[24:25], vcc
; %bb.3036:                             ;   in Loop: Header=BB2_2849 Depth=2
	s_xor_b64 s[20:21], exec, -1
; %bb.3037:                             ;   in Loop: Header=BB2_2849 Depth=2
	s_or_b64 exec, exec, s[24:25]
	s_and_b64 s[20:21], s[20:21], exec
	s_or_saveexec_b64 s[22:23], s[22:23]
	v_bfrev_b32_e32 v2, 1
	s_xor_b64 exec, exec, s[22:23]
	s_cbranch_execnz .LBB2_3520
.LBB2_3038:                             ;   in Loop: Header=BB2_2849 Depth=2
	s_or_b64 exec, exec, s[22:23]
	s_and_saveexec_b64 s[22:23], s[20:21]
.LBB2_3039:                             ;   in Loop: Header=BB2_2849 Depth=2
	v_cndmask_b32_e64 v2, v0, v59, s[18:19]
.LBB2_3040:                             ;   in Loop: Header=BB2_2849 Depth=2
	s_or_b64 exec, exec, s[22:23]
	v_max_f32_e32 v0, v2, v2
	v_max_f32_e32 v2, v18, v18
	v_min_f32_e32 v18, v2, v0
.LBB2_3041:                             ;   in Loop: Header=BB2_2849 Depth=2
	v_and_b32_e32 v24, 0x7f800000, v18
	v_mov_b32_e32 v25, v35
	v_cmp_ne_u64_e32 vcc, s[62:63], v[24:25]
                                        ; implicit-def: $vgpr44
	s_and_saveexec_b64 s[18:19], vcc
	s_xor_b64 s[20:21], exec, s[18:19]
	s_cbranch_execz .LBB2_3055
; %bb.3042:                             ;   in Loop: Header=BB2_2849 Depth=2
	v_and_b32_e32 v24, 0x7fffffff, v18
	v_mov_b32_e32 v25, v35
	v_cmp_gt_u64_e32 vcc, s[72:73], v[24:25]
	v_and_b32_sdwa v0, v18, s52 dst_sel:DWORD dst_unused:UNUSED_PAD src0_sel:BYTE_3 src1_sel:DWORD
                                        ; implicit-def: $vgpr44
	s_and_saveexec_b64 s[18:19], vcc
	s_xor_b64 s[22:23], exec, s[18:19]
	s_cbranch_execz .LBB2_3052
; %bb.3043:                             ;   in Loop: Header=BB2_2849 Depth=2
	v_mov_b32_e32 v44, 0
	v_cmp_ne_u32_e32 vcc, 0, v18
	s_and_saveexec_b64 s[24:25], vcc
	s_cbranch_execz .LBB2_3051
; %bb.3044:                             ;   in Loop: Header=BB2_2849 Depth=2
	v_and_b32_e32 v19, 0x7fffff, v18
	v_bfe_u32 v18, v18, 23, 8
	v_cmp_gt_u32_e64 s[18:19], s53, v18
	v_sub_u32_e32 v2, 0x79, v18
	v_cmp_eq_u32_e32 vcc, 0, v18
	v_cndmask_b32_e64 v2, 0, v2, s[18:19]
	v_or_b32_e32 v24, 0x800000, v19
	v_cndmask_b32_e32 v2, v2, v60, vcc
	v_cndmask_b32_e32 v24, v24, v19, vcc
	v_add_u32_e32 v19, 20, v2
	v_lshlrev_b64 v[50:51], v19, -1
	v_add_u32_e32 v19, 19, v2
	v_lshlrev_b64 v[42:43], v19, 1
	v_mov_b32_e32 v25, v35
	v_bfi_b32 v51, v51, 0, 0
	v_bfi_b32 v50, v50, 0, v24
	v_cmp_eq_u64_e64 s[18:19], v[50:51], v[42:43]
	v_lshrrev_b64 v[42:43], v2, v[24:25]
	v_mov_b32_e32 v44, v43
	v_mov_b32_e32 v43, v42
	s_and_saveexec_b64 s[30:31], s[18:19]
; %bb.3045:                             ;   in Loop: Header=BB2_2849 Depth=2
	v_bfe_u32 v19, v42, 20, 1
	v_add_co_u32_e64 v19, s[18:19], v42, v19
	v_add_co_u32_e64 v43, s[18:19], -1, v19
; %bb.3046:                             ;   in Loop: Header=BB2_2849 Depth=2
	s_or_b64 exec, exec, s[30:31]
	v_add_u32_e32 v18, 0xffffff81, v18
	v_cndmask_b32_e32 v18, v18, v61, vcc
	v_lshrrev_b32_e32 v19, 23, v42
	v_add3_u32 v19, v2, v18, v19
	v_add_u32_e32 v18, 6, v19
	v_and_b32_e32 v2, 0xfffff, v43
	v_add_u32_e32 v42, v2, v42
	v_mov_b32_e32 v43, v35
	v_cmp_ne_u32_e32 vcc, 0, v18
                                        ; implicit-def: $vgpr2
	s_and_saveexec_b64 s[18:19], vcc
	s_xor_b64 s[18:19], exec, s[18:19]
; %bb.3047:                             ;   in Loop: Header=BB2_2849 Depth=2
	v_cmp_lt_u64_e32 vcc, s[74:75], v[42:43]
	v_add_u32_e32 v2, 7, v19
	v_cndmask_b32_e32 v2, v18, v2, vcc
	v_cndmask_b32_e64 v18, 0, 1, vcc
	v_lshrrev_b64 v[42:43], v18, v[42:43]
; %bb.3048:                             ;   in Loop: Header=BB2_2849 Depth=2
	s_andn2_saveexec_b64 s[18:19], s[18:19]
; %bb.3049:                             ;   in Loop: Header=BB2_2849 Depth=2
	v_bfe_u32 v2, v42, 23, 1
; %bb.3050:                             ;   in Loop: Header=BB2_2849 Depth=2
	s_or_b64 exec, exec, s[18:19]
	v_lshrrev_b64 v[18:19], 20, v[42:43]
	v_cmp_gt_i32_e32 vcc, 16, v2
	v_cndmask_b32_e32 v19, 0, v19, vcc
	v_cndmask_b32_e32 v18, 7, v18, vcc
	v_cmp_eq_u32_e32 vcc, 0, v2
	v_min_i32_e32 v2, 15, v2
	v_cmp_eq_u64_e64 s[18:19], 0, v[18:19]
	v_lshlrev_b32_e32 v2, 3, v2
	v_and_b32_e32 v2, 0xf8, v2
	v_and_or_b32 v2, v18, 7, v2
	s_and_b64 s[18:19], vcc, s[18:19]
	v_cndmask_b32_e64 v2, v2, 0, s[18:19]
	v_or_b32_e32 v44, v2, v0
.LBB2_3051:                             ;   in Loop: Header=BB2_2849 Depth=2
	s_or_b64 exec, exec, s[24:25]
                                        ; implicit-def: $vgpr0
.LBB2_3052:                             ;   in Loop: Header=BB2_2849 Depth=2
	s_andn2_saveexec_b64 s[18:19], s[22:23]
; %bb.3053:                             ;   in Loop: Header=BB2_2849 Depth=2
	v_or_b32_e32 v44, 0x7e, v0
; %bb.3054:                             ;   in Loop: Header=BB2_2849 Depth=2
	s_or_b64 exec, exec, s[18:19]
                                        ; implicit-def: $vgpr18
.LBB2_3055:                             ;   in Loop: Header=BB2_2849 Depth=2
	s_andn2_saveexec_b64 s[18:19], s[20:21]
; %bb.3056:                             ;   in Loop: Header=BB2_2849 Depth=2
	v_or_b32_sdwa v44, v18, s49 dst_sel:DWORD dst_unused:UNUSED_PAD src0_sel:BYTE_3 src1_sel:DWORD
; %bb.3057:                             ;   in Loop: Header=BB2_2849 Depth=2
	s_or_b64 exec, exec, s[18:19]
	v_lshrrev_b16_e32 v34, 8, v34
	v_and_b32_e32 v0, 7, v34
	v_and_b32_e32 v2, 0x7f, v34
	v_cmp_eq_u32_e64 s[18:19], s49, v2
	v_cmp_gt_u32_e32 vcc, 8, v2
	v_ffbh_u32_e32 v2, v0
	v_min_u32_e32 v2, 32, v2
	v_subrev_u32_e32 v18, 28, v2
	v_lshlrev_b64 v[18:19], v18, v[34:35]
	v_bfe_u32 v24, v34, 3, 4
	v_sub_u32_e32 v2, 29, v2
	v_and_b32_e32 v18, 7, v18
	v_cndmask_b32_e32 v2, v24, v2, vcc
	v_cndmask_b32_e32 v0, v0, v18, vcc
	v_lshlrev_b32_e32 v18, 24, v34
	v_lshrrev_b16_e32 v30, 8, v41
	v_lshlrev_b32_e32 v0, 20, v0
	v_and_b32_e32 v18, 0x80000000, v18
	v_lshl_add_u32 v2, v2, 23, v56
	v_or3_b32 v0, v18, v2, v0
	v_cmp_ne_u16_e64 s[20:21], 0, v30
	s_mov_b64 s[22:23], -1
	s_and_b64 vcc, exec, s[94:95]
                                        ; implicit-def: $vgpr18
	s_cbranch_vccz .LBB2_3071
; %bb.3058:                             ;   in Loop: Header=BB2_2849 Depth=2
	v_mov_b32_e32 v18, 0
	s_and_saveexec_b64 s[22:23], s[20:21]
	s_cbranch_execz .LBB2_3064
; %bb.3059:                             ;   in Loop: Header=BB2_2849 Depth=2
	v_cmp_ne_u16_e32 vcc, s52, v30
	v_bfrev_b32_e32 v18, 1
	s_and_saveexec_b64 s[24:25], vcc
	s_cbranch_execz .LBB2_3063
; %bb.3060:                             ;   in Loop: Header=BB2_2849 Depth=2
	v_and_b32_e32 v2, 0x7f, v30
	v_cmp_ne_u32_e32 vcc, s49, v2
	v_mov_b32_e32 v18, 0x7f800001
	s_and_saveexec_b64 s[30:31], vcc
	s_cbranch_execz .LBB2_3062
; %bb.3061:                             ;   in Loop: Header=BB2_2849 Depth=2
	v_and_b32_e32 v24, 7, v30
	v_lshrrev_b32_e32 v25, 3, v2
	v_cmp_gt_u32_e32 vcc, 8, v2
	v_ffbh_u32_e32 v2, v24
	v_min_u32_e32 v2, 32, v2
	v_subrev_u32_e32 v18, 28, v2
	v_lshlrev_b64 v[18:19], v18, v[30:31]
	v_sub_u32_e32 v2, 29, v2
	v_and_b32_e32 v18, 7, v18
	v_cndmask_b32_e32 v2, v25, v2, vcc
	v_cndmask_b32_e32 v18, v24, v18, vcc
	v_lshlrev_b32_e32 v19, 16, v41
	v_lshlrev_b32_e32 v18, 20, v18
	v_and_b32_e32 v19, 0x80000000, v19
	v_lshl_add_u32 v2, v2, 23, v56
	v_or3_b32 v18, v19, v2, v18
.LBB2_3062:                             ;   in Loop: Header=BB2_2849 Depth=2
	s_or_b64 exec, exec, s[30:31]
.LBB2_3063:                             ;   in Loop: Header=BB2_2849 Depth=2
	s_or_b64 exec, exec, s[24:25]
.LBB2_3064:                             ;   in Loop: Header=BB2_2849 Depth=2
	s_or_b64 exec, exec, s[22:23]
	v_cmp_lt_i16_e32 vcc, s49, v34
	s_mov_b64 s[22:23], 0
	s_and_saveexec_b64 s[24:25], vcc
	s_xor_b64 s[24:25], exec, s[24:25]
	s_cbranch_execz .LBB2_3521
; %bb.3065:                             ;   in Loop: Header=BB2_2849 Depth=2
	v_cmp_eq_u16_e32 vcc, s52, v34
	s_mov_b64 s[22:23], -1
	s_and_saveexec_b64 s[30:31], vcc
; %bb.3066:                             ;   in Loop: Header=BB2_2849 Depth=2
	s_xor_b64 s[22:23], exec, -1
; %bb.3067:                             ;   in Loop: Header=BB2_2849 Depth=2
	s_or_b64 exec, exec, s[30:31]
	s_and_b64 s[22:23], s[22:23], exec
	s_or_saveexec_b64 s[24:25], s[24:25]
	v_bfrev_b32_e32 v2, 1
	s_xor_b64 exec, exec, s[24:25]
	s_cbranch_execnz .LBB2_3522
.LBB2_3068:                             ;   in Loop: Header=BB2_2849 Depth=2
	s_or_b64 exec, exec, s[24:25]
	s_and_saveexec_b64 s[24:25], s[22:23]
.LBB2_3069:                             ;   in Loop: Header=BB2_2849 Depth=2
	v_cndmask_b32_e64 v2, v0, v59, s[18:19]
.LBB2_3070:                             ;   in Loop: Header=BB2_2849 Depth=2
	s_or_b64 exec, exec, s[24:25]
	v_max_f32_e32 v2, v2, v2
	v_max_f32_e32 v18, v18, v18
	;; [unrolled: 1-line block ×3, first 2 shown]
	s_mov_b64 s[22:23], 0
.LBB2_3071:                             ;   in Loop: Header=BB2_2849 Depth=2
	s_and_b64 vcc, exec, s[22:23]
	s_cbranch_vccz .LBB2_3085
; %bb.3072:                             ;   in Loop: Header=BB2_2849 Depth=2
	v_mov_b32_e32 v18, 0
	s_and_saveexec_b64 s[22:23], s[20:21]
	s_cbranch_execz .LBB2_3078
; %bb.3073:                             ;   in Loop: Header=BB2_2849 Depth=2
	v_cmp_ne_u16_e32 vcc, s52, v30
	v_bfrev_b32_e32 v18, 1
	s_and_saveexec_b64 s[20:21], vcc
	s_cbranch_execz .LBB2_3077
; %bb.3074:                             ;   in Loop: Header=BB2_2849 Depth=2
	v_and_b32_e32 v2, 0x7f, v30
	v_cmp_ne_u32_e32 vcc, s49, v2
	v_mov_b32_e32 v18, 0x7f800001
	s_and_saveexec_b64 s[24:25], vcc
	s_cbranch_execz .LBB2_3076
; %bb.3075:                             ;   in Loop: Header=BB2_2849 Depth=2
	v_and_b32_e32 v24, 7, v30
	v_lshrrev_b32_e32 v25, 3, v2
	v_cmp_gt_u32_e32 vcc, 8, v2
	v_ffbh_u32_e32 v2, v24
	v_min_u32_e32 v2, 32, v2
	v_subrev_u32_e32 v18, 28, v2
	v_lshlrev_b64 v[18:19], v18, v[30:31]
	v_sub_u32_e32 v2, 29, v2
	v_and_b32_e32 v18, 7, v18
	v_cndmask_b32_e32 v2, v25, v2, vcc
	v_cndmask_b32_e32 v18, v24, v18, vcc
	v_lshlrev_b32_e32 v19, 16, v41
	v_lshlrev_b32_e32 v18, 20, v18
	v_and_b32_e32 v19, 0x80000000, v19
	v_lshl_add_u32 v2, v2, 23, v56
	v_or3_b32 v18, v19, v2, v18
.LBB2_3076:                             ;   in Loop: Header=BB2_2849 Depth=2
	s_or_b64 exec, exec, s[24:25]
.LBB2_3077:                             ;   in Loop: Header=BB2_2849 Depth=2
	s_or_b64 exec, exec, s[20:21]
.LBB2_3078:                             ;   in Loop: Header=BB2_2849 Depth=2
	s_or_b64 exec, exec, s[22:23]
	v_cmp_lt_i16_e32 vcc, s49, v34
	s_mov_b64 s[20:21], 0
	s_and_saveexec_b64 s[22:23], vcc
	s_xor_b64 s[22:23], exec, s[22:23]
	s_cbranch_execz .LBB2_3523
; %bb.3079:                             ;   in Loop: Header=BB2_2849 Depth=2
	v_cmp_eq_u16_e32 vcc, s52, v34
	s_mov_b64 s[20:21], -1
	s_and_saveexec_b64 s[24:25], vcc
; %bb.3080:                             ;   in Loop: Header=BB2_2849 Depth=2
	s_xor_b64 s[20:21], exec, -1
; %bb.3081:                             ;   in Loop: Header=BB2_2849 Depth=2
	s_or_b64 exec, exec, s[24:25]
	s_and_b64 s[20:21], s[20:21], exec
	s_or_saveexec_b64 s[22:23], s[22:23]
	v_bfrev_b32_e32 v2, 1
	s_xor_b64 exec, exec, s[22:23]
	s_cbranch_execnz .LBB2_3524
.LBB2_3082:                             ;   in Loop: Header=BB2_2849 Depth=2
	s_or_b64 exec, exec, s[22:23]
	s_and_saveexec_b64 s[22:23], s[20:21]
.LBB2_3083:                             ;   in Loop: Header=BB2_2849 Depth=2
	v_cndmask_b32_e64 v2, v0, v59, s[18:19]
.LBB2_3084:                             ;   in Loop: Header=BB2_2849 Depth=2
	s_or_b64 exec, exec, s[22:23]
	v_max_f32_e32 v0, v2, v2
	v_max_f32_e32 v2, v18, v18
	v_min_f32_e32 v18, v2, v0
.LBB2_3085:                             ;   in Loop: Header=BB2_2849 Depth=2
	v_and_b32_e32 v34, 0x7f800000, v18
	v_cmp_ne_u64_e32 vcc, s[62:63], v[34:35]
                                        ; implicit-def: $vgpr58
	s_and_saveexec_b64 s[18:19], vcc
	s_xor_b64 s[20:21], exec, s[18:19]
	s_cbranch_execz .LBB2_3099
; %bb.3086:                             ;   in Loop: Header=BB2_2849 Depth=2
	v_and_b32_e32 v34, 0x7fffffff, v18
	v_cmp_gt_u64_e32 vcc, s[72:73], v[34:35]
	v_and_b32_sdwa v0, v18, s52 dst_sel:DWORD dst_unused:UNUSED_PAD src0_sel:BYTE_3 src1_sel:DWORD
                                        ; implicit-def: $vgpr58
	s_and_saveexec_b64 s[18:19], vcc
	s_xor_b64 s[22:23], exec, s[18:19]
	s_cbranch_execz .LBB2_3096
; %bb.3087:                             ;   in Loop: Header=BB2_2849 Depth=2
	v_mov_b32_e32 v58, 0
	v_cmp_ne_u32_e32 vcc, 0, v18
	s_and_saveexec_b64 s[24:25], vcc
	s_cbranch_execz .LBB2_3095
; %bb.3088:                             ;   in Loop: Header=BB2_2849 Depth=2
	v_and_b32_e32 v19, 0x7fffff, v18
	v_bfe_u32 v18, v18, 23, 8
	v_cmp_gt_u32_e64 s[18:19], s53, v18
	v_sub_u32_e32 v2, 0x79, v18
	v_cmp_eq_u32_e32 vcc, 0, v18
	v_cndmask_b32_e64 v2, 0, v2, s[18:19]
	v_or_b32_e32 v24, 0x800000, v19
	v_cndmask_b32_e32 v2, v2, v60, vcc
	v_cndmask_b32_e32 v34, v24, v19, vcc
	v_add_u32_e32 v19, 20, v2
	v_lshlrev_b64 v[24:25], v19, -1
	v_add_u32_e32 v19, 19, v2
	v_lshlrev_b64 v[50:51], v19, 1
	v_lshrrev_b64 v[41:42], v2, v[34:35]
	v_bfi_b32 v25, v25, 0, 0
	v_bfi_b32 v24, v24, 0, v34
	v_cmp_eq_u64_e64 s[18:19], v[24:25], v[50:51]
	v_mov_b32_e32 v43, v42
	v_mov_b32_e32 v42, v41
	s_and_saveexec_b64 s[30:31], s[18:19]
; %bb.3089:                             ;   in Loop: Header=BB2_2849 Depth=2
	v_bfe_u32 v19, v41, 20, 1
	v_add_co_u32_e64 v19, s[18:19], v41, v19
	v_add_co_u32_e64 v42, s[18:19], -1, v19
; %bb.3090:                             ;   in Loop: Header=BB2_2849 Depth=2
	s_or_b64 exec, exec, s[30:31]
	v_add_u32_e32 v18, 0xffffff81, v18
	v_cndmask_b32_e32 v18, v18, v61, vcc
	v_lshrrev_b32_e32 v19, 23, v41
	v_add3_u32 v19, v2, v18, v19
	v_add_u32_e32 v18, 6, v19
	v_and_b32_e32 v2, 0xfffff, v42
	v_add_u32_e32 v34, v2, v41
	v_cmp_ne_u32_e32 vcc, 0, v18
                                        ; implicit-def: $vgpr41_vgpr42
                                        ; implicit-def: $vgpr2
	s_and_saveexec_b64 s[18:19], vcc
	s_xor_b64 s[18:19], exec, s[18:19]
; %bb.3091:                             ;   in Loop: Header=BB2_2849 Depth=2
	v_cmp_lt_u64_e32 vcc, s[74:75], v[34:35]
	v_add_u32_e32 v2, 7, v19
	v_cndmask_b32_e32 v2, v18, v2, vcc
	v_cndmask_b32_e64 v18, 0, 1, vcc
	v_lshrrev_b64 v[41:42], v18, v[34:35]
; %bb.3092:                             ;   in Loop: Header=BB2_2849 Depth=2
	s_andn2_saveexec_b64 s[18:19], s[18:19]
; %bb.3093:                             ;   in Loop: Header=BB2_2849 Depth=2
	v_mov_b32_e32 v42, v35
	v_bfe_u32 v2, v34, 23, 1
	v_mov_b32_e32 v41, v34
; %bb.3094:                             ;   in Loop: Header=BB2_2849 Depth=2
	s_or_b64 exec, exec, s[18:19]
	v_lshrrev_b64 v[18:19], 20, v[41:42]
	v_cmp_gt_i32_e32 vcc, 16, v2
	v_cndmask_b32_e32 v19, 0, v19, vcc
	v_cndmask_b32_e32 v18, 7, v18, vcc
	v_cmp_eq_u32_e32 vcc, 0, v2
	v_min_i32_e32 v2, 15, v2
	v_cmp_eq_u64_e64 s[18:19], 0, v[18:19]
	v_lshlrev_b32_e32 v2, 3, v2
	v_and_b32_e32 v2, 0xf8, v2
	v_and_or_b32 v2, v18, 7, v2
	s_and_b64 s[18:19], vcc, s[18:19]
	v_cndmask_b32_e64 v2, v2, 0, s[18:19]
	v_or_b32_e32 v58, v2, v0
.LBB2_3095:                             ;   in Loop: Header=BB2_2849 Depth=2
	s_or_b64 exec, exec, s[24:25]
                                        ; implicit-def: $vgpr0
.LBB2_3096:                             ;   in Loop: Header=BB2_2849 Depth=2
	s_andn2_saveexec_b64 s[18:19], s[22:23]
; %bb.3097:                             ;   in Loop: Header=BB2_2849 Depth=2
	v_or_b32_e32 v58, 0x7e, v0
; %bb.3098:                             ;   in Loop: Header=BB2_2849 Depth=2
	s_or_b64 exec, exec, s[18:19]
                                        ; implicit-def: $vgpr18
.LBB2_3099:                             ;   in Loop: Header=BB2_2849 Depth=2
	s_andn2_saveexec_b64 s[18:19], s[20:21]
; %bb.3100:                             ;   in Loop: Header=BB2_2849 Depth=2
	v_or_b32_sdwa v58, v18, s49 dst_sel:DWORD dst_unused:UNUSED_PAD src0_sel:BYTE_3 src1_sel:DWORD
; %bb.3101:                             ;   in Loop: Header=BB2_2849 Depth=2
	s_or_b64 exec, exec, s[18:19]
	v_bfe_u32 v0, v15, 16, 3
	v_bfe_u32 v2, v15, 16, 7
	v_cmp_eq_u32_e64 s[18:19], s49, v2
	v_cmp_gt_u32_e32 vcc, 8, v2
	v_ffbh_u32_e32 v2, v0
	v_min_u32_e32 v2, 32, v2
	v_lshrrev_b32_e32 v30, 16, v15
	v_subrev_u32_e32 v18, 28, v2
	v_lshlrev_b64 v[18:19], v18, v[30:31]
	v_bfe_u32 v24, v30, 3, 4
	v_sub_u32_e32 v2, 29, v2
	v_and_b32_e32 v18, 7, v18
	v_cndmask_b32_e32 v2, v24, v2, vcc
	v_cndmask_b32_e32 v0, v0, v18, vcc
	v_lshlrev_b32_e32 v18, 8, v15
	v_lshlrev_b32_e32 v0, 20, v0
	v_and_b32_e32 v18, 0x80000000, v18
	v_lshl_add_u32 v2, v2, 23, v56
	v_lshrrev_b32_e32 v34, 16, v11
	v_or3_b32 v0, v18, v2, v0
	v_cmp_ne_u16_sdwa s[20:21], v34, v35 src0_sel:BYTE_0 src1_sel:DWORD
	s_mov_b64 s[22:23], -1
	s_and_b64 vcc, exec, s[94:95]
                                        ; implicit-def: $vgpr18
	s_cbranch_vccz .LBB2_3115
; %bb.3102:                             ;   in Loop: Header=BB2_2849 Depth=2
	v_mov_b32_e32 v18, 0
	s_and_saveexec_b64 s[22:23], s[20:21]
	s_cbranch_execz .LBB2_3108
; %bb.3103:                             ;   in Loop: Header=BB2_2849 Depth=2
	v_cmp_ne_u16_sdwa vcc, v34, s52 src0_sel:BYTE_0 src1_sel:DWORD
	v_bfrev_b32_e32 v18, 1
	s_and_saveexec_b64 s[24:25], vcc
	s_cbranch_execz .LBB2_3107
; %bb.3104:                             ;   in Loop: Header=BB2_2849 Depth=2
	v_bfe_u32 v2, v11, 16, 7
	v_cmp_ne_u32_e32 vcc, s49, v2
	v_mov_b32_e32 v18, 0x7f800001
	s_and_saveexec_b64 s[30:31], vcc
	s_cbranch_execz .LBB2_3106
; %bb.3105:                             ;   in Loop: Header=BB2_2849 Depth=2
	v_and_b32_e32 v24, 7, v34
	v_lshrrev_b32_e32 v25, 3, v2
	v_cmp_gt_u32_e32 vcc, 8, v2
	v_ffbh_u32_e32 v2, v24
	v_min_u32_e32 v2, 32, v2
	v_subrev_u32_e32 v18, 28, v2
	v_lshlrev_b64 v[18:19], v18, v[34:35]
	v_sub_u32_e32 v2, 29, v2
	v_and_b32_e32 v18, 7, v18
	v_cndmask_b32_e32 v2, v25, v2, vcc
	v_cndmask_b32_e32 v18, v24, v18, vcc
	v_lshlrev_b32_e32 v19, 24, v34
	v_lshlrev_b32_e32 v18, 20, v18
	v_and_b32_e32 v19, 0x80000000, v19
	v_lshl_add_u32 v2, v2, 23, v56
	v_or3_b32 v18, v19, v2, v18
.LBB2_3106:                             ;   in Loop: Header=BB2_2849 Depth=2
	s_or_b64 exec, exec, s[30:31]
.LBB2_3107:                             ;   in Loop: Header=BB2_2849 Depth=2
	s_or_b64 exec, exec, s[24:25]
.LBB2_3108:                             ;   in Loop: Header=BB2_2849 Depth=2
	s_or_b64 exec, exec, s[22:23]
	v_cmp_gt_i16_sdwa s[24:25], v30, s49 src0_sel:BYTE_0 src1_sel:DWORD
	s_mov_b64 s[22:23], 0
	s_and_saveexec_b64 vcc, s[24:25]
	s_xor_b64 s[24:25], exec, vcc
	s_cbranch_execz .LBB2_3525
; %bb.3109:                             ;   in Loop: Header=BB2_2849 Depth=2
	v_cmp_eq_u16_sdwa s[30:31], v30, s52 src0_sel:BYTE_0 src1_sel:DWORD
	s_mov_b64 s[22:23], -1
	s_and_saveexec_b64 vcc, s[30:31]
; %bb.3110:                             ;   in Loop: Header=BB2_2849 Depth=2
	s_xor_b64 s[22:23], exec, -1
; %bb.3111:                             ;   in Loop: Header=BB2_2849 Depth=2
	s_or_b64 exec, exec, vcc
	s_and_b64 s[22:23], s[22:23], exec
	s_or_saveexec_b64 s[24:25], s[24:25]
	v_bfrev_b32_e32 v2, 1
	s_xor_b64 exec, exec, s[24:25]
	s_cbranch_execnz .LBB2_3526
.LBB2_3112:                             ;   in Loop: Header=BB2_2849 Depth=2
	s_or_b64 exec, exec, s[24:25]
	s_and_saveexec_b64 s[24:25], s[22:23]
.LBB2_3113:                             ;   in Loop: Header=BB2_2849 Depth=2
	v_cndmask_b32_e64 v2, v0, v59, s[18:19]
.LBB2_3114:                             ;   in Loop: Header=BB2_2849 Depth=2
	s_or_b64 exec, exec, s[24:25]
	v_max_f32_e32 v2, v2, v2
	v_max_f32_e32 v18, v18, v18
	;; [unrolled: 1-line block ×3, first 2 shown]
	s_mov_b64 s[22:23], 0
.LBB2_3115:                             ;   in Loop: Header=BB2_2849 Depth=2
	s_and_b64 vcc, exec, s[22:23]
	s_cbranch_vccz .LBB2_3129
; %bb.3116:                             ;   in Loop: Header=BB2_2849 Depth=2
	v_mov_b32_e32 v18, 0
	s_and_saveexec_b64 s[22:23], s[20:21]
	s_cbranch_execz .LBB2_3122
; %bb.3117:                             ;   in Loop: Header=BB2_2849 Depth=2
	v_cmp_ne_u16_sdwa s[24:25], v34, s52 src0_sel:BYTE_0 src1_sel:DWORD
	v_bfrev_b32_e32 v18, 1
	s_and_saveexec_b64 s[20:21], s[24:25]
	s_cbranch_execz .LBB2_3121
; %bb.3118:                             ;   in Loop: Header=BB2_2849 Depth=2
	v_bfe_u32 v2, v11, 16, 7
	v_cmp_ne_u32_e32 vcc, s49, v2
	v_mov_b32_e32 v18, 0x7f800001
	s_and_saveexec_b64 s[24:25], vcc
	s_cbranch_execz .LBB2_3120
; %bb.3119:                             ;   in Loop: Header=BB2_2849 Depth=2
	v_and_b32_e32 v24, 7, v34
	v_lshrrev_b32_e32 v25, 3, v2
	v_cmp_gt_u32_e32 vcc, 8, v2
	v_ffbh_u32_e32 v2, v24
	v_min_u32_e32 v2, 32, v2
	v_subrev_u32_e32 v18, 28, v2
	v_lshlrev_b64 v[18:19], v18, v[34:35]
	v_sub_u32_e32 v2, 29, v2
	v_and_b32_e32 v18, 7, v18
	v_cndmask_b32_e32 v2, v25, v2, vcc
	v_cndmask_b32_e32 v18, v24, v18, vcc
	v_lshlrev_b32_e32 v19, 24, v34
	v_lshlrev_b32_e32 v18, 20, v18
	v_and_b32_e32 v19, 0x80000000, v19
	v_lshl_add_u32 v2, v2, 23, v56
	v_or3_b32 v18, v19, v2, v18
.LBB2_3120:                             ;   in Loop: Header=BB2_2849 Depth=2
	s_or_b64 exec, exec, s[24:25]
.LBB2_3121:                             ;   in Loop: Header=BB2_2849 Depth=2
	s_or_b64 exec, exec, s[20:21]
.LBB2_3122:                             ;   in Loop: Header=BB2_2849 Depth=2
	s_or_b64 exec, exec, s[22:23]
	v_cmp_gt_i16_sdwa s[22:23], v30, s49 src0_sel:BYTE_0 src1_sel:DWORD
	s_mov_b64 s[20:21], 0
	s_and_saveexec_b64 s[24:25], s[22:23]
	s_xor_b64 s[22:23], exec, s[24:25]
	s_cbranch_execz .LBB2_3527
; %bb.3123:                             ;   in Loop: Header=BB2_2849 Depth=2
	v_cmp_eq_u16_sdwa vcc, v30, s52 src0_sel:BYTE_0 src1_sel:DWORD
	s_mov_b64 s[20:21], -1
	s_and_saveexec_b64 s[24:25], vcc
; %bb.3124:                             ;   in Loop: Header=BB2_2849 Depth=2
	s_xor_b64 s[20:21], exec, -1
; %bb.3125:                             ;   in Loop: Header=BB2_2849 Depth=2
	s_or_b64 exec, exec, s[24:25]
	s_and_b64 s[20:21], s[20:21], exec
                                        ; implicit-def: $vgpr30
	s_or_saveexec_b64 s[22:23], s[22:23]
	v_bfrev_b32_e32 v2, 1
	s_xor_b64 exec, exec, s[22:23]
	s_cbranch_execnz .LBB2_3528
.LBB2_3126:                             ;   in Loop: Header=BB2_2849 Depth=2
	s_or_b64 exec, exec, s[22:23]
	s_and_saveexec_b64 s[22:23], s[20:21]
.LBB2_3127:                             ;   in Loop: Header=BB2_2849 Depth=2
	v_cndmask_b32_e64 v2, v0, v59, s[18:19]
.LBB2_3128:                             ;   in Loop: Header=BB2_2849 Depth=2
	s_or_b64 exec, exec, s[22:23]
	v_max_f32_e32 v0, v2, v2
	v_max_f32_e32 v2, v18, v18
	v_min_f32_e32 v18, v2, v0
.LBB2_3129:                             ;   in Loop: Header=BB2_2849 Depth=2
	v_and_b32_e32 v34, 0x7f800000, v18
	v_cmp_ne_u64_e32 vcc, s[62:63], v[34:35]
                                        ; implicit-def: $vgpr43
	s_and_saveexec_b64 s[18:19], vcc
	s_xor_b64 s[20:21], exec, s[18:19]
	s_cbranch_execz .LBB2_3143
; %bb.3130:                             ;   in Loop: Header=BB2_2849 Depth=2
	v_and_b32_e32 v34, 0x7fffffff, v18
	v_cmp_gt_u64_e32 vcc, s[72:73], v[34:35]
	v_and_b32_sdwa v0, v18, s52 dst_sel:DWORD dst_unused:UNUSED_PAD src0_sel:BYTE_3 src1_sel:DWORD
                                        ; implicit-def: $vgpr43
	s_and_saveexec_b64 s[18:19], vcc
	s_xor_b64 s[22:23], exec, s[18:19]
	s_cbranch_execz .LBB2_3140
; %bb.3131:                             ;   in Loop: Header=BB2_2849 Depth=2
	v_mov_b32_e32 v43, 0
	v_cmp_ne_u32_e32 vcc, 0, v18
	s_and_saveexec_b64 s[24:25], vcc
	s_cbranch_execz .LBB2_3139
; %bb.3132:                             ;   in Loop: Header=BB2_2849 Depth=2
	v_and_b32_e32 v19, 0x7fffff, v18
	v_bfe_u32 v18, v18, 23, 8
	v_cmp_gt_u32_e64 s[18:19], s53, v18
	v_sub_u32_e32 v2, 0x79, v18
	v_cmp_eq_u32_e32 vcc, 0, v18
	v_cndmask_b32_e64 v2, 0, v2, s[18:19]
	v_or_b32_e32 v24, 0x800000, v19
	v_cndmask_b32_e32 v2, v2, v60, vcc
	v_cndmask_b32_e32 v34, v24, v19, vcc
	v_add_u32_e32 v19, 20, v2
	v_lshlrev_b64 v[24:25], v19, -1
	v_add_u32_e32 v19, 19, v2
	v_lshlrev_b64 v[50:51], v19, 1
	v_lshrrev_b64 v[41:42], v2, v[34:35]
	v_bfi_b32 v25, v25, 0, 0
	v_bfi_b32 v24, v24, 0, v34
	v_cmp_eq_u64_e64 s[18:19], v[24:25], v[50:51]
	v_mov_b32_e32 v43, v42
	v_mov_b32_e32 v42, v41
	s_and_saveexec_b64 s[30:31], s[18:19]
; %bb.3133:                             ;   in Loop: Header=BB2_2849 Depth=2
	v_bfe_u32 v19, v41, 20, 1
	v_add_co_u32_e64 v19, s[18:19], v41, v19
	v_add_co_u32_e64 v42, s[18:19], -1, v19
; %bb.3134:                             ;   in Loop: Header=BB2_2849 Depth=2
	s_or_b64 exec, exec, s[30:31]
	v_add_u32_e32 v18, 0xffffff81, v18
	v_cndmask_b32_e32 v18, v18, v61, vcc
	v_lshrrev_b32_e32 v19, 23, v41
	v_add3_u32 v19, v2, v18, v19
	v_add_u32_e32 v18, 6, v19
	v_and_b32_e32 v2, 0xfffff, v42
	v_add_u32_e32 v34, v2, v41
	v_cmp_ne_u32_e32 vcc, 0, v18
                                        ; implicit-def: $vgpr41_vgpr42
                                        ; implicit-def: $vgpr2
	s_and_saveexec_b64 s[18:19], vcc
	s_xor_b64 s[18:19], exec, s[18:19]
; %bb.3135:                             ;   in Loop: Header=BB2_2849 Depth=2
	v_cmp_lt_u64_e32 vcc, s[74:75], v[34:35]
	v_add_u32_e32 v2, 7, v19
	v_cndmask_b32_e32 v2, v18, v2, vcc
	v_cndmask_b32_e64 v18, 0, 1, vcc
	v_lshrrev_b64 v[41:42], v18, v[34:35]
; %bb.3136:                             ;   in Loop: Header=BB2_2849 Depth=2
	s_andn2_saveexec_b64 s[18:19], s[18:19]
; %bb.3137:                             ;   in Loop: Header=BB2_2849 Depth=2
	v_mov_b32_e32 v42, v35
	v_bfe_u32 v2, v34, 23, 1
	v_mov_b32_e32 v41, v34
; %bb.3138:                             ;   in Loop: Header=BB2_2849 Depth=2
	s_or_b64 exec, exec, s[18:19]
	v_lshrrev_b64 v[18:19], 20, v[41:42]
	v_cmp_gt_i32_e32 vcc, 16, v2
	v_cndmask_b32_e32 v19, 0, v19, vcc
	v_cndmask_b32_e32 v18, 7, v18, vcc
	v_cmp_eq_u32_e32 vcc, 0, v2
	v_min_i32_e32 v2, 15, v2
	v_cmp_eq_u64_e64 s[18:19], 0, v[18:19]
	v_lshlrev_b32_e32 v2, 3, v2
	v_and_b32_e32 v2, 0xf8, v2
	v_and_or_b32 v2, v18, 7, v2
	s_and_b64 s[18:19], vcc, s[18:19]
	v_cndmask_b32_e64 v2, v2, 0, s[18:19]
	v_or_b32_e32 v43, v2, v0
.LBB2_3139:                             ;   in Loop: Header=BB2_2849 Depth=2
	s_or_b64 exec, exec, s[24:25]
                                        ; implicit-def: $vgpr0
.LBB2_3140:                             ;   in Loop: Header=BB2_2849 Depth=2
	s_andn2_saveexec_b64 s[18:19], s[22:23]
; %bb.3141:                             ;   in Loop: Header=BB2_2849 Depth=2
	v_or_b32_e32 v43, 0x7e, v0
; %bb.3142:                             ;   in Loop: Header=BB2_2849 Depth=2
	s_or_b64 exec, exec, s[18:19]
                                        ; implicit-def: $vgpr18
.LBB2_3143:                             ;   in Loop: Header=BB2_2849 Depth=2
	s_andn2_saveexec_b64 s[18:19], s[20:21]
; %bb.3144:                             ;   in Loop: Header=BB2_2849 Depth=2
	v_or_b32_sdwa v43, v18, s49 dst_sel:DWORD dst_unused:UNUSED_PAD src0_sel:BYTE_3 src1_sel:DWORD
; %bb.3145:                             ;   in Loop: Header=BB2_2849 Depth=2
	s_or_b64 exec, exec, s[18:19]
	v_cmp_gt_u64_e64 s[18:19], s[56:57], v[14:15]
	v_bfe_u32 v2, v15, 24, 3
	v_bfe_u32 v14, v15, 24, 7
	v_cmp_eq_u32_e64 s[22:23], s49, v14
	v_cmp_gt_u32_e32 vcc, 8, v14
	v_ffbh_u32_e32 v14, v2
	v_min_u32_e32 v14, 32, v14
	v_lshrrev_b32_e32 v0, 24, v15
	v_subrev_u32_e32 v18, 28, v14
	v_lshlrev_b64 v[18:19], v18, v[0:1]
	v_bfe_u32 v24, v0, 3, 4
	v_cmp_eq_u32_e64 s[20:21], s52, v0
	v_sub_u32_e32 v0, 29, v14
	v_and_b32_e32 v14, 7, v18
	v_cndmask_b32_e32 v0, v24, v0, vcc
	v_cndmask_b32_e32 v2, v2, v14, vcc
	v_lshlrev_b32_e32 v2, 20, v2
	v_and_b32_e32 v14, 0x80000000, v15
	v_lshl_add_u32 v0, v0, 23, v56
	v_cmp_lt_u64_e64 s[24:25], s[76:77], v[10:11]
	v_lshrrev_b32_e32 v30, 24, v11
	v_or3_b32 v0, v14, v0, v2
	s_mov_b64 s[30:31], -1
	s_and_b64 vcc, exec, s[94:95]
                                        ; implicit-def: $vgpr10
	s_cbranch_vccz .LBB2_3153
; %bb.3146:                             ;   in Loop: Header=BB2_2849 Depth=2
	v_mov_b32_e32 v2, 0
	s_and_saveexec_b64 s[30:31], s[24:25]
	s_cbranch_execz .LBB2_3152
; %bb.3147:                             ;   in Loop: Header=BB2_2849 Depth=2
	v_cmp_ne_u32_e32 vcc, s52, v30
	v_bfrev_b32_e32 v2, 1
	s_and_saveexec_b64 s[34:35], vcc
	s_cbranch_execz .LBB2_3151
; %bb.3148:                             ;   in Loop: Header=BB2_2849 Depth=2
	v_bfe_u32 v10, v11, 24, 7
	v_cmp_ne_u32_e32 vcc, s49, v10
	v_mov_b32_e32 v2, 0x7f800001
	s_and_saveexec_b64 s[36:37], vcc
	s_cbranch_execz .LBB2_3150
; %bb.3149:                             ;   in Loop: Header=BB2_2849 Depth=2
	v_and_b32_e32 v2, 7, v30
	v_lshrrev_b32_e32 v18, 3, v10
	v_cmp_gt_u32_e32 vcc, 8, v10
	v_ffbh_u32_e32 v10, v2
	v_min_u32_e32 v10, 32, v10
	v_subrev_u32_e32 v14, 28, v10
	v_lshlrev_b64 v[14:15], v14, v[30:31]
	v_sub_u32_e32 v10, 29, v10
	v_and_b32_e32 v14, 7, v14
	v_cndmask_b32_e32 v10, v18, v10, vcc
	v_cndmask_b32_e32 v2, v2, v14, vcc
	v_lshlrev_b32_e32 v14, 24, v30
	v_lshlrev_b32_e32 v2, 20, v2
	v_and_b32_e32 v14, 0x80000000, v14
	v_lshl_add_u32 v10, v10, 23, v56
	v_or3_b32 v2, v14, v10, v2
.LBB2_3150:                             ;   in Loop: Header=BB2_2849 Depth=2
	s_or_b64 exec, exec, s[36:37]
.LBB2_3151:                             ;   in Loop: Header=BB2_2849 Depth=2
	s_or_b64 exec, exec, s[34:35]
.LBB2_3152:                             ;   in Loop: Header=BB2_2849 Depth=2
	s_or_b64 exec, exec, s[30:31]
	v_cndmask_b32_e64 v10, v0, v59, s[22:23]
	v_cndmask_b32_e64 v10, v10, v62, s[20:21]
	;; [unrolled: 1-line block ×3, first 2 shown]
	v_max_f32_e32 v10, v10, v10
	v_max_f32_e32 v2, v2, v2
	;; [unrolled: 1-line block ×3, first 2 shown]
	s_mov_b64 s[30:31], 0
.LBB2_3153:                             ;   in Loop: Header=BB2_2849 Depth=2
	s_and_b64 vcc, exec, s[30:31]
	s_cbranch_vccz .LBB2_3161
; %bb.3154:                             ;   in Loop: Header=BB2_2849 Depth=2
	v_mov_b32_e32 v2, 0
	s_and_saveexec_b64 s[30:31], s[24:25]
	s_cbranch_execz .LBB2_3160
; %bb.3155:                             ;   in Loop: Header=BB2_2849 Depth=2
	v_cmp_ne_u32_e32 vcc, s52, v30
	v_bfrev_b32_e32 v2, 1
	s_and_saveexec_b64 s[24:25], vcc
	s_cbranch_execz .LBB2_3159
; %bb.3156:                             ;   in Loop: Header=BB2_2849 Depth=2
	v_bfe_u32 v10, v11, 24, 7
	v_cmp_ne_u32_e32 vcc, s49, v10
	v_mov_b32_e32 v2, 0x7f800001
	s_and_saveexec_b64 s[34:35], vcc
	s_cbranch_execz .LBB2_3158
; %bb.3157:                             ;   in Loop: Header=BB2_2849 Depth=2
	v_and_b32_e32 v2, 7, v30
	v_lshrrev_b32_e32 v14, 3, v10
	v_cmp_gt_u32_e32 vcc, 8, v10
	v_ffbh_u32_e32 v10, v2
	v_min_u32_e32 v15, 32, v10
	v_subrev_u32_e32 v10, 28, v15
	v_lshlrev_b64 v[10:11], v10, v[30:31]
	v_sub_u32_e32 v11, 29, v15
	v_and_b32_e32 v10, 7, v10
	v_cndmask_b32_e32 v11, v14, v11, vcc
	v_cndmask_b32_e32 v2, v2, v10, vcc
	v_lshlrev_b32_e32 v10, 24, v30
	v_lshlrev_b32_e32 v2, 20, v2
	v_and_b32_e32 v10, 0x80000000, v10
	v_lshl_add_u32 v11, v11, 23, v56
	v_or3_b32 v2, v10, v11, v2
.LBB2_3158:                             ;   in Loop: Header=BB2_2849 Depth=2
	s_or_b64 exec, exec, s[34:35]
.LBB2_3159:                             ;   in Loop: Header=BB2_2849 Depth=2
	s_or_b64 exec, exec, s[24:25]
.LBB2_3160:                             ;   in Loop: Header=BB2_2849 Depth=2
	s_or_b64 exec, exec, s[30:31]
	v_cndmask_b32_e64 v0, v0, v59, s[22:23]
	v_cndmask_b32_e64 v0, v0, v62, s[20:21]
	;; [unrolled: 1-line block ×3, first 2 shown]
	v_max_f32_e32 v0, v0, v0
	v_max_f32_e32 v2, v2, v2
	v_min_f32_e32 v10, v2, v0
.LBB2_3161:                             ;   in Loop: Header=BB2_2849 Depth=2
	v_and_b32_e32 v34, 0x7f800000, v10
	v_cmp_ne_u64_e32 vcc, s[62:63], v[34:35]
                                        ; implicit-def: $vgpr30
	s_and_saveexec_b64 s[18:19], vcc
	s_xor_b64 s[20:21], exec, s[18:19]
	s_cbranch_execz .LBB2_3175
; %bb.3162:                             ;   in Loop: Header=BB2_2849 Depth=2
	v_and_b32_e32 v34, 0x7fffffff, v10
	v_cmp_gt_u64_e32 vcc, s[72:73], v[34:35]
	v_and_b32_sdwa v0, v10, s52 dst_sel:DWORD dst_unused:UNUSED_PAD src0_sel:BYTE_3 src1_sel:DWORD
                                        ; implicit-def: $vgpr30
	s_and_saveexec_b64 s[18:19], vcc
	s_xor_b64 s[22:23], exec, s[18:19]
	s_cbranch_execz .LBB2_3172
; %bb.3163:                             ;   in Loop: Header=BB2_2849 Depth=2
	v_mov_b32_e32 v30, 0
	v_cmp_ne_u32_e32 vcc, 0, v10
	s_and_saveexec_b64 s[24:25], vcc
	s_cbranch_execz .LBB2_3171
; %bb.3164:                             ;   in Loop: Header=BB2_2849 Depth=2
	v_bfe_u32 v18, v10, 23, 8
	v_cmp_gt_u32_e64 s[18:19], s53, v18
	v_sub_u32_e32 v2, 0x79, v18
	v_and_b32_e32 v11, 0x7fffff, v10
	v_cmp_eq_u32_e32 vcc, 0, v18
	v_cndmask_b32_e64 v2, 0, v2, s[18:19]
	v_or_b32_e32 v10, 0x800000, v11
	v_cndmask_b32_e32 v2, v2, v60, vcc
	v_cndmask_b32_e32 v34, v10, v11, vcc
	v_add_u32_e32 v10, 20, v2
	v_lshlrev_b64 v[10:11], v10, -1
	v_add_u32_e32 v14, 19, v2
	v_lshlrev_b64 v[14:15], v14, 1
	v_bfi_b32 v11, v11, 0, 0
	v_bfi_b32 v10, v10, 0, v34
	v_cmp_eq_u64_e64 s[18:19], v[10:11], v[14:15]
	v_lshrrev_b64 v[10:11], v2, v[34:35]
	v_mov_b32_e32 v15, v11
	v_mov_b32_e32 v14, v10
	s_and_saveexec_b64 s[30:31], s[18:19]
; %bb.3165:                             ;   in Loop: Header=BB2_2849 Depth=2
	v_bfe_u32 v11, v10, 20, 1
	v_add_co_u32_e64 v11, s[18:19], v10, v11
	v_add_co_u32_e64 v14, s[18:19], -1, v11
; %bb.3166:                             ;   in Loop: Header=BB2_2849 Depth=2
	s_or_b64 exec, exec, s[30:31]
	v_add_u32_e32 v11, 0xffffff81, v18
	v_cndmask_b32_e32 v11, v11, v61, vcc
	v_lshrrev_b32_e32 v15, 23, v10
	v_add3_u32 v18, v2, v11, v15
	v_add_u32_e32 v15, 6, v18
	v_and_b32_e32 v2, 0xfffff, v14
	v_add_u32_e32 v34, v2, v10
	v_cmp_ne_u32_e32 vcc, 0, v15
                                        ; implicit-def: $vgpr10_vgpr11
                                        ; implicit-def: $vgpr2
	s_and_saveexec_b64 s[18:19], vcc
	s_xor_b64 s[18:19], exec, s[18:19]
; %bb.3167:                             ;   in Loop: Header=BB2_2849 Depth=2
	v_cmp_lt_u64_e32 vcc, s[74:75], v[34:35]
	v_add_u32_e32 v2, 7, v18
	v_cndmask_b32_e64 v10, 0, 1, vcc
	v_cndmask_b32_e32 v2, v15, v2, vcc
	v_lshrrev_b64 v[10:11], v10, v[34:35]
; %bb.3168:                             ;   in Loop: Header=BB2_2849 Depth=2
	s_andn2_saveexec_b64 s[18:19], s[18:19]
; %bb.3169:                             ;   in Loop: Header=BB2_2849 Depth=2
	v_mov_b32_e32 v10, v34
	v_bfe_u32 v2, v34, 23, 1
	v_mov_b32_e32 v11, v35
; %bb.3170:                             ;   in Loop: Header=BB2_2849 Depth=2
	s_or_b64 exec, exec, s[18:19]
	v_lshrrev_b64 v[10:11], 20, v[10:11]
	v_cmp_gt_i32_e32 vcc, 16, v2
	v_cndmask_b32_e32 v11, 0, v11, vcc
	v_cndmask_b32_e32 v10, 7, v10, vcc
	v_cmp_eq_u32_e32 vcc, 0, v2
	v_min_i32_e32 v2, 15, v2
	v_cmp_eq_u64_e64 s[18:19], 0, v[10:11]
	v_lshlrev_b32_e32 v2, 3, v2
	v_and_b32_e32 v2, 0xf8, v2
	v_and_or_b32 v2, v10, 7, v2
	s_and_b64 s[18:19], vcc, s[18:19]
	v_cndmask_b32_e64 v2, v2, 0, s[18:19]
	v_or_b32_e32 v30, v2, v0
.LBB2_3171:                             ;   in Loop: Header=BB2_2849 Depth=2
	s_or_b64 exec, exec, s[24:25]
                                        ; implicit-def: $vgpr0
.LBB2_3172:                             ;   in Loop: Header=BB2_2849 Depth=2
	s_andn2_saveexec_b64 s[18:19], s[22:23]
; %bb.3173:                             ;   in Loop: Header=BB2_2849 Depth=2
	v_or_b32_e32 v30, 0x7e, v0
; %bb.3174:                             ;   in Loop: Header=BB2_2849 Depth=2
	s_or_b64 exec, exec, s[18:19]
                                        ; implicit-def: $vgpr10
.LBB2_3175:                             ;   in Loop: Header=BB2_2849 Depth=2
	s_andn2_saveexec_b64 s[18:19], s[20:21]
; %bb.3176:                             ;   in Loop: Header=BB2_2849 Depth=2
	v_or_b32_sdwa v30, v10, s49 dst_sel:DWORD dst_unused:UNUSED_PAD src0_sel:BYTE_3 src1_sel:DWORD
; %bb.3177:                             ;   in Loop: Header=BB2_2849 Depth=2
	s_or_b64 exec, exec, s[18:19]
	v_and_b32_e32 v0, 7, v16
	v_ffbh_u32_e32 v0, v0
	v_and_b32_e32 v2, 0x7f, v16
	v_min_u32_e32 v0, 32, v0
	v_cmp_eq_u32_e64 s[18:19], s49, v2
	v_cmp_gt_u32_e32 vcc, 8, v2
	v_subrev_u32_e32 v2, 28, v0
	v_bfe_u32 v10, v16, 3, 4
	v_sub_u32_e32 v0, 29, v0
	v_cndmask_b32_e32 v2, 0, v2, vcc
	v_cndmask_b32_e32 v0, v10, v0, vcc
	v_lshlrev_b64 v[10:11], v2, v[16:17]
	v_lshl_add_u32 v0, v0, 23, v56
	v_lshlrev_b32_e32 v2, 20, v10
	v_lshlrev_b32_e32 v10, 24, v16
	v_and_b32_e32 v2, 0x700000, v2
	v_and_b32_e32 v10, 0x80000000, v10
	v_or3_b32 v0, v10, v0, v2
	v_cmp_ne_u16_sdwa s[20:21], v12, v35 src0_sel:BYTE_0 src1_sel:DWORD
	s_mov_b64 s[22:23], -1
	s_and_b64 vcc, exec, s[94:95]
                                        ; implicit-def: $vgpr10
	s_cbranch_vccz .LBB2_3191
; %bb.3178:                             ;   in Loop: Header=BB2_2849 Depth=2
	v_mov_b32_e32 v10, 0
	s_and_saveexec_b64 s[22:23], s[20:21]
	s_cbranch_execz .LBB2_3184
; %bb.3179:                             ;   in Loop: Header=BB2_2849 Depth=2
	v_cmp_ne_u16_sdwa vcc, v12, s52 src0_sel:BYTE_0 src1_sel:DWORD
	v_bfrev_b32_e32 v10, 1
	s_and_saveexec_b64 s[24:25], vcc
	s_cbranch_execz .LBB2_3183
; %bb.3180:                             ;   in Loop: Header=BB2_2849 Depth=2
	v_and_b32_e32 v2, 0x7f, v12
	v_cmp_ne_u32_e32 vcc, s49, v2
	v_mov_b32_e32 v10, 0x7f800001
	s_and_saveexec_b64 s[30:31], vcc
	s_cbranch_execz .LBB2_3182
; %bb.3181:                             ;   in Loop: Header=BB2_2849 Depth=2
	v_and_b32_e32 v10, 7, v12
	v_lshrrev_b32_e32 v11, 3, v2
	v_cmp_gt_u32_e32 vcc, 8, v2
	v_ffbh_u32_e32 v2, v10
	v_min_u32_e32 v2, 32, v2
	v_subrev_u32_e32 v10, 28, v2
	v_sub_u32_e32 v2, 29, v2
	v_cndmask_b32_e32 v10, 0, v10, vcc
	v_cndmask_b32_e32 v2, v11, v2, vcc
	v_lshlrev_b64 v[10:11], v10, v[12:13]
	v_lshlrev_b32_e32 v11, 24, v12
	v_lshlrev_b32_e32 v10, 20, v10
	v_and_b32_e32 v10, 0x700000, v10
	v_and_b32_e32 v11, 0x80000000, v11
	v_lshl_add_u32 v2, v2, 23, v56
	v_or3_b32 v10, v11, v2, v10
.LBB2_3182:                             ;   in Loop: Header=BB2_2849 Depth=2
	s_or_b64 exec, exec, s[30:31]
.LBB2_3183:                             ;   in Loop: Header=BB2_2849 Depth=2
	s_or_b64 exec, exec, s[24:25]
.LBB2_3184:                             ;   in Loop: Header=BB2_2849 Depth=2
	s_or_b64 exec, exec, s[22:23]
	v_cmp_gt_i16_sdwa s[24:25], v16, s49 src0_sel:BYTE_0 src1_sel:DWORD
	s_mov_b64 s[22:23], 0
	s_and_saveexec_b64 vcc, s[24:25]
	s_xor_b64 s[24:25], exec, vcc
	s_cbranch_execz .LBB2_3529
; %bb.3185:                             ;   in Loop: Header=BB2_2849 Depth=2
	v_cmp_eq_u16_sdwa s[30:31], v16, s52 src0_sel:BYTE_0 src1_sel:DWORD
	s_mov_b64 s[22:23], -1
	s_and_saveexec_b64 vcc, s[30:31]
; %bb.3186:                             ;   in Loop: Header=BB2_2849 Depth=2
	s_xor_b64 s[22:23], exec, -1
; %bb.3187:                             ;   in Loop: Header=BB2_2849 Depth=2
	s_or_b64 exec, exec, vcc
	s_and_b64 s[22:23], s[22:23], exec
	s_or_saveexec_b64 s[24:25], s[24:25]
	v_bfrev_b32_e32 v2, 1
	s_xor_b64 exec, exec, s[24:25]
	s_cbranch_execnz .LBB2_3530
.LBB2_3188:                             ;   in Loop: Header=BB2_2849 Depth=2
	s_or_b64 exec, exec, s[24:25]
	s_and_saveexec_b64 s[24:25], s[22:23]
.LBB2_3189:                             ;   in Loop: Header=BB2_2849 Depth=2
	v_cndmask_b32_e64 v2, v0, v59, s[18:19]
.LBB2_3190:                             ;   in Loop: Header=BB2_2849 Depth=2
	s_or_b64 exec, exec, s[24:25]
	v_max_f32_e32 v2, v2, v2
	v_max_f32_e32 v10, v10, v10
	v_max_f32_e32 v10, v10, v2
	s_mov_b64 s[22:23], 0
.LBB2_3191:                             ;   in Loop: Header=BB2_2849 Depth=2
	s_and_b64 vcc, exec, s[22:23]
	s_cbranch_vccz .LBB2_3205
; %bb.3192:                             ;   in Loop: Header=BB2_2849 Depth=2
	v_mov_b32_e32 v10, 0
	s_and_saveexec_b64 s[22:23], s[20:21]
	s_cbranch_execz .LBB2_3198
; %bb.3193:                             ;   in Loop: Header=BB2_2849 Depth=2
	v_cmp_ne_u16_sdwa s[24:25], v12, s52 src0_sel:BYTE_0 src1_sel:DWORD
	v_bfrev_b32_e32 v10, 1
	s_and_saveexec_b64 s[20:21], s[24:25]
	s_cbranch_execz .LBB2_3197
; %bb.3194:                             ;   in Loop: Header=BB2_2849 Depth=2
	v_and_b32_e32 v2, 0x7f, v12
	v_cmp_ne_u32_e32 vcc, s49, v2
	v_mov_b32_e32 v10, 0x7f800001
	s_and_saveexec_b64 s[24:25], vcc
	s_cbranch_execz .LBB2_3196
; %bb.3195:                             ;   in Loop: Header=BB2_2849 Depth=2
	v_and_b32_e32 v10, 7, v12
	v_lshrrev_b32_e32 v11, 3, v2
	v_cmp_gt_u32_e32 vcc, 8, v2
	v_ffbh_u32_e32 v2, v10
	v_min_u32_e32 v2, 32, v2
	v_subrev_u32_e32 v10, 28, v2
	v_sub_u32_e32 v2, 29, v2
	v_cndmask_b32_e32 v10, 0, v10, vcc
	v_cndmask_b32_e32 v2, v11, v2, vcc
	v_lshlrev_b64 v[10:11], v10, v[12:13]
	v_lshlrev_b32_e32 v11, 24, v12
	v_lshlrev_b32_e32 v10, 20, v10
	v_and_b32_e32 v10, 0x700000, v10
	v_and_b32_e32 v11, 0x80000000, v11
	v_lshl_add_u32 v2, v2, 23, v56
	v_or3_b32 v10, v11, v2, v10
.LBB2_3196:                             ;   in Loop: Header=BB2_2849 Depth=2
	s_or_b64 exec, exec, s[24:25]
.LBB2_3197:                             ;   in Loop: Header=BB2_2849 Depth=2
	s_or_b64 exec, exec, s[20:21]
.LBB2_3198:                             ;   in Loop: Header=BB2_2849 Depth=2
	s_or_b64 exec, exec, s[22:23]
	v_cmp_gt_i16_sdwa s[22:23], v16, s49 src0_sel:BYTE_0 src1_sel:DWORD
	s_mov_b64 s[20:21], 0
	s_and_saveexec_b64 s[24:25], s[22:23]
	s_xor_b64 s[22:23], exec, s[24:25]
	s_cbranch_execz .LBB2_3531
; %bb.3199:                             ;   in Loop: Header=BB2_2849 Depth=2
	v_cmp_eq_u16_sdwa vcc, v16, s52 src0_sel:BYTE_0 src1_sel:DWORD
	s_mov_b64 s[20:21], -1
	s_and_saveexec_b64 s[24:25], vcc
; %bb.3200:                             ;   in Loop: Header=BB2_2849 Depth=2
	s_xor_b64 s[20:21], exec, -1
; %bb.3201:                             ;   in Loop: Header=BB2_2849 Depth=2
	s_or_b64 exec, exec, s[24:25]
	s_and_b64 s[20:21], s[20:21], exec
	s_or_saveexec_b64 s[22:23], s[22:23]
	v_bfrev_b32_e32 v2, 1
	s_xor_b64 exec, exec, s[22:23]
	s_cbranch_execnz .LBB2_3532
.LBB2_3202:                             ;   in Loop: Header=BB2_2849 Depth=2
	s_or_b64 exec, exec, s[22:23]
	s_and_saveexec_b64 s[22:23], s[20:21]
.LBB2_3203:                             ;   in Loop: Header=BB2_2849 Depth=2
	v_cndmask_b32_e64 v2, v0, v59, s[18:19]
.LBB2_3204:                             ;   in Loop: Header=BB2_2849 Depth=2
	s_or_b64 exec, exec, s[22:23]
	v_max_f32_e32 v0, v2, v2
	v_max_f32_e32 v2, v10, v10
	v_min_f32_e32 v10, v2, v0
.LBB2_3205:                             ;   in Loop: Header=BB2_2849 Depth=2
	v_and_b32_e32 v34, 0x7f800000, v10
	v_cmp_ne_u64_e32 vcc, s[62:63], v[34:35]
                                        ; implicit-def: $vgpr0
	s_and_saveexec_b64 s[18:19], vcc
	s_xor_b64 s[20:21], exec, s[18:19]
	s_cbranch_execz .LBB2_3219
; %bb.3206:                             ;   in Loop: Header=BB2_2849 Depth=2
	v_and_b32_e32 v34, 0x7fffffff, v10
	v_cmp_gt_u64_e32 vcc, s[72:73], v[34:35]
	v_and_b32_sdwa v18, v10, s52 dst_sel:DWORD dst_unused:UNUSED_PAD src0_sel:BYTE_3 src1_sel:DWORD
                                        ; implicit-def: $vgpr0
	s_and_saveexec_b64 s[18:19], vcc
	s_xor_b64 s[22:23], exec, s[18:19]
	s_cbranch_execz .LBB2_3216
; %bb.3207:                             ;   in Loop: Header=BB2_2849 Depth=2
	v_mov_b32_e32 v0, 0
	v_cmp_ne_u32_e32 vcc, 0, v10
	s_and_saveexec_b64 s[24:25], vcc
	s_cbranch_execz .LBB2_3215
; %bb.3208:                             ;   in Loop: Header=BB2_2849 Depth=2
	v_bfe_u32 v0, v10, 23, 8
	v_cmp_gt_u32_e64 s[18:19], s53, v0
	v_sub_u32_e32 v2, 0x79, v0
	v_and_b32_e32 v11, 0x7fffff, v10
	v_cmp_eq_u32_e32 vcc, 0, v0
	v_cndmask_b32_e64 v2, 0, v2, s[18:19]
	v_or_b32_e32 v10, 0x800000, v11
	v_cndmask_b32_e32 v2, v2, v60, vcc
	v_cndmask_b32_e32 v34, v10, v11, vcc
	v_add_u32_e32 v10, 20, v2
	v_lshlrev_b64 v[10:11], v10, -1
	v_add_u32_e32 v14, 19, v2
	v_lshlrev_b64 v[14:15], v14, 1
	v_bfi_b32 v11, v11, 0, 0
	v_bfi_b32 v10, v10, 0, v34
	v_cmp_eq_u64_e64 s[18:19], v[10:11], v[14:15]
	v_lshrrev_b64 v[10:11], v2, v[34:35]
	v_mov_b32_e32 v15, v11
	v_mov_b32_e32 v14, v10
	s_and_saveexec_b64 s[30:31], s[18:19]
; %bb.3209:                             ;   in Loop: Header=BB2_2849 Depth=2
	v_bfe_u32 v11, v10, 20, 1
	v_add_co_u32_e64 v11, s[18:19], v10, v11
	v_add_co_u32_e64 v14, s[18:19], -1, v11
; %bb.3210:                             ;   in Loop: Header=BB2_2849 Depth=2
	s_or_b64 exec, exec, s[30:31]
	v_add_u32_e32 v0, 0xffffff81, v0
	v_cndmask_b32_e32 v0, v0, v61, vcc
	v_lshrrev_b32_e32 v11, 23, v10
	v_add3_u32 v15, v2, v0, v11
	v_add_u32_e32 v2, 6, v15
	v_and_b32_e32 v0, 0xfffff, v14
	v_add_u32_e32 v34, v0, v10
	v_cmp_ne_u32_e32 vcc, 0, v2
                                        ; implicit-def: $vgpr10_vgpr11
                                        ; implicit-def: $vgpr0
	s_and_saveexec_b64 s[18:19], vcc
	s_xor_b64 s[18:19], exec, s[18:19]
; %bb.3211:                             ;   in Loop: Header=BB2_2849 Depth=2
	v_cmp_lt_u64_e32 vcc, s[74:75], v[34:35]
	v_add_u32_e32 v0, 7, v15
	v_cndmask_b32_e32 v0, v2, v0, vcc
	v_cndmask_b32_e64 v2, 0, 1, vcc
	v_lshrrev_b64 v[10:11], v2, v[34:35]
; %bb.3212:                             ;   in Loop: Header=BB2_2849 Depth=2
	s_andn2_saveexec_b64 s[18:19], s[18:19]
; %bb.3213:                             ;   in Loop: Header=BB2_2849 Depth=2
	v_mov_b32_e32 v10, v34
	v_bfe_u32 v0, v34, 23, 1
	v_mov_b32_e32 v11, v35
; %bb.3214:                             ;   in Loop: Header=BB2_2849 Depth=2
	s_or_b64 exec, exec, s[18:19]
	v_lshrrev_b64 v[10:11], 20, v[10:11]
	v_cmp_gt_i32_e32 vcc, 16, v0
	v_cndmask_b32_e32 v11, 0, v11, vcc
	v_cndmask_b32_e32 v10, 7, v10, vcc
	v_cmp_eq_u32_e32 vcc, 0, v0
	v_min_i32_e32 v0, 15, v0
	v_cmp_eq_u64_e64 s[18:19], 0, v[10:11]
	v_lshlrev_b32_e32 v0, 3, v0
	v_and_b32_e32 v0, 0xf8, v0
	v_and_or_b32 v0, v10, 7, v0
	s_and_b64 s[18:19], vcc, s[18:19]
	v_cndmask_b32_e64 v0, v0, 0, s[18:19]
	v_or_b32_e32 v0, v0, v18
.LBB2_3215:                             ;   in Loop: Header=BB2_2849 Depth=2
	s_or_b64 exec, exec, s[24:25]
                                        ; implicit-def: $vgpr18
.LBB2_3216:                             ;   in Loop: Header=BB2_2849 Depth=2
	s_andn2_saveexec_b64 s[18:19], s[22:23]
; %bb.3217:                             ;   in Loop: Header=BB2_2849 Depth=2
	v_or_b32_e32 v0, 0x7e, v18
; %bb.3218:                             ;   in Loop: Header=BB2_2849 Depth=2
	s_or_b64 exec, exec, s[18:19]
                                        ; implicit-def: $vgpr10
.LBB2_3219:                             ;   in Loop: Header=BB2_2849 Depth=2
	s_andn2_saveexec_b64 s[18:19], s[20:21]
; %bb.3220:                             ;   in Loop: Header=BB2_2849 Depth=2
	v_or_b32_sdwa v0, v10, s49 dst_sel:DWORD dst_unused:UNUSED_PAD src0_sel:BYTE_3 src1_sel:DWORD
; %bb.3221:                             ;   in Loop: Header=BB2_2849 Depth=2
	s_or_b64 exec, exec, s[18:19]
	v_lshrrev_b16_e32 v34, 8, v16
	v_and_b32_e32 v2, 7, v34
	v_and_b32_e32 v11, 0x7f, v34
	v_cmp_eq_u32_e64 s[18:19], s49, v11
	v_cmp_gt_u32_e32 vcc, 8, v11
	v_ffbh_u32_e32 v11, v2
	v_min_u32_e32 v11, 32, v11
	v_subrev_u32_e32 v14, 28, v11
	v_lshlrev_b64 v[14:15], v14, v[34:35]
	v_bfe_u32 v18, v34, 3, 4
	v_sub_u32_e32 v11, 29, v11
	v_and_b32_e32 v14, 7, v14
	v_cndmask_b32_e32 v11, v18, v11, vcc
	v_cndmask_b32_e32 v2, v2, v14, vcc
	v_lshlrev_b32_e32 v14, 24, v34
	v_lshrrev_b16_e32 v10, 8, v12
	v_lshlrev_b32_e32 v2, 20, v2
	v_and_b32_e32 v14, 0x80000000, v14
	v_lshl_add_u32 v11, v11, 23, v56
	v_or3_b32 v11, v14, v11, v2
	v_cmp_ne_u16_e64 s[20:21], 0, v10
	s_mov_b64 s[22:23], -1
	s_and_b64 vcc, exec, s[94:95]
                                        ; implicit-def: $vgpr14
	s_cbranch_vccz .LBB2_3235
; %bb.3222:                             ;   in Loop: Header=BB2_2849 Depth=2
	v_mov_b32_e32 v14, 0
	s_and_saveexec_b64 s[22:23], s[20:21]
	s_cbranch_execz .LBB2_3228
; %bb.3223:                             ;   in Loop: Header=BB2_2849 Depth=2
	v_cmp_ne_u16_e32 vcc, s52, v10
	v_bfrev_b32_e32 v14, 1
	s_and_saveexec_b64 s[24:25], vcc
	s_cbranch_execz .LBB2_3227
; %bb.3224:                             ;   in Loop: Header=BB2_2849 Depth=2
	v_and_b32_e32 v2, 0x7f, v10
	v_cmp_ne_u32_e32 vcc, s49, v2
	v_mov_b32_e32 v14, 0x7f800001
	s_and_saveexec_b64 s[30:31], vcc
	s_cbranch_execz .LBB2_3226
; %bb.3225:                             ;   in Loop: Header=BB2_2849 Depth=2
	v_and_b32_e32 v18, 7, v10
	v_lshrrev_b32_e32 v19, 3, v2
	v_cmp_gt_u32_e32 vcc, 8, v2
	v_ffbh_u32_e32 v2, v18
	v_min_u32_e32 v2, 32, v2
	v_subrev_u32_e32 v14, 28, v2
	v_lshlrev_b64 v[14:15], v14, v[10:11]
	v_sub_u32_e32 v2, 29, v2
	v_and_b32_e32 v14, 7, v14
	v_cndmask_b32_e32 v2, v19, v2, vcc
	v_cndmask_b32_e32 v14, v18, v14, vcc
	v_lshlrev_b32_e32 v15, 16, v12
	v_lshlrev_b32_e32 v14, 20, v14
	v_and_b32_e32 v15, 0x80000000, v15
	v_lshl_add_u32 v2, v2, 23, v56
	v_or3_b32 v14, v15, v2, v14
.LBB2_3226:                             ;   in Loop: Header=BB2_2849 Depth=2
	s_or_b64 exec, exec, s[30:31]
.LBB2_3227:                             ;   in Loop: Header=BB2_2849 Depth=2
	s_or_b64 exec, exec, s[24:25]
.LBB2_3228:                             ;   in Loop: Header=BB2_2849 Depth=2
	s_or_b64 exec, exec, s[22:23]
	v_cmp_lt_i16_e32 vcc, s49, v34
	s_mov_b64 s[22:23], 0
	s_and_saveexec_b64 s[24:25], vcc
	s_xor_b64 s[24:25], exec, s[24:25]
	s_cbranch_execz .LBB2_3533
; %bb.3229:                             ;   in Loop: Header=BB2_2849 Depth=2
	v_cmp_eq_u16_e32 vcc, s52, v34
	s_mov_b64 s[22:23], -1
	s_and_saveexec_b64 s[30:31], vcc
; %bb.3230:                             ;   in Loop: Header=BB2_2849 Depth=2
	s_xor_b64 s[22:23], exec, -1
; %bb.3231:                             ;   in Loop: Header=BB2_2849 Depth=2
	s_or_b64 exec, exec, s[30:31]
	s_and_b64 s[22:23], s[22:23], exec
	s_or_saveexec_b64 s[24:25], s[24:25]
	v_bfrev_b32_e32 v2, 1
	s_xor_b64 exec, exec, s[24:25]
	s_cbranch_execnz .LBB2_3534
.LBB2_3232:                             ;   in Loop: Header=BB2_2849 Depth=2
	s_or_b64 exec, exec, s[24:25]
	s_and_saveexec_b64 s[24:25], s[22:23]
.LBB2_3233:                             ;   in Loop: Header=BB2_2849 Depth=2
	v_cndmask_b32_e64 v2, v11, v59, s[18:19]
.LBB2_3234:                             ;   in Loop: Header=BB2_2849 Depth=2
	s_or_b64 exec, exec, s[24:25]
	v_max_f32_e32 v2, v2, v2
	v_max_f32_e32 v14, v14, v14
	v_max_f32_e32 v14, v14, v2
	s_mov_b64 s[22:23], 0
.LBB2_3235:                             ;   in Loop: Header=BB2_2849 Depth=2
	s_and_b64 vcc, exec, s[22:23]
	s_cbranch_vccz .LBB2_3249
; %bb.3236:                             ;   in Loop: Header=BB2_2849 Depth=2
	v_mov_b32_e32 v14, 0
	s_and_saveexec_b64 s[22:23], s[20:21]
	s_cbranch_execz .LBB2_3242
; %bb.3237:                             ;   in Loop: Header=BB2_2849 Depth=2
	v_cmp_ne_u16_e32 vcc, s52, v10
	v_bfrev_b32_e32 v14, 1
	s_and_saveexec_b64 s[20:21], vcc
	s_cbranch_execz .LBB2_3241
; %bb.3238:                             ;   in Loop: Header=BB2_2849 Depth=2
	v_and_b32_e32 v2, 0x7f, v10
	v_cmp_ne_u32_e32 vcc, s49, v2
	v_mov_b32_e32 v14, 0x7f800001
	s_and_saveexec_b64 s[24:25], vcc
	s_cbranch_execz .LBB2_3240
; %bb.3239:                             ;   in Loop: Header=BB2_2849 Depth=2
	v_and_b32_e32 v18, 7, v10
	v_lshrrev_b32_e32 v19, 3, v2
	v_cmp_gt_u32_e32 vcc, 8, v2
	v_ffbh_u32_e32 v2, v18
	v_min_u32_e32 v2, 32, v2
	v_subrev_u32_e32 v14, 28, v2
	v_lshlrev_b64 v[14:15], v14, v[10:11]
	v_sub_u32_e32 v2, 29, v2
	v_and_b32_e32 v10, 7, v14
	v_cndmask_b32_e32 v2, v19, v2, vcc
	v_cndmask_b32_e32 v10, v18, v10, vcc
	v_lshlrev_b32_e32 v14, 16, v12
	v_lshlrev_b32_e32 v10, 20, v10
	v_and_b32_e32 v14, 0x80000000, v14
	v_lshl_add_u32 v2, v2, 23, v56
	v_or3_b32 v14, v14, v2, v10
.LBB2_3240:                             ;   in Loop: Header=BB2_2849 Depth=2
	s_or_b64 exec, exec, s[24:25]
.LBB2_3241:                             ;   in Loop: Header=BB2_2849 Depth=2
	s_or_b64 exec, exec, s[20:21]
.LBB2_3242:                             ;   in Loop: Header=BB2_2849 Depth=2
	s_or_b64 exec, exec, s[22:23]
	v_cmp_lt_i16_e32 vcc, s49, v34
	s_mov_b64 s[20:21], 0
	s_and_saveexec_b64 s[22:23], vcc
	s_xor_b64 s[22:23], exec, s[22:23]
	s_cbranch_execz .LBB2_3535
; %bb.3243:                             ;   in Loop: Header=BB2_2849 Depth=2
	v_cmp_eq_u16_e32 vcc, s52, v34
	s_mov_b64 s[20:21], -1
	s_and_saveexec_b64 s[24:25], vcc
; %bb.3244:                             ;   in Loop: Header=BB2_2849 Depth=2
	s_xor_b64 s[20:21], exec, -1
; %bb.3245:                             ;   in Loop: Header=BB2_2849 Depth=2
	s_or_b64 exec, exec, s[24:25]
	s_and_b64 s[20:21], s[20:21], exec
	s_or_saveexec_b64 s[22:23], s[22:23]
	v_bfrev_b32_e32 v2, 1
	s_xor_b64 exec, exec, s[22:23]
	s_cbranch_execnz .LBB2_3536
.LBB2_3246:                             ;   in Loop: Header=BB2_2849 Depth=2
	s_or_b64 exec, exec, s[22:23]
	s_and_saveexec_b64 s[22:23], s[20:21]
.LBB2_3247:                             ;   in Loop: Header=BB2_2849 Depth=2
	v_cndmask_b32_e64 v2, v11, v59, s[18:19]
.LBB2_3248:                             ;   in Loop: Header=BB2_2849 Depth=2
	s_or_b64 exec, exec, s[22:23]
	v_max_f32_e32 v2, v2, v2
	v_max_f32_e32 v10, v14, v14
	v_min_f32_e32 v14, v10, v2
.LBB2_3249:                             ;   in Loop: Header=BB2_2849 Depth=2
	v_and_b32_e32 v34, 0x7f800000, v14
	v_cmp_ne_u64_e32 vcc, s[62:63], v[34:35]
                                        ; implicit-def: $vgpr18
	s_and_saveexec_b64 s[18:19], vcc
	s_xor_b64 s[20:21], exec, s[18:19]
	s_cbranch_execz .LBB2_3263
; %bb.3250:                             ;   in Loop: Header=BB2_2849 Depth=2
	v_and_b32_e32 v34, 0x7fffffff, v14
	v_cmp_gt_u64_e32 vcc, s[72:73], v[34:35]
	v_and_b32_sdwa v19, v14, s52 dst_sel:DWORD dst_unused:UNUSED_PAD src0_sel:BYTE_3 src1_sel:DWORD
                                        ; implicit-def: $vgpr18
	s_and_saveexec_b64 s[18:19], vcc
	s_xor_b64 s[22:23], exec, s[18:19]
	s_cbranch_execz .LBB2_3260
; %bb.3251:                             ;   in Loop: Header=BB2_2849 Depth=2
	v_mov_b32_e32 v18, 0
	v_cmp_ne_u32_e32 vcc, 0, v14
	s_and_saveexec_b64 s[24:25], vcc
	s_cbranch_execz .LBB2_3259
; %bb.3252:                             ;   in Loop: Header=BB2_2849 Depth=2
	v_bfe_u32 v18, v14, 23, 8
	v_cmp_gt_u32_e64 s[18:19], s53, v18
	v_sub_u32_e32 v2, 0x79, v18
	v_and_b32_e32 v10, 0x7fffff, v14
	v_cmp_eq_u32_e32 vcc, 0, v18
	v_cndmask_b32_e64 v2, 0, v2, s[18:19]
	v_or_b32_e32 v11, 0x800000, v10
	v_cndmask_b32_e32 v2, v2, v60, vcc
	v_cndmask_b32_e32 v34, v11, v10, vcc
	v_add_u32_e32 v10, 20, v2
	v_lshlrev_b64 v[10:11], v10, -1
	v_add_u32_e32 v14, 19, v2
	v_lshlrev_b64 v[14:15], v14, 1
	v_bfi_b32 v11, v11, 0, 0
	v_bfi_b32 v10, v10, 0, v34
	v_cmp_eq_u64_e64 s[18:19], v[10:11], v[14:15]
	v_lshrrev_b64 v[10:11], v2, v[34:35]
	v_mov_b32_e32 v15, v11
	v_mov_b32_e32 v14, v10
	s_and_saveexec_b64 s[30:31], s[18:19]
; %bb.3253:                             ;   in Loop: Header=BB2_2849 Depth=2
	v_bfe_u32 v11, v10, 20, 1
	v_add_co_u32_e64 v11, s[18:19], v10, v11
	v_add_co_u32_e64 v14, s[18:19], -1, v11
; %bb.3254:                             ;   in Loop: Header=BB2_2849 Depth=2
	s_or_b64 exec, exec, s[30:31]
	v_add_u32_e32 v11, 0xffffff81, v18
	v_cndmask_b32_e32 v11, v11, v61, vcc
	v_lshrrev_b32_e32 v15, 23, v10
	v_add3_u32 v18, v2, v11, v15
	v_add_u32_e32 v15, 6, v18
	v_and_b32_e32 v2, 0xfffff, v14
	v_add_u32_e32 v34, v2, v10
	v_cmp_ne_u32_e32 vcc, 0, v15
                                        ; implicit-def: $vgpr10_vgpr11
                                        ; implicit-def: $vgpr2
	s_and_saveexec_b64 s[18:19], vcc
	s_xor_b64 s[18:19], exec, s[18:19]
; %bb.3255:                             ;   in Loop: Header=BB2_2849 Depth=2
	v_cmp_lt_u64_e32 vcc, s[74:75], v[34:35]
	v_add_u32_e32 v2, 7, v18
	v_cndmask_b32_e64 v10, 0, 1, vcc
	v_cndmask_b32_e32 v2, v15, v2, vcc
	v_lshrrev_b64 v[10:11], v10, v[34:35]
; %bb.3256:                             ;   in Loop: Header=BB2_2849 Depth=2
	s_andn2_saveexec_b64 s[18:19], s[18:19]
; %bb.3257:                             ;   in Loop: Header=BB2_2849 Depth=2
	v_mov_b32_e32 v10, v34
	v_bfe_u32 v2, v34, 23, 1
	v_mov_b32_e32 v11, v35
; %bb.3258:                             ;   in Loop: Header=BB2_2849 Depth=2
	s_or_b64 exec, exec, s[18:19]
	v_lshrrev_b64 v[10:11], 20, v[10:11]
	v_cmp_gt_i32_e32 vcc, 16, v2
	v_cndmask_b32_e32 v11, 0, v11, vcc
	v_cndmask_b32_e32 v10, 7, v10, vcc
	v_cmp_eq_u32_e32 vcc, 0, v2
	v_min_i32_e32 v2, 15, v2
	v_cmp_eq_u64_e64 s[18:19], 0, v[10:11]
	v_lshlrev_b32_e32 v2, 3, v2
	v_and_b32_e32 v2, 0xf8, v2
	v_and_or_b32 v2, v10, 7, v2
	s_and_b64 s[18:19], vcc, s[18:19]
	v_cndmask_b32_e64 v2, v2, 0, s[18:19]
	v_or_b32_e32 v18, v2, v19
.LBB2_3259:                             ;   in Loop: Header=BB2_2849 Depth=2
	s_or_b64 exec, exec, s[24:25]
                                        ; implicit-def: $vgpr19
.LBB2_3260:                             ;   in Loop: Header=BB2_2849 Depth=2
	s_andn2_saveexec_b64 s[18:19], s[22:23]
; %bb.3261:                             ;   in Loop: Header=BB2_2849 Depth=2
	v_or_b32_e32 v18, 0x7e, v19
; %bb.3262:                             ;   in Loop: Header=BB2_2849 Depth=2
	s_or_b64 exec, exec, s[18:19]
                                        ; implicit-def: $vgpr14
.LBB2_3263:                             ;   in Loop: Header=BB2_2849 Depth=2
	s_andn2_saveexec_b64 s[18:19], s[20:21]
; %bb.3264:                             ;   in Loop: Header=BB2_2849 Depth=2
	v_or_b32_sdwa v18, v14, s49 dst_sel:DWORD dst_unused:UNUSED_PAD src0_sel:BYTE_3 src1_sel:DWORD
; %bb.3265:                             ;   in Loop: Header=BB2_2849 Depth=2
	s_or_b64 exec, exec, s[18:19]
	v_bfe_u32 v2, v16, 16, 3
	v_bfe_u32 v11, v16, 16, 7
	v_cmp_eq_u32_e64 s[18:19], s49, v11
	v_cmp_gt_u32_e32 vcc, 8, v11
	v_ffbh_u32_e32 v11, v2
	v_min_u32_e32 v11, 32, v11
	v_lshrrev_b32_e32 v10, 16, v16
	v_subrev_u32_e32 v14, 28, v11
	v_lshlrev_b64 v[14:15], v14, v[10:11]
	v_bfe_u32 v19, v10, 3, 4
	v_sub_u32_e32 v11, 29, v11
	v_and_b32_e32 v14, 7, v14
	v_cndmask_b32_e32 v11, v19, v11, vcc
	v_cndmask_b32_e32 v2, v2, v14, vcc
	v_lshlrev_b32_e32 v14, 8, v16
	v_lshlrev_b32_e32 v2, 20, v2
	v_and_b32_e32 v14, 0x80000000, v14
	v_lshl_add_u32 v11, v11, 23, v56
	v_or3_b32 v14, v14, v11, v2
	v_lshrrev_b32_e32 v11, 16, v12
	v_cmp_ne_u16_sdwa s[20:21], v11, v35 src0_sel:BYTE_0 src1_sel:DWORD
	s_mov_b64 s[22:23], -1
	s_and_b64 vcc, exec, s[94:95]
                                        ; implicit-def: $vgpr15
	s_cbranch_vccz .LBB2_3279
; %bb.3266:                             ;   in Loop: Header=BB2_2849 Depth=2
	v_mov_b32_e32 v15, 0
	s_and_saveexec_b64 s[22:23], s[20:21]
	s_cbranch_execz .LBB2_3272
; %bb.3267:                             ;   in Loop: Header=BB2_2849 Depth=2
	v_cmp_ne_u16_sdwa vcc, v11, s52 src0_sel:BYTE_0 src1_sel:DWORD
	v_bfrev_b32_e32 v15, 1
	s_and_saveexec_b64 s[24:25], vcc
	s_cbranch_execz .LBB2_3271
; %bb.3268:                             ;   in Loop: Header=BB2_2849 Depth=2
	v_bfe_u32 v2, v12, 16, 7
	v_cmp_ne_u32_e32 vcc, s49, v2
	v_mov_b32_e32 v15, 0x7f800001
	s_and_saveexec_b64 s[30:31], vcc
	s_cbranch_execz .LBB2_3270
; %bb.3269:                             ;   in Loop: Header=BB2_2849 Depth=2
	v_and_b32_e32 v15, 7, v11
	v_lshrrev_b32_e32 v19, 3, v2
	v_cmp_gt_u32_e32 vcc, 8, v2
	v_ffbh_u32_e32 v2, v15
	v_min_u32_e32 v2, 32, v2
	v_subrev_u32_e32 v24, 28, v2
	v_lshlrev_b64 v[24:25], v24, v[11:12]
	v_sub_u32_e32 v2, 29, v2
	v_and_b32_e32 v24, 7, v24
	v_cndmask_b32_e32 v2, v19, v2, vcc
	v_cndmask_b32_e32 v15, v15, v24, vcc
	v_lshlrev_b32_e32 v19, 24, v11
	v_lshlrev_b32_e32 v15, 20, v15
	v_and_b32_e32 v19, 0x80000000, v19
	v_lshl_add_u32 v2, v2, 23, v56
	v_or3_b32 v15, v19, v2, v15
.LBB2_3270:                             ;   in Loop: Header=BB2_2849 Depth=2
	s_or_b64 exec, exec, s[30:31]
.LBB2_3271:                             ;   in Loop: Header=BB2_2849 Depth=2
	s_or_b64 exec, exec, s[24:25]
.LBB2_3272:                             ;   in Loop: Header=BB2_2849 Depth=2
	s_or_b64 exec, exec, s[22:23]
	v_cmp_gt_i16_sdwa s[24:25], v10, s49 src0_sel:BYTE_0 src1_sel:DWORD
	s_mov_b64 s[22:23], 0
	s_and_saveexec_b64 vcc, s[24:25]
	s_xor_b64 s[24:25], exec, vcc
	s_cbranch_execz .LBB2_3537
; %bb.3273:                             ;   in Loop: Header=BB2_2849 Depth=2
	v_cmp_eq_u16_sdwa s[30:31], v10, s52 src0_sel:BYTE_0 src1_sel:DWORD
	s_mov_b64 s[22:23], -1
	s_and_saveexec_b64 vcc, s[30:31]
; %bb.3274:                             ;   in Loop: Header=BB2_2849 Depth=2
	s_xor_b64 s[22:23], exec, -1
; %bb.3275:                             ;   in Loop: Header=BB2_2849 Depth=2
	s_or_b64 exec, exec, vcc
	s_and_b64 s[22:23], s[22:23], exec
	s_or_saveexec_b64 s[24:25], s[24:25]
	v_bfrev_b32_e32 v2, 1
	s_xor_b64 exec, exec, s[24:25]
	s_cbranch_execnz .LBB2_3538
.LBB2_3276:                             ;   in Loop: Header=BB2_2849 Depth=2
	s_or_b64 exec, exec, s[24:25]
	s_and_saveexec_b64 s[24:25], s[22:23]
.LBB2_3277:                             ;   in Loop: Header=BB2_2849 Depth=2
	v_cndmask_b32_e64 v2, v14, v59, s[18:19]
.LBB2_3278:                             ;   in Loop: Header=BB2_2849 Depth=2
	s_or_b64 exec, exec, s[24:25]
	v_max_f32_e32 v2, v2, v2
	v_max_f32_e32 v15, v15, v15
	;; [unrolled: 1-line block ×3, first 2 shown]
	s_mov_b64 s[22:23], 0
.LBB2_3279:                             ;   in Loop: Header=BB2_2849 Depth=2
	s_and_b64 vcc, exec, s[22:23]
	s_cbranch_vccz .LBB2_3293
; %bb.3280:                             ;   in Loop: Header=BB2_2849 Depth=2
	v_mov_b32_e32 v15, 0
	s_and_saveexec_b64 s[22:23], s[20:21]
	s_cbranch_execz .LBB2_3286
; %bb.3281:                             ;   in Loop: Header=BB2_2849 Depth=2
	v_cmp_ne_u16_sdwa s[24:25], v11, s52 src0_sel:BYTE_0 src1_sel:DWORD
	v_bfrev_b32_e32 v15, 1
	s_and_saveexec_b64 s[20:21], s[24:25]
	s_cbranch_execz .LBB2_3285
; %bb.3282:                             ;   in Loop: Header=BB2_2849 Depth=2
	v_bfe_u32 v2, v12, 16, 7
	v_cmp_ne_u32_e32 vcc, s49, v2
	v_mov_b32_e32 v15, 0x7f800001
	s_and_saveexec_b64 s[24:25], vcc
	s_cbranch_execz .LBB2_3284
; %bb.3283:                             ;   in Loop: Header=BB2_2849 Depth=2
	v_and_b32_e32 v15, 7, v11
	v_lshrrev_b32_e32 v19, 3, v2
	v_cmp_gt_u32_e32 vcc, 8, v2
	v_ffbh_u32_e32 v2, v15
	v_min_u32_e32 v2, 32, v2
	v_subrev_u32_e32 v24, 28, v2
	v_lshlrev_b64 v[24:25], v24, v[11:12]
	v_sub_u32_e32 v2, 29, v2
	v_and_b32_e32 v24, 7, v24
	v_cndmask_b32_e32 v2, v19, v2, vcc
	v_cndmask_b32_e32 v15, v15, v24, vcc
	v_lshlrev_b32_e32 v11, 24, v11
	v_lshlrev_b32_e32 v15, 20, v15
	v_and_b32_e32 v11, 0x80000000, v11
	v_lshl_add_u32 v2, v2, 23, v56
	v_or3_b32 v15, v11, v2, v15
.LBB2_3284:                             ;   in Loop: Header=BB2_2849 Depth=2
	s_or_b64 exec, exec, s[24:25]
.LBB2_3285:                             ;   in Loop: Header=BB2_2849 Depth=2
	s_or_b64 exec, exec, s[20:21]
.LBB2_3286:                             ;   in Loop: Header=BB2_2849 Depth=2
	s_or_b64 exec, exec, s[22:23]
	v_cmp_gt_i16_sdwa s[22:23], v10, s49 src0_sel:BYTE_0 src1_sel:DWORD
	s_mov_b64 s[20:21], 0
	s_and_saveexec_b64 s[24:25], s[22:23]
	s_xor_b64 s[22:23], exec, s[24:25]
	s_cbranch_execz .LBB2_3539
; %bb.3287:                             ;   in Loop: Header=BB2_2849 Depth=2
	v_cmp_eq_u16_sdwa vcc, v10, s52 src0_sel:BYTE_0 src1_sel:DWORD
	s_mov_b64 s[20:21], -1
	s_and_saveexec_b64 s[24:25], vcc
; %bb.3288:                             ;   in Loop: Header=BB2_2849 Depth=2
	s_xor_b64 s[20:21], exec, -1
; %bb.3289:                             ;   in Loop: Header=BB2_2849 Depth=2
	s_or_b64 exec, exec, s[24:25]
	s_and_b64 s[20:21], s[20:21], exec
                                        ; implicit-def: $vgpr10
	s_or_saveexec_b64 s[22:23], s[22:23]
	v_bfrev_b32_e32 v2, 1
	s_xor_b64 exec, exec, s[22:23]
	s_cbranch_execnz .LBB2_3540
.LBB2_3290:                             ;   in Loop: Header=BB2_2849 Depth=2
	s_or_b64 exec, exec, s[22:23]
	s_and_saveexec_b64 s[22:23], s[20:21]
.LBB2_3291:                             ;   in Loop: Header=BB2_2849 Depth=2
	v_cndmask_b32_e64 v2, v14, v59, s[18:19]
.LBB2_3292:                             ;   in Loop: Header=BB2_2849 Depth=2
	s_or_b64 exec, exec, s[22:23]
	v_max_f32_e32 v2, v2, v2
	v_max_f32_e32 v10, v15, v15
	v_min_f32_e32 v15, v10, v2
.LBB2_3293:                             ;   in Loop: Header=BB2_2849 Depth=2
	v_and_b32_e32 v34, 0x7f800000, v15
	v_cmp_ne_u64_e32 vcc, s[62:63], v[34:35]
                                        ; implicit-def: $vgpr19
	s_and_saveexec_b64 s[18:19], vcc
	s_xor_b64 s[20:21], exec, s[18:19]
	s_cbranch_execz .LBB2_3307
; %bb.3294:                             ;   in Loop: Header=BB2_2849 Depth=2
	v_and_b32_e32 v34, 0x7fffffff, v15
	v_cmp_gt_u64_e32 vcc, s[72:73], v[34:35]
	v_and_b32_sdwa v50, v15, s52 dst_sel:DWORD dst_unused:UNUSED_PAD src0_sel:BYTE_3 src1_sel:DWORD
                                        ; implicit-def: $vgpr19
	s_and_saveexec_b64 s[18:19], vcc
	s_xor_b64 s[22:23], exec, s[18:19]
	s_cbranch_execz .LBB2_3304
; %bb.3295:                             ;   in Loop: Header=BB2_2849 Depth=2
	v_mov_b32_e32 v19, 0
	v_cmp_ne_u32_e32 vcc, 0, v15
	s_and_saveexec_b64 s[24:25], vcc
	s_cbranch_execz .LBB2_3303
; %bb.3296:                             ;   in Loop: Header=BB2_2849 Depth=2
	v_bfe_u32 v19, v15, 23, 8
	v_cmp_gt_u32_e64 s[18:19], s53, v19
	v_sub_u32_e32 v2, 0x79, v19
	v_and_b32_e32 v10, 0x7fffff, v15
	v_cmp_eq_u32_e32 vcc, 0, v19
	v_cndmask_b32_e64 v2, 0, v2, s[18:19]
	v_or_b32_e32 v11, 0x800000, v10
	v_cndmask_b32_e32 v2, v2, v60, vcc
	v_cndmask_b32_e32 v34, v11, v10, vcc
	v_add_u32_e32 v10, 20, v2
	v_lshlrev_b64 v[10:11], v10, -1
	v_add_u32_e32 v14, 19, v2
	v_lshlrev_b64 v[14:15], v14, 1
	v_bfi_b32 v11, v11, 0, 0
	v_bfi_b32 v10, v10, 0, v34
	v_cmp_eq_u64_e64 s[18:19], v[10:11], v[14:15]
	v_lshrrev_b64 v[10:11], v2, v[34:35]
	v_mov_b32_e32 v15, v11
	v_mov_b32_e32 v14, v10
	s_and_saveexec_b64 s[30:31], s[18:19]
; %bb.3297:                             ;   in Loop: Header=BB2_2849 Depth=2
	v_bfe_u32 v11, v10, 20, 1
	v_add_co_u32_e64 v11, s[18:19], v10, v11
	v_add_co_u32_e64 v14, s[18:19], -1, v11
; %bb.3298:                             ;   in Loop: Header=BB2_2849 Depth=2
	s_or_b64 exec, exec, s[30:31]
	v_add_u32_e32 v11, 0xffffff81, v19
	v_cndmask_b32_e32 v11, v11, v61, vcc
	v_lshrrev_b32_e32 v15, 23, v10
	v_add3_u32 v19, v2, v11, v15
	v_add_u32_e32 v15, 6, v19
	v_and_b32_e32 v2, 0xfffff, v14
	v_add_u32_e32 v34, v2, v10
	v_cmp_ne_u32_e32 vcc, 0, v15
                                        ; implicit-def: $vgpr10_vgpr11
                                        ; implicit-def: $vgpr2
	s_and_saveexec_b64 s[18:19], vcc
	s_xor_b64 s[18:19], exec, s[18:19]
; %bb.3299:                             ;   in Loop: Header=BB2_2849 Depth=2
	v_cmp_lt_u64_e32 vcc, s[74:75], v[34:35]
	v_add_u32_e32 v2, 7, v19
	v_cndmask_b32_e64 v10, 0, 1, vcc
	v_cndmask_b32_e32 v2, v15, v2, vcc
	v_lshrrev_b64 v[10:11], v10, v[34:35]
; %bb.3300:                             ;   in Loop: Header=BB2_2849 Depth=2
	s_andn2_saveexec_b64 s[18:19], s[18:19]
; %bb.3301:                             ;   in Loop: Header=BB2_2849 Depth=2
	v_mov_b32_e32 v10, v34
	v_bfe_u32 v2, v34, 23, 1
	v_mov_b32_e32 v11, v35
; %bb.3302:                             ;   in Loop: Header=BB2_2849 Depth=2
	s_or_b64 exec, exec, s[18:19]
	v_lshrrev_b64 v[10:11], 20, v[10:11]
	v_cmp_gt_i32_e32 vcc, 16, v2
	v_cndmask_b32_e32 v11, 0, v11, vcc
	v_cndmask_b32_e32 v10, 7, v10, vcc
	v_cmp_eq_u32_e32 vcc, 0, v2
	v_min_i32_e32 v2, 15, v2
	v_cmp_eq_u64_e64 s[18:19], 0, v[10:11]
	v_lshlrev_b32_e32 v2, 3, v2
	v_and_b32_e32 v2, 0xf8, v2
	v_and_or_b32 v2, v10, 7, v2
	s_and_b64 s[18:19], vcc, s[18:19]
	v_cndmask_b32_e64 v2, v2, 0, s[18:19]
	v_or_b32_e32 v19, v2, v50
.LBB2_3303:                             ;   in Loop: Header=BB2_2849 Depth=2
	s_or_b64 exec, exec, s[24:25]
                                        ; implicit-def: $vgpr50
.LBB2_3304:                             ;   in Loop: Header=BB2_2849 Depth=2
	s_andn2_saveexec_b64 s[18:19], s[22:23]
; %bb.3305:                             ;   in Loop: Header=BB2_2849 Depth=2
	v_or_b32_e32 v19, 0x7e, v50
; %bb.3306:                             ;   in Loop: Header=BB2_2849 Depth=2
	s_or_b64 exec, exec, s[18:19]
                                        ; implicit-def: $vgpr15
.LBB2_3307:                             ;   in Loop: Header=BB2_2849 Depth=2
	s_andn2_saveexec_b64 s[18:19], s[20:21]
; %bb.3308:                             ;   in Loop: Header=BB2_2849 Depth=2
	v_or_b32_sdwa v19, v15, s49 dst_sel:DWORD dst_unused:UNUSED_PAD src0_sel:BYTE_3 src1_sel:DWORD
; %bb.3309:                             ;   in Loop: Header=BB2_2849 Depth=2
	s_or_b64 exec, exec, s[18:19]
	v_bfe_u32 v11, v16, 24, 3
	v_bfe_u32 v14, v16, 24, 7
	v_cmp_eq_u32_e64 s[22:23], s49, v14
	v_cmp_gt_u32_e32 vcc, 8, v14
	v_ffbh_u32_e32 v14, v11
	v_min_u32_e32 v25, 32, v14
	v_lshrrev_b32_e32 v2, 24, v16
	v_subrev_u32_e32 v14, 28, v25
	v_lshlrev_b64 v[14:15], v14, v[2:3]
	v_bfe_u32 v24, v2, 3, 4
	v_cmp_eq_u32_e64 s[20:21], s52, v2
	v_sub_u32_e32 v2, 29, v25
	v_and_b32_e32 v14, 7, v14
	v_cndmask_b32_e32 v2, v24, v2, vcc
	v_cndmask_b32_e32 v11, v11, v14, vcc
	v_lshlrev_b32_e32 v11, 20, v11
	v_and_b32_e32 v14, 0x80000000, v16
	v_lshl_add_u32 v2, v2, 23, v56
	v_lshrrev_b32_e32 v10, 24, v12
	v_cmp_gt_u32_e64 s[18:19], s57, v16
	v_or3_b32 v11, v14, v2, v11
	v_cmp_lt_u32_e64 s[24:25], s77, v12
	s_mov_b64 s[30:31], -1
	s_and_b64 vcc, exec, s[94:95]
                                        ; implicit-def: $vgpr14
	s_cbranch_vccz .LBB2_3317
; %bb.3310:                             ;   in Loop: Header=BB2_2849 Depth=2
	v_mov_b32_e32 v2, 0
	s_and_saveexec_b64 s[30:31], s[24:25]
	s_cbranch_execz .LBB2_3316
; %bb.3311:                             ;   in Loop: Header=BB2_2849 Depth=2
	v_cmp_ne_u32_e32 vcc, s52, v10
	v_bfrev_b32_e32 v2, 1
	s_and_saveexec_b64 s[34:35], vcc
	s_cbranch_execz .LBB2_3315
; %bb.3312:                             ;   in Loop: Header=BB2_2849 Depth=2
	v_bfe_u32 v14, v12, 24, 7
	v_cmp_ne_u32_e32 vcc, s49, v14
	v_mov_b32_e32 v2, 0x7f800001
	s_and_saveexec_b64 s[36:37], vcc
	s_cbranch_execz .LBB2_3314
; %bb.3313:                             ;   in Loop: Header=BB2_2849 Depth=2
	v_and_b32_e32 v2, 7, v10
	v_lshrrev_b32_e32 v24, 3, v14
	v_cmp_gt_u32_e32 vcc, 8, v14
	v_ffbh_u32_e32 v14, v2
	v_min_u32_e32 v25, 32, v14
	v_subrev_u32_e32 v14, 28, v25
	v_lshlrev_b64 v[14:15], v14, v[10:11]
	v_sub_u32_e32 v15, 29, v25
	v_and_b32_e32 v14, 7, v14
	v_cndmask_b32_e32 v15, v24, v15, vcc
	v_cndmask_b32_e32 v2, v2, v14, vcc
	v_lshlrev_b32_e32 v14, 24, v10
	v_lshlrev_b32_e32 v2, 20, v2
	v_and_b32_e32 v14, 0x80000000, v14
	v_lshl_add_u32 v15, v15, 23, v56
	v_or3_b32 v2, v14, v15, v2
.LBB2_3314:                             ;   in Loop: Header=BB2_2849 Depth=2
	s_or_b64 exec, exec, s[36:37]
.LBB2_3315:                             ;   in Loop: Header=BB2_2849 Depth=2
	s_or_b64 exec, exec, s[34:35]
.LBB2_3316:                             ;   in Loop: Header=BB2_2849 Depth=2
	s_or_b64 exec, exec, s[30:31]
	v_cndmask_b32_e64 v14, v11, v59, s[22:23]
	v_cndmask_b32_e64 v14, v14, v62, s[20:21]
	;; [unrolled: 1-line block ×3, first 2 shown]
	v_max_f32_e32 v14, v14, v14
	v_max_f32_e32 v2, v2, v2
	;; [unrolled: 1-line block ×3, first 2 shown]
	s_mov_b64 s[30:31], 0
.LBB2_3317:                             ;   in Loop: Header=BB2_2849 Depth=2
	s_and_b64 vcc, exec, s[30:31]
	s_cbranch_vccz .LBB2_3325
; %bb.3318:                             ;   in Loop: Header=BB2_2849 Depth=2
	v_mov_b32_e32 v2, 0
	s_and_saveexec_b64 s[30:31], s[24:25]
	s_cbranch_execz .LBB2_3324
; %bb.3319:                             ;   in Loop: Header=BB2_2849 Depth=2
	v_cmp_ne_u32_e32 vcc, s52, v10
	v_bfrev_b32_e32 v2, 1
	s_and_saveexec_b64 s[24:25], vcc
	s_cbranch_execz .LBB2_3323
; %bb.3320:                             ;   in Loop: Header=BB2_2849 Depth=2
	v_bfe_u32 v14, v12, 24, 7
	v_cmp_ne_u32_e32 vcc, s49, v14
	v_mov_b32_e32 v2, 0x7f800001
	s_and_saveexec_b64 s[34:35], vcc
	s_cbranch_execz .LBB2_3322
; %bb.3321:                             ;   in Loop: Header=BB2_2849 Depth=2
	v_and_b32_e32 v2, 7, v10
	v_lshrrev_b32_e32 v24, 3, v14
	v_cmp_gt_u32_e32 vcc, 8, v14
	v_ffbh_u32_e32 v14, v2
	v_min_u32_e32 v25, 32, v14
	v_subrev_u32_e32 v14, 28, v25
	v_lshlrev_b64 v[14:15], v14, v[10:11]
	v_sub_u32_e32 v15, 29, v25
	v_and_b32_e32 v14, 7, v14
	v_cndmask_b32_e32 v15, v24, v15, vcc
	v_cndmask_b32_e32 v2, v2, v14, vcc
	v_lshlrev_b32_e32 v10, 24, v10
	v_lshlrev_b32_e32 v2, 20, v2
	v_and_b32_e32 v10, 0x80000000, v10
	v_lshl_add_u32 v14, v15, 23, v56
	v_or3_b32 v2, v10, v14, v2
.LBB2_3322:                             ;   in Loop: Header=BB2_2849 Depth=2
	s_or_b64 exec, exec, s[34:35]
.LBB2_3323:                             ;   in Loop: Header=BB2_2849 Depth=2
	s_or_b64 exec, exec, s[24:25]
.LBB2_3324:                             ;   in Loop: Header=BB2_2849 Depth=2
	s_or_b64 exec, exec, s[30:31]
	v_cndmask_b32_e64 v10, v11, v59, s[22:23]
	v_cndmask_b32_e64 v10, v10, v62, s[20:21]
	;; [unrolled: 1-line block ×3, first 2 shown]
	v_max_f32_e32 v10, v10, v10
	v_max_f32_e32 v2, v2, v2
	v_min_f32_e32 v14, v2, v10
.LBB2_3325:                             ;   in Loop: Header=BB2_2849 Depth=2
	v_and_b32_e32 v34, 0x7f800000, v14
	v_cmp_ne_u64_e32 vcc, s[62:63], v[34:35]
                                        ; implicit-def: $vgpr46
	s_and_saveexec_b64 s[18:19], vcc
	s_xor_b64 s[20:21], exec, s[18:19]
	s_cbranch_execz .LBB2_3339
; %bb.3326:                             ;   in Loop: Header=BB2_2849 Depth=2
	v_and_b32_e32 v34, 0x7fffffff, v14
	v_cmp_gt_u64_e32 vcc, s[72:73], v[34:35]
	v_and_b32_sdwa v50, v14, s52 dst_sel:DWORD dst_unused:UNUSED_PAD src0_sel:BYTE_3 src1_sel:DWORD
                                        ; implicit-def: $vgpr46
	s_and_saveexec_b64 s[18:19], vcc
	s_xor_b64 s[22:23], exec, s[18:19]
	s_cbranch_execz .LBB2_3336
; %bb.3327:                             ;   in Loop: Header=BB2_2849 Depth=2
	v_mov_b32_e32 v46, 0
	v_cmp_ne_u32_e32 vcc, 0, v14
	s_and_saveexec_b64 s[24:25], vcc
	s_cbranch_execz .LBB2_3335
; %bb.3328:                             ;   in Loop: Header=BB2_2849 Depth=2
	v_bfe_u32 v51, v14, 23, 8
	v_cmp_gt_u32_e64 s[18:19], s53, v51
	v_sub_u32_e32 v2, 0x79, v51
	v_and_b32_e32 v10, 0x7fffff, v14
	v_cmp_eq_u32_e32 vcc, 0, v51
	v_cndmask_b32_e64 v2, 0, v2, s[18:19]
	v_or_b32_e32 v11, 0x800000, v10
	v_cndmask_b32_e32 v2, v2, v60, vcc
	v_cndmask_b32_e32 v34, v11, v10, vcc
	v_add_u32_e32 v10, 20, v2
	v_lshlrev_b64 v[10:11], v10, -1
	v_add_u32_e32 v14, 19, v2
	v_lshlrev_b64 v[14:15], v14, 1
	v_bfi_b32 v11, v11, 0, 0
	v_bfi_b32 v10, v10, 0, v34
	v_cmp_eq_u64_e64 s[18:19], v[10:11], v[14:15]
	v_lshrrev_b64 v[10:11], v2, v[34:35]
	v_mov_b32_e32 v15, v11
	v_mov_b32_e32 v14, v10
	s_and_saveexec_b64 s[30:31], s[18:19]
; %bb.3329:                             ;   in Loop: Header=BB2_2849 Depth=2
	v_bfe_u32 v11, v10, 20, 1
	v_add_co_u32_e64 v11, s[18:19], v10, v11
	v_add_co_u32_e64 v14, s[18:19], -1, v11
; %bb.3330:                             ;   in Loop: Header=BB2_2849 Depth=2
	s_or_b64 exec, exec, s[30:31]
	v_add_u32_e32 v11, 0xffffff81, v51
	v_cndmask_b32_e32 v11, v11, v61, vcc
	v_lshrrev_b32_e32 v15, 23, v10
	v_add3_u32 v51, v2, v11, v15
	v_add_u32_e32 v15, 6, v51
	v_and_b32_e32 v2, 0xfffff, v14
	v_add_u32_e32 v34, v2, v10
	v_cmp_ne_u32_e32 vcc, 0, v15
                                        ; implicit-def: $vgpr10_vgpr11
                                        ; implicit-def: $vgpr2
	s_and_saveexec_b64 s[18:19], vcc
	s_xor_b64 s[18:19], exec, s[18:19]
; %bb.3331:                             ;   in Loop: Header=BB2_2849 Depth=2
	v_cmp_lt_u64_e32 vcc, s[74:75], v[34:35]
	v_add_u32_e32 v2, 7, v51
	v_cndmask_b32_e64 v10, 0, 1, vcc
	v_cndmask_b32_e32 v2, v15, v2, vcc
	v_lshrrev_b64 v[10:11], v10, v[34:35]
; %bb.3332:                             ;   in Loop: Header=BB2_2849 Depth=2
	s_andn2_saveexec_b64 s[18:19], s[18:19]
; %bb.3333:                             ;   in Loop: Header=BB2_2849 Depth=2
	v_mov_b32_e32 v10, v34
	v_bfe_u32 v2, v34, 23, 1
	v_mov_b32_e32 v11, v35
; %bb.3334:                             ;   in Loop: Header=BB2_2849 Depth=2
	s_or_b64 exec, exec, s[18:19]
	v_lshrrev_b64 v[10:11], 20, v[10:11]
	v_cmp_gt_i32_e32 vcc, 16, v2
	v_cndmask_b32_e32 v11, 0, v11, vcc
	v_cndmask_b32_e32 v10, 7, v10, vcc
	v_cmp_eq_u32_e32 vcc, 0, v2
	v_min_i32_e32 v2, 15, v2
	v_cmp_eq_u64_e64 s[18:19], 0, v[10:11]
	v_lshlrev_b32_e32 v2, 3, v2
	v_and_b32_e32 v2, 0xf8, v2
	v_and_or_b32 v2, v10, 7, v2
	s_and_b64 s[18:19], vcc, s[18:19]
	v_cndmask_b32_e64 v2, v2, 0, s[18:19]
	v_or_b32_e32 v46, v2, v50
.LBB2_3335:                             ;   in Loop: Header=BB2_2849 Depth=2
	s_or_b64 exec, exec, s[24:25]
                                        ; implicit-def: $vgpr50
.LBB2_3336:                             ;   in Loop: Header=BB2_2849 Depth=2
	s_andn2_saveexec_b64 s[18:19], s[22:23]
; %bb.3337:                             ;   in Loop: Header=BB2_2849 Depth=2
	v_or_b32_e32 v46, 0x7e, v50
; %bb.3338:                             ;   in Loop: Header=BB2_2849 Depth=2
	s_or_b64 exec, exec, s[18:19]
                                        ; implicit-def: $vgpr14
.LBB2_3339:                             ;   in Loop: Header=BB2_2849 Depth=2
	s_andn2_saveexec_b64 s[18:19], s[20:21]
; %bb.3340:                             ;   in Loop: Header=BB2_2849 Depth=2
	v_or_b32_sdwa v46, v14, s49 dst_sel:DWORD dst_unused:UNUSED_PAD src0_sel:BYTE_3 src1_sel:DWORD
; %bb.3341:                             ;   in Loop: Header=BB2_2849 Depth=2
	s_or_b64 exec, exec, s[18:19]
	v_and_b32_e32 v2, 7, v17
	v_ffbh_u32_e32 v2, v2
	v_and_b32_e32 v14, 0x7f, v17
	v_min_u32_e32 v2, 32, v2
	v_cmp_eq_u32_e64 s[18:19], s49, v14
	v_cmp_gt_u32_e32 vcc, 8, v14
	v_subrev_u32_e32 v14, 28, v2
	v_mov_b32_e32 v10, v17
	v_mov_b32_e32 v11, v35
	v_bfe_u32 v15, v17, 3, 4
	v_sub_u32_e32 v2, 29, v2
	v_cndmask_b32_e32 v14, 0, v14, vcc
	v_cndmask_b32_e32 v2, v15, v2, vcc
	v_lshlrev_b64 v[14:15], v14, v[10:11]
	v_lshl_add_u32 v2, v2, 23, v56
	v_lshlrev_b32_e32 v11, 20, v14
	v_lshlrev_b32_e32 v14, 24, v17
	v_and_b32_e32 v11, 0x700000, v11
	v_and_b32_e32 v14, 0x80000000, v14
	v_mov_b32_e32 v34, v13
	v_or3_b32 v11, v14, v2, v11
	v_cmp_ne_u16_sdwa s[20:21], v13, v35 src0_sel:BYTE_0 src1_sel:DWORD
	s_mov_b64 s[22:23], -1
	s_and_b64 vcc, exec, s[94:95]
                                        ; implicit-def: $vgpr14
	s_cbranch_vccz .LBB2_3355
; %bb.3342:                             ;   in Loop: Header=BB2_2849 Depth=2
	v_mov_b32_e32 v14, 0
	s_and_saveexec_b64 s[22:23], s[20:21]
	s_cbranch_execz .LBB2_3348
; %bb.3343:                             ;   in Loop: Header=BB2_2849 Depth=2
	v_cmp_ne_u16_sdwa vcc, v13, s52 src0_sel:BYTE_0 src1_sel:DWORD
	v_bfrev_b32_e32 v14, 1
	s_and_saveexec_b64 s[24:25], vcc
	s_cbranch_execz .LBB2_3347
; %bb.3344:                             ;   in Loop: Header=BB2_2849 Depth=2
	v_and_b32_e32 v2, 0x7f, v13
	v_cmp_ne_u32_e32 vcc, s49, v2
	v_mov_b32_e32 v14, 0x7f800001
	s_and_saveexec_b64 s[30:31], vcc
	s_cbranch_execz .LBB2_3346
; %bb.3345:                             ;   in Loop: Header=BB2_2849 Depth=2
	v_and_b32_e32 v14, 7, v13
	v_lshrrev_b32_e32 v15, 3, v2
	v_cmp_gt_u32_e32 vcc, 8, v2
	v_ffbh_u32_e32 v2, v14
	v_min_u32_e32 v2, 32, v2
	v_subrev_u32_e32 v14, 28, v2
	v_sub_u32_e32 v2, 29, v2
	v_cndmask_b32_e32 v14, 0, v14, vcc
	v_cndmask_b32_e32 v2, v15, v2, vcc
	v_lshlrev_b64 v[14:15], v14, v[34:35]
	v_lshlrev_b32_e32 v15, 24, v34
	v_lshlrev_b32_e32 v14, 20, v14
	v_and_b32_e32 v14, 0x700000, v14
	v_and_b32_e32 v15, 0x80000000, v15
	v_lshl_add_u32 v2, v2, 23, v56
	v_or3_b32 v14, v15, v2, v14
.LBB2_3346:                             ;   in Loop: Header=BB2_2849 Depth=2
	s_or_b64 exec, exec, s[30:31]
.LBB2_3347:                             ;   in Loop: Header=BB2_2849 Depth=2
	s_or_b64 exec, exec, s[24:25]
.LBB2_3348:                             ;   in Loop: Header=BB2_2849 Depth=2
	s_or_b64 exec, exec, s[22:23]
	v_cmp_gt_i16_sdwa s[24:25], v17, s49 src0_sel:BYTE_0 src1_sel:DWORD
	s_mov_b64 s[22:23], 0
	s_and_saveexec_b64 vcc, s[24:25]
	s_xor_b64 s[24:25], exec, vcc
	s_cbranch_execz .LBB2_3541
; %bb.3349:                             ;   in Loop: Header=BB2_2849 Depth=2
	v_cmp_eq_u16_sdwa s[30:31], v17, s52 src0_sel:BYTE_0 src1_sel:DWORD
	s_mov_b64 s[22:23], -1
	s_and_saveexec_b64 vcc, s[30:31]
; %bb.3350:                             ;   in Loop: Header=BB2_2849 Depth=2
	s_xor_b64 s[22:23], exec, -1
; %bb.3351:                             ;   in Loop: Header=BB2_2849 Depth=2
	s_or_b64 exec, exec, vcc
	s_and_b64 s[22:23], s[22:23], exec
	s_or_saveexec_b64 s[24:25], s[24:25]
	v_bfrev_b32_e32 v2, 1
	s_xor_b64 exec, exec, s[24:25]
	s_cbranch_execnz .LBB2_3542
.LBB2_3352:                             ;   in Loop: Header=BB2_2849 Depth=2
	s_or_b64 exec, exec, s[24:25]
	s_and_saveexec_b64 s[24:25], s[22:23]
.LBB2_3353:                             ;   in Loop: Header=BB2_2849 Depth=2
	v_cndmask_b32_e64 v2, v11, v59, s[18:19]
.LBB2_3354:                             ;   in Loop: Header=BB2_2849 Depth=2
	s_or_b64 exec, exec, s[24:25]
	v_max_f32_e32 v2, v2, v2
	v_max_f32_e32 v14, v14, v14
	;; [unrolled: 1-line block ×3, first 2 shown]
	s_mov_b64 s[22:23], 0
.LBB2_3355:                             ;   in Loop: Header=BB2_2849 Depth=2
	s_and_b64 vcc, exec, s[22:23]
	s_cbranch_vccz .LBB2_3369
; %bb.3356:                             ;   in Loop: Header=BB2_2849 Depth=2
	v_mov_b32_e32 v14, 0
	s_and_saveexec_b64 s[22:23], s[20:21]
	s_cbranch_execz .LBB2_3362
; %bb.3357:                             ;   in Loop: Header=BB2_2849 Depth=2
	v_cmp_ne_u16_sdwa s[24:25], v13, s52 src0_sel:BYTE_0 src1_sel:DWORD
	v_bfrev_b32_e32 v14, 1
	s_and_saveexec_b64 s[20:21], s[24:25]
	s_cbranch_execz .LBB2_3361
; %bb.3358:                             ;   in Loop: Header=BB2_2849 Depth=2
	v_and_b32_e32 v2, 0x7f, v13
	v_cmp_ne_u32_e32 vcc, s49, v2
	v_mov_b32_e32 v14, 0x7f800001
	s_and_saveexec_b64 s[24:25], vcc
	s_cbranch_execz .LBB2_3360
; %bb.3359:                             ;   in Loop: Header=BB2_2849 Depth=2
	v_and_b32_e32 v14, 7, v13
	v_lshrrev_b32_e32 v15, 3, v2
	v_cmp_gt_u32_e32 vcc, 8, v2
	v_ffbh_u32_e32 v2, v14
	v_min_u32_e32 v2, 32, v2
	v_subrev_u32_e32 v14, 28, v2
	v_sub_u32_e32 v2, 29, v2
	v_cndmask_b32_e32 v14, 0, v14, vcc
	v_cndmask_b32_e32 v2, v15, v2, vcc
	v_lshlrev_b64 v[14:15], v14, v[34:35]
	v_lshlrev_b32_e32 v15, 24, v34
	v_lshlrev_b32_e32 v14, 20, v14
	v_and_b32_e32 v14, 0x700000, v14
	v_and_b32_e32 v15, 0x80000000, v15
	v_lshl_add_u32 v2, v2, 23, v56
	v_or3_b32 v14, v15, v2, v14
.LBB2_3360:                             ;   in Loop: Header=BB2_2849 Depth=2
	s_or_b64 exec, exec, s[24:25]
.LBB2_3361:                             ;   in Loop: Header=BB2_2849 Depth=2
	s_or_b64 exec, exec, s[20:21]
.LBB2_3362:                             ;   in Loop: Header=BB2_2849 Depth=2
	s_or_b64 exec, exec, s[22:23]
	v_cmp_gt_i16_sdwa s[22:23], v17, s49 src0_sel:BYTE_0 src1_sel:DWORD
	s_mov_b64 s[20:21], 0
	s_and_saveexec_b64 s[24:25], s[22:23]
	s_xor_b64 s[22:23], exec, s[24:25]
	s_cbranch_execz .LBB2_3543
; %bb.3363:                             ;   in Loop: Header=BB2_2849 Depth=2
	v_cmp_eq_u16_sdwa vcc, v17, s52 src0_sel:BYTE_0 src1_sel:DWORD
	s_mov_b64 s[20:21], -1
	s_and_saveexec_b64 s[24:25], vcc
; %bb.3364:                             ;   in Loop: Header=BB2_2849 Depth=2
	s_xor_b64 s[20:21], exec, -1
; %bb.3365:                             ;   in Loop: Header=BB2_2849 Depth=2
	s_or_b64 exec, exec, s[24:25]
	s_and_b64 s[20:21], s[20:21], exec
	s_or_saveexec_b64 s[22:23], s[22:23]
	v_bfrev_b32_e32 v2, 1
	s_xor_b64 exec, exec, s[22:23]
	s_cbranch_execnz .LBB2_3544
.LBB2_3366:                             ;   in Loop: Header=BB2_2849 Depth=2
	s_or_b64 exec, exec, s[22:23]
	s_and_saveexec_b64 s[22:23], s[20:21]
.LBB2_3367:                             ;   in Loop: Header=BB2_2849 Depth=2
	v_cndmask_b32_e64 v2, v11, v59, s[18:19]
.LBB2_3368:                             ;   in Loop: Header=BB2_2849 Depth=2
	s_or_b64 exec, exec, s[22:23]
	v_max_f32_e32 v2, v2, v2
	v_max_f32_e32 v11, v14, v14
	v_min_f32_e32 v14, v11, v2
.LBB2_3369:                             ;   in Loop: Header=BB2_2849 Depth=2
	v_and_b32_e32 v24, 0x7f800000, v14
	v_mov_b32_e32 v25, v35
	v_cmp_ne_u64_e32 vcc, s[62:63], v[24:25]
                                        ; implicit-def: $vgpr41
	s_and_saveexec_b64 s[18:19], vcc
	s_xor_b64 s[20:21], exec, s[18:19]
	s_cbranch_execz .LBB2_3383
; %bb.3370:                             ;   in Loop: Header=BB2_2849 Depth=2
	v_and_b32_e32 v24, 0x7fffffff, v14
	v_mov_b32_e32 v25, v35
	v_cmp_gt_u64_e32 vcc, s[72:73], v[24:25]
	v_and_b32_sdwa v11, v14, s52 dst_sel:DWORD dst_unused:UNUSED_PAD src0_sel:BYTE_3 src1_sel:DWORD
                                        ; implicit-def: $vgpr41
	s_and_saveexec_b64 s[18:19], vcc
	s_xor_b64 s[22:23], exec, s[18:19]
	s_cbranch_execz .LBB2_3380
; %bb.3371:                             ;   in Loop: Header=BB2_2849 Depth=2
	v_mov_b32_e32 v41, 0
	v_cmp_ne_u32_e32 vcc, 0, v14
	s_and_saveexec_b64 s[24:25], vcc
	s_cbranch_execz .LBB2_3379
; %bb.3372:                             ;   in Loop: Header=BB2_2849 Depth=2
	v_bfe_u32 v50, v14, 23, 8
	v_cmp_gt_u32_e64 s[18:19], s53, v50
	v_sub_u32_e32 v2, 0x79, v50
	v_cmp_eq_u32_e32 vcc, 0, v50
	v_cndmask_b32_e64 v2, 0, v2, s[18:19]
	v_cndmask_b32_e32 v2, v2, v60, vcc
	v_and_b32_e32 v15, 0x7fffff, v14
	v_add_u32_e32 v24, 20, v2
	v_or_b32_e32 v14, 0x800000, v15
	v_lshlrev_b64 v[24:25], v24, -1
	v_cndmask_b32_e32 v14, v14, v15, vcc
	v_mov_b32_e32 v15, v35
	v_add_u32_e32 v51, 19, v2
	v_bfi_b32 v24, v24, 0, v14
	v_lshlrev_b64 v[41:42], v51, 1
	v_lshrrev_b64 v[14:15], v2, v[14:15]
	v_bfi_b32 v25, v25, 0, 0
	v_cmp_eq_u64_e64 s[18:19], v[24:25], v[41:42]
	v_mov_b32_e32 v42, v15
	v_mov_b32_e32 v41, v14
	s_and_saveexec_b64 s[30:31], s[18:19]
; %bb.3373:                             ;   in Loop: Header=BB2_2849 Depth=2
	v_bfe_u32 v15, v14, 20, 1
	v_add_co_u32_e64 v15, s[18:19], v14, v15
	v_add_co_u32_e64 v41, s[18:19], -1, v15
; %bb.3374:                             ;   in Loop: Header=BB2_2849 Depth=2
	s_or_b64 exec, exec, s[30:31]
	v_add_u32_e32 v15, 0xffffff81, v50
	v_cndmask_b32_e32 v15, v15, v61, vcc
	v_lshrrev_b32_e32 v24, 23, v14
	v_add3_u32 v51, v2, v15, v24
	v_add_u32_e32 v50, 6, v51
	v_and_b32_e32 v2, 0xfffff, v41
	v_add_u32_e32 v14, v2, v14
	v_mov_b32_e32 v15, v35
	v_cmp_ne_u32_e32 vcc, 0, v50
                                        ; implicit-def: $vgpr2
	s_and_saveexec_b64 s[18:19], vcc
	s_xor_b64 s[18:19], exec, s[18:19]
; %bb.3375:                             ;   in Loop: Header=BB2_2849 Depth=2
	v_cmp_lt_u64_e32 vcc, s[74:75], v[14:15]
	v_add_u32_e32 v2, 7, v51
	v_cndmask_b32_e64 v24, 0, 1, vcc
	v_cndmask_b32_e32 v2, v50, v2, vcc
	v_lshrrev_b64 v[14:15], v24, v[14:15]
; %bb.3376:                             ;   in Loop: Header=BB2_2849 Depth=2
	s_andn2_saveexec_b64 s[18:19], s[18:19]
; %bb.3377:                             ;   in Loop: Header=BB2_2849 Depth=2
	v_bfe_u32 v2, v14, 23, 1
; %bb.3378:                             ;   in Loop: Header=BB2_2849 Depth=2
	s_or_b64 exec, exec, s[18:19]
	v_lshrrev_b64 v[14:15], 20, v[14:15]
	v_cmp_gt_i32_e32 vcc, 16, v2
	v_cndmask_b32_e32 v15, 0, v15, vcc
	v_cndmask_b32_e32 v14, 7, v14, vcc
	v_cmp_eq_u32_e32 vcc, 0, v2
	v_min_i32_e32 v2, 15, v2
	v_cmp_eq_u64_e64 s[18:19], 0, v[14:15]
	v_lshlrev_b32_e32 v2, 3, v2
	v_and_b32_e32 v2, 0xf8, v2
	v_and_or_b32 v2, v14, 7, v2
	s_and_b64 s[18:19], vcc, s[18:19]
	v_cndmask_b32_e64 v2, v2, 0, s[18:19]
	v_or_b32_e32 v41, v2, v11
.LBB2_3379:                             ;   in Loop: Header=BB2_2849 Depth=2
	s_or_b64 exec, exec, s[24:25]
                                        ; implicit-def: $vgpr11
.LBB2_3380:                             ;   in Loop: Header=BB2_2849 Depth=2
	s_andn2_saveexec_b64 s[18:19], s[22:23]
; %bb.3381:                             ;   in Loop: Header=BB2_2849 Depth=2
	v_or_b32_e32 v41, 0x7e, v11
; %bb.3382:                             ;   in Loop: Header=BB2_2849 Depth=2
	s_or_b64 exec, exec, s[18:19]
                                        ; implicit-def: $vgpr14
.LBB2_3383:                             ;   in Loop: Header=BB2_2849 Depth=2
	s_andn2_saveexec_b64 s[18:19], s[20:21]
; %bb.3384:                             ;   in Loop: Header=BB2_2849 Depth=2
	v_or_b32_sdwa v41, v14, s49 dst_sel:DWORD dst_unused:UNUSED_PAD src0_sel:BYTE_3 src1_sel:DWORD
; %bb.3385:                             ;   in Loop: Header=BB2_2849 Depth=2
	s_or_b64 exec, exec, s[18:19]
	v_lshrrev_b16_e32 v10, 8, v10
	v_and_b32_e32 v2, 7, v10
	v_and_b32_e32 v15, 0x7f, v10
	v_cmp_eq_u32_e64 s[18:19], s49, v15
	v_cmp_gt_u32_e32 vcc, 8, v15
	v_ffbh_u32_e32 v15, v2
	v_min_u32_e32 v15, 32, v15
	v_mov_b32_e32 v11, v35
	v_subrev_u32_e32 v24, 28, v15
	v_lshlrev_b64 v[24:25], v24, v[10:11]
	v_bfe_u32 v50, v10, 3, 4
	v_sub_u32_e32 v11, 29, v15
	v_and_b32_e32 v15, 7, v24
	v_cndmask_b32_e32 v11, v50, v11, vcc
	v_cndmask_b32_e32 v2, v2, v15, vcc
	v_lshlrev_b32_e32 v15, 24, v10
	v_lshrrev_b16_e32 v14, 8, v34
	v_lshlrev_b32_e32 v2, 20, v2
	v_and_b32_e32 v15, 0x80000000, v15
	v_lshl_add_u32 v11, v11, 23, v56
	v_or3_b32 v11, v15, v11, v2
	v_cmp_ne_u16_e64 s[20:21], 0, v14
	s_mov_b64 s[22:23], -1
	s_and_b64 vcc, exec, s[94:95]
                                        ; implicit-def: $vgpr15
	s_cbranch_vccz .LBB2_3399
; %bb.3386:                             ;   in Loop: Header=BB2_2849 Depth=2
	v_mov_b32_e32 v15, 0
	s_and_saveexec_b64 s[22:23], s[20:21]
	s_cbranch_execz .LBB2_3392
; %bb.3387:                             ;   in Loop: Header=BB2_2849 Depth=2
	v_cmp_ne_u16_e32 vcc, s52, v14
	v_bfrev_b32_e32 v15, 1
	s_and_saveexec_b64 s[24:25], vcc
	s_cbranch_execz .LBB2_3391
; %bb.3388:                             ;   in Loop: Header=BB2_2849 Depth=2
	v_and_b32_e32 v2, 0x7f, v14
	v_cmp_ne_u32_e32 vcc, s49, v2
	v_mov_b32_e32 v15, 0x7f800001
	s_and_saveexec_b64 s[30:31], vcc
	s_cbranch_execz .LBB2_3390
; %bb.3389:                             ;   in Loop: Header=BB2_2849 Depth=2
	v_and_b32_e32 v15, 7, v14
	v_lshrrev_b32_e32 v50, 3, v2
	v_cmp_gt_u32_e32 vcc, 8, v2
	v_ffbh_u32_e32 v2, v15
	v_min_u32_e32 v2, 32, v2
	v_subrev_u32_e32 v24, 28, v2
	v_lshlrev_b64 v[24:25], v24, v[14:15]
	v_sub_u32_e32 v2, 29, v2
	v_and_b32_e32 v24, 7, v24
	v_cndmask_b32_e32 v2, v50, v2, vcc
	v_cndmask_b32_e32 v15, v15, v24, vcc
	v_lshlrev_b32_e32 v24, 16, v34
	v_lshlrev_b32_e32 v15, 20, v15
	v_and_b32_e32 v24, 0x80000000, v24
	v_lshl_add_u32 v2, v2, 23, v56
	v_or3_b32 v15, v24, v2, v15
.LBB2_3390:                             ;   in Loop: Header=BB2_2849 Depth=2
	s_or_b64 exec, exec, s[30:31]
.LBB2_3391:                             ;   in Loop: Header=BB2_2849 Depth=2
	s_or_b64 exec, exec, s[24:25]
.LBB2_3392:                             ;   in Loop: Header=BB2_2849 Depth=2
	s_or_b64 exec, exec, s[22:23]
	v_cmp_lt_i16_e32 vcc, s49, v10
	s_mov_b64 s[22:23], 0
	s_and_saveexec_b64 s[24:25], vcc
	s_xor_b64 s[24:25], exec, s[24:25]
	s_cbranch_execz .LBB2_3545
; %bb.3393:                             ;   in Loop: Header=BB2_2849 Depth=2
	v_cmp_eq_u16_e32 vcc, s52, v10
	s_mov_b64 s[22:23], -1
	s_and_saveexec_b64 s[30:31], vcc
; %bb.3394:                             ;   in Loop: Header=BB2_2849 Depth=2
	s_xor_b64 s[22:23], exec, -1
; %bb.3395:                             ;   in Loop: Header=BB2_2849 Depth=2
	s_or_b64 exec, exec, s[30:31]
	s_and_b64 s[22:23], s[22:23], exec
	s_or_saveexec_b64 s[24:25], s[24:25]
	v_bfrev_b32_e32 v2, 1
	s_xor_b64 exec, exec, s[24:25]
	s_cbranch_execnz .LBB2_3546
.LBB2_3396:                             ;   in Loop: Header=BB2_2849 Depth=2
	s_or_b64 exec, exec, s[24:25]
	s_and_saveexec_b64 s[24:25], s[22:23]
.LBB2_3397:                             ;   in Loop: Header=BB2_2849 Depth=2
	v_cndmask_b32_e64 v2, v11, v59, s[18:19]
.LBB2_3398:                             ;   in Loop: Header=BB2_2849 Depth=2
	s_or_b64 exec, exec, s[24:25]
	v_max_f32_e32 v2, v2, v2
	v_max_f32_e32 v15, v15, v15
	;; [unrolled: 1-line block ×3, first 2 shown]
	s_mov_b64 s[22:23], 0
.LBB2_3399:                             ;   in Loop: Header=BB2_2849 Depth=2
	s_and_b64 vcc, exec, s[22:23]
	s_cbranch_vccz .LBB2_3413
; %bb.3400:                             ;   in Loop: Header=BB2_2849 Depth=2
	v_mov_b32_e32 v15, 0
	s_and_saveexec_b64 s[22:23], s[20:21]
	s_cbranch_execz .LBB2_3406
; %bb.3401:                             ;   in Loop: Header=BB2_2849 Depth=2
	v_cmp_ne_u16_e32 vcc, s52, v14
	v_bfrev_b32_e32 v15, 1
	s_and_saveexec_b64 s[20:21], vcc
	s_cbranch_execz .LBB2_3405
; %bb.3402:                             ;   in Loop: Header=BB2_2849 Depth=2
	v_and_b32_e32 v2, 0x7f, v14
	v_cmp_ne_u32_e32 vcc, s49, v2
	v_mov_b32_e32 v15, 0x7f800001
	s_and_saveexec_b64 s[24:25], vcc
	s_cbranch_execz .LBB2_3404
; %bb.3403:                             ;   in Loop: Header=BB2_2849 Depth=2
	v_and_b32_e32 v24, 7, v14
	v_lshrrev_b32_e32 v25, 3, v2
	v_cmp_gt_u32_e32 vcc, 8, v2
	v_ffbh_u32_e32 v2, v24
	v_min_u32_e32 v2, 32, v2
	v_subrev_u32_e32 v15, 28, v2
	v_lshlrev_b64 v[14:15], v15, v[14:15]
	v_sub_u32_e32 v2, 29, v2
	v_and_b32_e32 v14, 7, v14
	v_cndmask_b32_e32 v2, v25, v2, vcc
	v_cndmask_b32_e32 v14, v24, v14, vcc
	v_lshlrev_b32_e32 v15, 16, v34
	v_lshlrev_b32_e32 v14, 20, v14
	v_and_b32_e32 v15, 0x80000000, v15
	v_lshl_add_u32 v2, v2, 23, v56
	v_or3_b32 v15, v15, v2, v14
.LBB2_3404:                             ;   in Loop: Header=BB2_2849 Depth=2
	s_or_b64 exec, exec, s[24:25]
.LBB2_3405:                             ;   in Loop: Header=BB2_2849 Depth=2
	s_or_b64 exec, exec, s[20:21]
.LBB2_3406:                             ;   in Loop: Header=BB2_2849 Depth=2
	s_or_b64 exec, exec, s[22:23]
	v_cmp_lt_i16_e32 vcc, s49, v10
	s_mov_b64 s[20:21], 0
	s_and_saveexec_b64 s[22:23], vcc
	s_xor_b64 s[22:23], exec, s[22:23]
	s_cbranch_execz .LBB2_3547
; %bb.3407:                             ;   in Loop: Header=BB2_2849 Depth=2
	v_cmp_eq_u16_e32 vcc, s52, v10
	s_mov_b64 s[20:21], -1
	s_and_saveexec_b64 s[24:25], vcc
; %bb.3408:                             ;   in Loop: Header=BB2_2849 Depth=2
	s_xor_b64 s[20:21], exec, -1
; %bb.3409:                             ;   in Loop: Header=BB2_2849 Depth=2
	s_or_b64 exec, exec, s[24:25]
	s_and_b64 s[20:21], s[20:21], exec
                                        ; implicit-def: $vgpr10
	s_or_saveexec_b64 s[22:23], s[22:23]
	v_bfrev_b32_e32 v2, 1
	s_xor_b64 exec, exec, s[22:23]
	s_cbranch_execnz .LBB2_3548
.LBB2_3410:                             ;   in Loop: Header=BB2_2849 Depth=2
	s_or_b64 exec, exec, s[22:23]
	s_and_saveexec_b64 s[22:23], s[20:21]
.LBB2_3411:                             ;   in Loop: Header=BB2_2849 Depth=2
	v_cndmask_b32_e64 v2, v11, v59, s[18:19]
.LBB2_3412:                             ;   in Loop: Header=BB2_2849 Depth=2
	s_or_b64 exec, exec, s[22:23]
	v_max_f32_e32 v2, v2, v2
	v_max_f32_e32 v10, v15, v15
	v_min_f32_e32 v15, v10, v2
.LBB2_3413:                             ;   in Loop: Header=BB2_2849 Depth=2
	v_and_b32_e32 v34, 0x7f800000, v15
	v_cmp_ne_u64_e32 vcc, s[62:63], v[34:35]
                                        ; implicit-def: $vgpr42
	s_and_saveexec_b64 s[18:19], vcc
	s_xor_b64 s[20:21], exec, s[18:19]
	s_cbranch_execz .LBB2_3427
; %bb.3414:                             ;   in Loop: Header=BB2_2849 Depth=2
	v_and_b32_e32 v34, 0x7fffffff, v15
	v_cmp_gt_u64_e32 vcc, s[72:73], v[34:35]
	v_and_b32_sdwa v50, v15, s52 dst_sel:DWORD dst_unused:UNUSED_PAD src0_sel:BYTE_3 src1_sel:DWORD
                                        ; implicit-def: $vgpr42
	s_and_saveexec_b64 s[18:19], vcc
	s_xor_b64 s[22:23], exec, s[18:19]
	s_cbranch_execz .LBB2_3424
; %bb.3415:                             ;   in Loop: Header=BB2_2849 Depth=2
	v_mov_b32_e32 v42, 0
	v_cmp_ne_u32_e32 vcc, 0, v15
	s_and_saveexec_b64 s[24:25], vcc
	s_cbranch_execz .LBB2_3423
; %bb.3416:                             ;   in Loop: Header=BB2_2849 Depth=2
	v_bfe_u32 v51, v15, 23, 8
	v_cmp_gt_u32_e64 s[18:19], s53, v51
	v_sub_u32_e32 v2, 0x79, v51
	v_and_b32_e32 v10, 0x7fffff, v15
	v_cmp_eq_u32_e32 vcc, 0, v51
	v_cndmask_b32_e64 v2, 0, v2, s[18:19]
	v_or_b32_e32 v11, 0x800000, v10
	v_cndmask_b32_e32 v2, v2, v60, vcc
	v_cndmask_b32_e32 v34, v11, v10, vcc
	v_add_u32_e32 v10, 20, v2
	v_lshlrev_b64 v[10:11], v10, -1
	v_add_u32_e32 v14, 19, v2
	v_lshlrev_b64 v[14:15], v14, 1
	v_bfi_b32 v11, v11, 0, 0
	v_bfi_b32 v10, v10, 0, v34
	v_cmp_eq_u64_e64 s[18:19], v[10:11], v[14:15]
	v_lshrrev_b64 v[10:11], v2, v[34:35]
	v_mov_b32_e32 v15, v11
	v_mov_b32_e32 v14, v10
	s_and_saveexec_b64 s[30:31], s[18:19]
; %bb.3417:                             ;   in Loop: Header=BB2_2849 Depth=2
	v_bfe_u32 v11, v10, 20, 1
	v_add_co_u32_e64 v11, s[18:19], v10, v11
	v_add_co_u32_e64 v14, s[18:19], -1, v11
; %bb.3418:                             ;   in Loop: Header=BB2_2849 Depth=2
	s_or_b64 exec, exec, s[30:31]
	v_add_u32_e32 v11, 0xffffff81, v51
	v_cndmask_b32_e32 v11, v11, v61, vcc
	v_lshrrev_b32_e32 v15, 23, v10
	v_add3_u32 v51, v2, v11, v15
	v_add_u32_e32 v15, 6, v51
	v_and_b32_e32 v2, 0xfffff, v14
	v_add_u32_e32 v34, v2, v10
	v_cmp_ne_u32_e32 vcc, 0, v15
                                        ; implicit-def: $vgpr10_vgpr11
                                        ; implicit-def: $vgpr2
	s_and_saveexec_b64 s[18:19], vcc
	s_xor_b64 s[18:19], exec, s[18:19]
; %bb.3419:                             ;   in Loop: Header=BB2_2849 Depth=2
	v_cmp_lt_u64_e32 vcc, s[74:75], v[34:35]
	v_add_u32_e32 v2, 7, v51
	v_cndmask_b32_e64 v10, 0, 1, vcc
	v_cndmask_b32_e32 v2, v15, v2, vcc
	v_lshrrev_b64 v[10:11], v10, v[34:35]
; %bb.3420:                             ;   in Loop: Header=BB2_2849 Depth=2
	s_andn2_saveexec_b64 s[18:19], s[18:19]
; %bb.3421:                             ;   in Loop: Header=BB2_2849 Depth=2
	v_mov_b32_e32 v10, v34
	v_bfe_u32 v2, v34, 23, 1
	v_mov_b32_e32 v11, v35
; %bb.3422:                             ;   in Loop: Header=BB2_2849 Depth=2
	s_or_b64 exec, exec, s[18:19]
	v_lshrrev_b64 v[10:11], 20, v[10:11]
	v_cmp_gt_i32_e32 vcc, 16, v2
	v_cndmask_b32_e32 v11, 0, v11, vcc
	v_cndmask_b32_e32 v10, 7, v10, vcc
	v_cmp_eq_u32_e32 vcc, 0, v2
	v_min_i32_e32 v2, 15, v2
	v_cmp_eq_u64_e64 s[18:19], 0, v[10:11]
	v_lshlrev_b32_e32 v2, 3, v2
	v_and_b32_e32 v2, 0xf8, v2
	v_and_or_b32 v2, v10, 7, v2
	s_and_b64 s[18:19], vcc, s[18:19]
	v_cndmask_b32_e64 v2, v2, 0, s[18:19]
	v_or_b32_e32 v42, v2, v50
.LBB2_3423:                             ;   in Loop: Header=BB2_2849 Depth=2
	s_or_b64 exec, exec, s[24:25]
                                        ; implicit-def: $vgpr50
.LBB2_3424:                             ;   in Loop: Header=BB2_2849 Depth=2
	s_andn2_saveexec_b64 s[18:19], s[22:23]
; %bb.3425:                             ;   in Loop: Header=BB2_2849 Depth=2
	v_or_b32_e32 v42, 0x7e, v50
; %bb.3426:                             ;   in Loop: Header=BB2_2849 Depth=2
	s_or_b64 exec, exec, s[18:19]
                                        ; implicit-def: $vgpr15
.LBB2_3427:                             ;   in Loop: Header=BB2_2849 Depth=2
	s_andn2_saveexec_b64 s[18:19], s[20:21]
; %bb.3428:                             ;   in Loop: Header=BB2_2849 Depth=2
	v_or_b32_sdwa v42, v15, s49 dst_sel:DWORD dst_unused:UNUSED_PAD src0_sel:BYTE_3 src1_sel:DWORD
; %bb.3429:                             ;   in Loop: Header=BB2_2849 Depth=2
	s_or_b64 exec, exec, s[18:19]
	v_bfe_u32 v2, v17, 16, 3
	v_bfe_u32 v11, v17, 16, 7
	v_cmp_eq_u32_e64 s[18:19], s49, v11
	v_cmp_gt_u32_e32 vcc, 8, v11
	v_ffbh_u32_e32 v11, v2
	v_min_u32_e32 v11, 32, v11
	v_lshrrev_b32_e32 v10, 16, v17
	v_subrev_u32_e32 v14, 28, v11
	v_lshlrev_b64 v[14:15], v14, v[10:11]
	v_bfe_u32 v24, v10, 3, 4
	v_sub_u32_e32 v11, 29, v11
	v_and_b32_e32 v14, 7, v14
	v_cndmask_b32_e32 v11, v24, v11, vcc
	v_cndmask_b32_e32 v2, v2, v14, vcc
	v_lshlrev_b32_e32 v14, 8, v17
	v_lshlrev_b32_e32 v2, 20, v2
	v_and_b32_e32 v14, 0x80000000, v14
	v_lshl_add_u32 v11, v11, 23, v56
	v_or3_b32 v14, v14, v11, v2
	v_lshrrev_b32_e32 v11, 16, v13
	v_cmp_ne_u16_sdwa s[20:21], v11, v35 src0_sel:BYTE_0 src1_sel:DWORD
	s_mov_b64 s[22:23], -1
	s_and_b64 vcc, exec, s[94:95]
                                        ; implicit-def: $vgpr15
	s_cbranch_vccz .LBB2_3443
; %bb.3430:                             ;   in Loop: Header=BB2_2849 Depth=2
	v_mov_b32_e32 v15, 0
	s_and_saveexec_b64 s[22:23], s[20:21]
	s_cbranch_execz .LBB2_3436
; %bb.3431:                             ;   in Loop: Header=BB2_2849 Depth=2
	v_cmp_ne_u16_sdwa vcc, v11, s52 src0_sel:BYTE_0 src1_sel:DWORD
	v_bfrev_b32_e32 v15, 1
	s_and_saveexec_b64 s[24:25], vcc
	s_cbranch_execz .LBB2_3435
; %bb.3432:                             ;   in Loop: Header=BB2_2849 Depth=2
	v_bfe_u32 v2, v13, 16, 7
	v_cmp_ne_u32_e32 vcc, s49, v2
	v_mov_b32_e32 v15, 0x7f800001
	s_and_saveexec_b64 s[30:31], vcc
	s_cbranch_execz .LBB2_3434
; %bb.3433:                             ;   in Loop: Header=BB2_2849 Depth=2
	v_and_b32_e32 v15, 7, v11
	v_lshrrev_b32_e32 v34, 3, v2
	v_cmp_gt_u32_e32 vcc, 8, v2
	v_ffbh_u32_e32 v2, v15
	v_min_u32_e32 v2, 32, v2
	v_subrev_u32_e32 v24, 28, v2
	v_lshlrev_b64 v[24:25], v24, v[11:12]
	v_sub_u32_e32 v2, 29, v2
	v_and_b32_e32 v24, 7, v24
	v_cndmask_b32_e32 v2, v34, v2, vcc
	v_cndmask_b32_e32 v15, v15, v24, vcc
	v_lshlrev_b32_e32 v24, 24, v11
	v_lshlrev_b32_e32 v15, 20, v15
	v_and_b32_e32 v24, 0x80000000, v24
	v_lshl_add_u32 v2, v2, 23, v56
	v_or3_b32 v15, v24, v2, v15
.LBB2_3434:                             ;   in Loop: Header=BB2_2849 Depth=2
	s_or_b64 exec, exec, s[30:31]
.LBB2_3435:                             ;   in Loop: Header=BB2_2849 Depth=2
	s_or_b64 exec, exec, s[24:25]
.LBB2_3436:                             ;   in Loop: Header=BB2_2849 Depth=2
	s_or_b64 exec, exec, s[22:23]
	v_cmp_gt_i16_sdwa s[24:25], v10, s49 src0_sel:BYTE_0 src1_sel:DWORD
	s_mov_b64 s[22:23], 0
	s_and_saveexec_b64 vcc, s[24:25]
	s_xor_b64 s[24:25], exec, vcc
	s_cbranch_execz .LBB2_3549
; %bb.3437:                             ;   in Loop: Header=BB2_2849 Depth=2
	v_cmp_eq_u16_sdwa s[30:31], v10, s52 src0_sel:BYTE_0 src1_sel:DWORD
	s_mov_b64 s[22:23], -1
	s_and_saveexec_b64 vcc, s[30:31]
; %bb.3438:                             ;   in Loop: Header=BB2_2849 Depth=2
	s_xor_b64 s[22:23], exec, -1
; %bb.3439:                             ;   in Loop: Header=BB2_2849 Depth=2
	s_or_b64 exec, exec, vcc
	s_and_b64 s[22:23], s[22:23], exec
	s_or_saveexec_b64 s[24:25], s[24:25]
	v_bfrev_b32_e32 v2, 1
	s_xor_b64 exec, exec, s[24:25]
	s_cbranch_execnz .LBB2_3550
.LBB2_3440:                             ;   in Loop: Header=BB2_2849 Depth=2
	s_or_b64 exec, exec, s[24:25]
	s_and_saveexec_b64 s[24:25], s[22:23]
.LBB2_3441:                             ;   in Loop: Header=BB2_2849 Depth=2
	v_cndmask_b32_e64 v2, v14, v59, s[18:19]
.LBB2_3442:                             ;   in Loop: Header=BB2_2849 Depth=2
	s_or_b64 exec, exec, s[24:25]
	v_max_f32_e32 v2, v2, v2
	v_max_f32_e32 v15, v15, v15
	;; [unrolled: 1-line block ×3, first 2 shown]
	s_mov_b64 s[22:23], 0
.LBB2_3443:                             ;   in Loop: Header=BB2_2849 Depth=2
	s_and_b64 vcc, exec, s[22:23]
	s_cbranch_vccz .LBB2_3457
; %bb.3444:                             ;   in Loop: Header=BB2_2849 Depth=2
	v_mov_b32_e32 v15, 0
	s_and_saveexec_b64 s[22:23], s[20:21]
	s_cbranch_execz .LBB2_3450
; %bb.3445:                             ;   in Loop: Header=BB2_2849 Depth=2
	v_cmp_ne_u16_sdwa s[24:25], v11, s52 src0_sel:BYTE_0 src1_sel:DWORD
	v_bfrev_b32_e32 v15, 1
	s_and_saveexec_b64 s[20:21], s[24:25]
	s_cbranch_execz .LBB2_3449
; %bb.3446:                             ;   in Loop: Header=BB2_2849 Depth=2
	v_bfe_u32 v2, v13, 16, 7
	v_cmp_ne_u32_e32 vcc, s49, v2
	v_mov_b32_e32 v15, 0x7f800001
	s_and_saveexec_b64 s[24:25], vcc
	s_cbranch_execz .LBB2_3448
; %bb.3447:                             ;   in Loop: Header=BB2_2849 Depth=2
	v_and_b32_e32 v15, 7, v11
	v_lshrrev_b32_e32 v34, 3, v2
	v_cmp_gt_u32_e32 vcc, 8, v2
	v_ffbh_u32_e32 v2, v15
	v_min_u32_e32 v2, 32, v2
	v_subrev_u32_e32 v24, 28, v2
	v_lshlrev_b64 v[24:25], v24, v[11:12]
	v_sub_u32_e32 v2, 29, v2
	v_and_b32_e32 v24, 7, v24
	v_cndmask_b32_e32 v2, v34, v2, vcc
	v_cndmask_b32_e32 v15, v15, v24, vcc
	v_lshlrev_b32_e32 v11, 24, v11
	v_lshlrev_b32_e32 v15, 20, v15
	v_and_b32_e32 v11, 0x80000000, v11
	v_lshl_add_u32 v2, v2, 23, v56
	v_or3_b32 v15, v11, v2, v15
.LBB2_3448:                             ;   in Loop: Header=BB2_2849 Depth=2
	s_or_b64 exec, exec, s[24:25]
.LBB2_3449:                             ;   in Loop: Header=BB2_2849 Depth=2
	s_or_b64 exec, exec, s[20:21]
.LBB2_3450:                             ;   in Loop: Header=BB2_2849 Depth=2
	s_or_b64 exec, exec, s[22:23]
	v_cmp_gt_i16_sdwa s[22:23], v10, s49 src0_sel:BYTE_0 src1_sel:DWORD
	s_mov_b64 s[20:21], 0
	s_and_saveexec_b64 s[24:25], s[22:23]
	s_xor_b64 s[22:23], exec, s[24:25]
	s_cbranch_execz .LBB2_3551
; %bb.3451:                             ;   in Loop: Header=BB2_2849 Depth=2
	v_cmp_eq_u16_sdwa vcc, v10, s52 src0_sel:BYTE_0 src1_sel:DWORD
	s_mov_b64 s[20:21], -1
	s_and_saveexec_b64 s[24:25], vcc
; %bb.3452:                             ;   in Loop: Header=BB2_2849 Depth=2
	s_xor_b64 s[20:21], exec, -1
; %bb.3453:                             ;   in Loop: Header=BB2_2849 Depth=2
	s_or_b64 exec, exec, s[24:25]
	s_and_b64 s[20:21], s[20:21], exec
                                        ; implicit-def: $vgpr10
	s_or_saveexec_b64 s[22:23], s[22:23]
	v_bfrev_b32_e32 v2, 1
	s_xor_b64 exec, exec, s[22:23]
	s_cbranch_execnz .LBB2_3552
.LBB2_3454:                             ;   in Loop: Header=BB2_2849 Depth=2
	s_or_b64 exec, exec, s[22:23]
	s_and_saveexec_b64 s[22:23], s[20:21]
.LBB2_3455:                             ;   in Loop: Header=BB2_2849 Depth=2
	v_cndmask_b32_e64 v2, v14, v59, s[18:19]
.LBB2_3456:                             ;   in Loop: Header=BB2_2849 Depth=2
	s_or_b64 exec, exec, s[22:23]
	v_max_f32_e32 v2, v2, v2
	v_max_f32_e32 v10, v15, v15
	v_min_f32_e32 v15, v10, v2
.LBB2_3457:                             ;   in Loop: Header=BB2_2849 Depth=2
	v_and_b32_e32 v34, 0x7f800000, v15
	v_cmp_ne_u64_e32 vcc, s[62:63], v[34:35]
                                        ; implicit-def: $vgpr14
	s_and_saveexec_b64 s[18:19], vcc
	s_xor_b64 s[20:21], exec, s[18:19]
	s_cbranch_execz .LBB2_3471
; %bb.3458:                             ;   in Loop: Header=BB2_2849 Depth=2
	v_and_b32_e32 v34, 0x7fffffff, v15
	v_cmp_gt_u64_e32 vcc, s[72:73], v[34:35]
	v_and_b32_sdwa v50, v15, s52 dst_sel:DWORD dst_unused:UNUSED_PAD src0_sel:BYTE_3 src1_sel:DWORD
                                        ; implicit-def: $vgpr14
	s_and_saveexec_b64 s[18:19], vcc
	s_xor_b64 s[22:23], exec, s[18:19]
	s_cbranch_execz .LBB2_3468
; %bb.3459:                             ;   in Loop: Header=BB2_2849 Depth=2
	v_mov_b32_e32 v14, 0
	v_cmp_ne_u32_e32 vcc, 0, v15
	s_and_saveexec_b64 s[24:25], vcc
	s_cbranch_execz .LBB2_3467
; %bb.3460:                             ;   in Loop: Header=BB2_2849 Depth=2
	v_bfe_u32 v51, v15, 23, 8
	v_cmp_gt_u32_e64 s[18:19], s53, v51
	v_sub_u32_e32 v2, 0x79, v51
	v_and_b32_e32 v10, 0x7fffff, v15
	v_cmp_eq_u32_e32 vcc, 0, v51
	v_cndmask_b32_e64 v2, 0, v2, s[18:19]
	v_or_b32_e32 v11, 0x800000, v10
	v_cndmask_b32_e32 v2, v2, v60, vcc
	v_cndmask_b32_e32 v34, v11, v10, vcc
	v_add_u32_e32 v10, 20, v2
	v_lshlrev_b64 v[10:11], v10, -1
	v_add_u32_e32 v14, 19, v2
	v_lshlrev_b64 v[14:15], v14, 1
	v_bfi_b32 v11, v11, 0, 0
	v_bfi_b32 v10, v10, 0, v34
	v_cmp_eq_u64_e64 s[18:19], v[10:11], v[14:15]
	v_lshrrev_b64 v[10:11], v2, v[34:35]
	v_mov_b32_e32 v15, v11
	v_mov_b32_e32 v14, v10
	s_and_saveexec_b64 s[30:31], s[18:19]
; %bb.3461:                             ;   in Loop: Header=BB2_2849 Depth=2
	v_bfe_u32 v11, v10, 20, 1
	v_add_co_u32_e64 v11, s[18:19], v10, v11
	v_add_co_u32_e64 v14, s[18:19], -1, v11
; %bb.3462:                             ;   in Loop: Header=BB2_2849 Depth=2
	s_or_b64 exec, exec, s[30:31]
	v_add_u32_e32 v11, 0xffffff81, v51
	v_cndmask_b32_e32 v11, v11, v61, vcc
	v_lshrrev_b32_e32 v15, 23, v10
	v_add3_u32 v51, v2, v11, v15
	v_add_u32_e32 v15, 6, v51
	v_and_b32_e32 v2, 0xfffff, v14
	v_add_u32_e32 v34, v2, v10
	v_cmp_ne_u32_e32 vcc, 0, v15
                                        ; implicit-def: $vgpr10_vgpr11
                                        ; implicit-def: $vgpr2
	s_and_saveexec_b64 s[18:19], vcc
	s_xor_b64 s[18:19], exec, s[18:19]
; %bb.3463:                             ;   in Loop: Header=BB2_2849 Depth=2
	v_cmp_lt_u64_e32 vcc, s[74:75], v[34:35]
	v_add_u32_e32 v2, 7, v51
	v_cndmask_b32_e64 v10, 0, 1, vcc
	v_cndmask_b32_e32 v2, v15, v2, vcc
	v_lshrrev_b64 v[10:11], v10, v[34:35]
; %bb.3464:                             ;   in Loop: Header=BB2_2849 Depth=2
	s_andn2_saveexec_b64 s[18:19], s[18:19]
; %bb.3465:                             ;   in Loop: Header=BB2_2849 Depth=2
	v_mov_b32_e32 v10, v34
	v_bfe_u32 v2, v34, 23, 1
	v_mov_b32_e32 v11, v35
; %bb.3466:                             ;   in Loop: Header=BB2_2849 Depth=2
	s_or_b64 exec, exec, s[18:19]
	v_lshrrev_b64 v[10:11], 20, v[10:11]
	v_cmp_gt_i32_e32 vcc, 16, v2
	v_cndmask_b32_e32 v11, 0, v11, vcc
	v_cndmask_b32_e32 v10, 7, v10, vcc
	v_cmp_eq_u32_e32 vcc, 0, v2
	v_min_i32_e32 v2, 15, v2
	v_cmp_eq_u64_e64 s[18:19], 0, v[10:11]
	v_lshlrev_b32_e32 v2, 3, v2
	v_and_b32_e32 v2, 0xf8, v2
	v_and_or_b32 v2, v10, 7, v2
	s_and_b64 s[18:19], vcc, s[18:19]
	v_cndmask_b32_e64 v2, v2, 0, s[18:19]
	v_or_b32_e32 v14, v2, v50
.LBB2_3467:                             ;   in Loop: Header=BB2_2849 Depth=2
	s_or_b64 exec, exec, s[24:25]
                                        ; implicit-def: $vgpr50
.LBB2_3468:                             ;   in Loop: Header=BB2_2849 Depth=2
	s_andn2_saveexec_b64 s[18:19], s[22:23]
; %bb.3469:                             ;   in Loop: Header=BB2_2849 Depth=2
	v_or_b32_e32 v14, 0x7e, v50
; %bb.3470:                             ;   in Loop: Header=BB2_2849 Depth=2
	s_or_b64 exec, exec, s[18:19]
                                        ; implicit-def: $vgpr15
.LBB2_3471:                             ;   in Loop: Header=BB2_2849 Depth=2
	s_andn2_saveexec_b64 s[18:19], s[20:21]
; %bb.3472:                             ;   in Loop: Header=BB2_2849 Depth=2
	v_or_b32_sdwa v14, v15, s49 dst_sel:DWORD dst_unused:UNUSED_PAD src0_sel:BYTE_3 src1_sel:DWORD
; %bb.3473:                             ;   in Loop: Header=BB2_2849 Depth=2
	s_or_b64 exec, exec, s[18:19]
	v_bfe_u32 v11, v17, 24, 3
	v_bfe_u32 v15, v17, 24, 7
	v_cmp_eq_u32_e64 s[22:23], s49, v15
	v_cmp_gt_u32_e32 vcc, 8, v15
	v_ffbh_u32_e32 v15, v11
	v_min_u32_e32 v25, 32, v15
	v_lshrrev_b32_e32 v2, 24, v17
	v_subrev_u32_e32 v15, 28, v25
	v_cmp_gt_u64_e64 s[18:19], s[56:57], v[16:17]
	v_lshlrev_b64 v[15:16], v15, v[2:3]
	v_bfe_u32 v24, v2, 3, 4
	v_cmp_eq_u32_e64 s[20:21], s52, v2
	v_sub_u32_e32 v2, 29, v25
	v_and_b32_e32 v15, 7, v15
	v_cndmask_b32_e32 v2, v24, v2, vcc
	v_cndmask_b32_e32 v11, v11, v15, vcc
	v_lshlrev_b32_e32 v11, 20, v11
	v_and_b32_e32 v15, 0x80000000, v17
	v_lshl_add_u32 v2, v2, 23, v56
	v_cmp_lt_u64_e64 s[24:25], s[76:77], v[12:13]
	v_lshrrev_b32_e32 v10, 24, v13
	v_or3_b32 v11, v15, v2, v11
	s_mov_b64 s[30:31], -1
	s_and_b64 vcc, exec, s[94:95]
                                        ; implicit-def: $vgpr12
	s_cbranch_vccz .LBB2_3481
; %bb.3474:                             ;   in Loop: Header=BB2_2849 Depth=2
	v_mov_b32_e32 v2, 0
	s_and_saveexec_b64 s[30:31], s[24:25]
	s_cbranch_execz .LBB2_3480
; %bb.3475:                             ;   in Loop: Header=BB2_2849 Depth=2
	v_cmp_ne_u32_e32 vcc, s52, v10
	v_bfrev_b32_e32 v2, 1
	s_and_saveexec_b64 s[34:35], vcc
	s_cbranch_execz .LBB2_3479
; %bb.3476:                             ;   in Loop: Header=BB2_2849 Depth=2
	v_bfe_u32 v12, v13, 24, 7
	v_cmp_ne_u32_e32 vcc, s49, v12
	v_mov_b32_e32 v2, 0x7f800001
	s_and_saveexec_b64 s[36:37], vcc
	s_cbranch_execz .LBB2_3478
; %bb.3477:                             ;   in Loop: Header=BB2_2849 Depth=2
	v_and_b32_e32 v2, 7, v10
	v_lshrrev_b32_e32 v17, 3, v12
	v_cmp_gt_u32_e32 vcc, 8, v12
	v_ffbh_u32_e32 v12, v2
	v_min_u32_e32 v12, 32, v12
	v_subrev_u32_e32 v15, 28, v12
	v_lshlrev_b64 v[15:16], v15, v[10:11]
	v_sub_u32_e32 v12, 29, v12
	v_and_b32_e32 v15, 7, v15
	v_cndmask_b32_e32 v12, v17, v12, vcc
	v_cndmask_b32_e32 v2, v2, v15, vcc
	v_lshlrev_b32_e32 v15, 24, v10
	v_lshlrev_b32_e32 v2, 20, v2
	v_and_b32_e32 v15, 0x80000000, v15
	v_lshl_add_u32 v12, v12, 23, v56
	v_or3_b32 v2, v15, v12, v2
.LBB2_3478:                             ;   in Loop: Header=BB2_2849 Depth=2
	s_or_b64 exec, exec, s[36:37]
.LBB2_3479:                             ;   in Loop: Header=BB2_2849 Depth=2
	s_or_b64 exec, exec, s[34:35]
.LBB2_3480:                             ;   in Loop: Header=BB2_2849 Depth=2
	s_or_b64 exec, exec, s[30:31]
	v_cndmask_b32_e64 v12, v11, v59, s[22:23]
	v_cndmask_b32_e64 v12, v12, v62, s[20:21]
	;; [unrolled: 1-line block ×3, first 2 shown]
	v_max_f32_e32 v12, v12, v12
	v_max_f32_e32 v2, v2, v2
	;; [unrolled: 1-line block ×3, first 2 shown]
	s_mov_b64 s[30:31], 0
.LBB2_3481:                             ;   in Loop: Header=BB2_2849 Depth=2
	s_and_b64 vcc, exec, s[30:31]
	s_cbranch_vccz .LBB2_3489
; %bb.3482:                             ;   in Loop: Header=BB2_2849 Depth=2
	v_mov_b32_e32 v2, 0
	s_and_saveexec_b64 s[30:31], s[24:25]
	s_cbranch_execz .LBB2_3488
; %bb.3483:                             ;   in Loop: Header=BB2_2849 Depth=2
	v_cmp_ne_u32_e32 vcc, s52, v10
	v_bfrev_b32_e32 v2, 1
	s_and_saveexec_b64 s[24:25], vcc
	s_cbranch_execz .LBB2_3487
; %bb.3484:                             ;   in Loop: Header=BB2_2849 Depth=2
	v_bfe_u32 v12, v13, 24, 7
	v_cmp_ne_u32_e32 vcc, s49, v12
	v_mov_b32_e32 v2, 0x7f800001
	s_and_saveexec_b64 s[34:35], vcc
	s_cbranch_execz .LBB2_3486
; %bb.3485:                             ;   in Loop: Header=BB2_2849 Depth=2
	v_and_b32_e32 v2, 7, v10
	v_lshrrev_b32_e32 v15, 3, v12
	v_cmp_gt_u32_e32 vcc, 8, v12
	v_ffbh_u32_e32 v12, v2
	v_min_u32_e32 v16, 32, v12
	v_subrev_u32_e32 v12, 28, v16
	v_lshlrev_b64 v[12:13], v12, v[10:11]
	v_sub_u32_e32 v13, 29, v16
	v_and_b32_e32 v12, 7, v12
	v_cndmask_b32_e32 v13, v15, v13, vcc
	v_cndmask_b32_e32 v2, v2, v12, vcc
	v_lshlrev_b32_e32 v10, 24, v10
	v_lshlrev_b32_e32 v2, 20, v2
	v_and_b32_e32 v10, 0x80000000, v10
	v_lshl_add_u32 v12, v13, 23, v56
	v_or3_b32 v2, v10, v12, v2
.LBB2_3486:                             ;   in Loop: Header=BB2_2849 Depth=2
	s_or_b64 exec, exec, s[34:35]
.LBB2_3487:                             ;   in Loop: Header=BB2_2849 Depth=2
	s_or_b64 exec, exec, s[24:25]
.LBB2_3488:                             ;   in Loop: Header=BB2_2849 Depth=2
	s_or_b64 exec, exec, s[30:31]
	v_cndmask_b32_e64 v10, v11, v59, s[22:23]
	v_cndmask_b32_e64 v10, v10, v62, s[20:21]
	;; [unrolled: 1-line block ×3, first 2 shown]
	v_max_f32_e32 v10, v10, v10
	v_max_f32_e32 v2, v2, v2
	v_min_f32_e32 v12, v2, v10
.LBB2_3489:                             ;   in Loop: Header=BB2_2849 Depth=2
	v_and_b32_e32 v34, 0x7f800000, v12
	v_cmp_ne_u64_e32 vcc, s[62:63], v[34:35]
                                        ; implicit-def: $vgpr10
	s_and_saveexec_b64 s[18:19], vcc
	s_xor_b64 s[20:21], exec, s[18:19]
	s_cbranch_execz .LBB2_3503
; %bb.3490:                             ;   in Loop: Header=BB2_2849 Depth=2
	v_and_b32_e32 v34, 0x7fffffff, v12
	v_cmp_gt_u64_e32 vcc, s[72:73], v[34:35]
	v_and_b32_sdwa v13, v12, s52 dst_sel:DWORD dst_unused:UNUSED_PAD src0_sel:BYTE_3 src1_sel:DWORD
                                        ; implicit-def: $vgpr10
	s_and_saveexec_b64 s[18:19], vcc
	s_xor_b64 s[22:23], exec, s[18:19]
	s_cbranch_execz .LBB2_3500
; %bb.3491:                             ;   in Loop: Header=BB2_2849 Depth=2
	v_mov_b32_e32 v10, 0
	v_cmp_ne_u32_e32 vcc, 0, v12
	s_and_saveexec_b64 s[24:25], vcc
	s_cbranch_execz .LBB2_3499
; %bb.3492:                             ;   in Loop: Header=BB2_2849 Depth=2
	v_bfe_u32 v15, v12, 23, 8
	v_cmp_gt_u32_e64 s[18:19], s53, v15
	v_sub_u32_e32 v2, 0x79, v15
	v_and_b32_e32 v10, 0x7fffff, v12
	v_cmp_eq_u32_e32 vcc, 0, v15
	v_cndmask_b32_e64 v2, 0, v2, s[18:19]
	v_or_b32_e32 v11, 0x800000, v10
	v_cndmask_b32_e32 v2, v2, v60, vcc
	v_cndmask_b32_e32 v34, v11, v10, vcc
	v_add_u32_e32 v10, 20, v2
	v_lshlrev_b64 v[10:11], v10, -1
	v_add_u32_e32 v12, 19, v2
	v_lshlrev_b64 v[16:17], v12, 1
	v_bfi_b32 v11, v11, 0, 0
	v_bfi_b32 v10, v10, 0, v34
	v_cmp_eq_u64_e64 s[18:19], v[10:11], v[16:17]
	v_lshrrev_b64 v[10:11], v2, v[34:35]
	v_mov_b32_e32 v12, v11
	v_mov_b32_e32 v11, v10
	s_and_saveexec_b64 s[30:31], s[18:19]
; %bb.3493:                             ;   in Loop: Header=BB2_2849 Depth=2
	v_bfe_u32 v11, v10, 20, 1
	v_add_co_u32_e64 v11, s[18:19], v10, v11
	v_add_co_u32_e64 v11, s[18:19], -1, v11
; %bb.3494:                             ;   in Loop: Header=BB2_2849 Depth=2
	s_or_b64 exec, exec, s[30:31]
	v_add_u32_e32 v12, 0xffffff81, v15
	v_cndmask_b32_e32 v12, v12, v61, vcc
	v_lshrrev_b32_e32 v15, 23, v10
	v_add3_u32 v15, v2, v12, v15
	v_add_u32_e32 v12, 6, v15
	v_and_b32_e32 v2, 0xfffff, v11
	v_add_u32_e32 v34, v2, v10
	v_cmp_ne_u32_e32 vcc, 0, v12
                                        ; implicit-def: $vgpr10_vgpr11
                                        ; implicit-def: $vgpr2
	s_and_saveexec_b64 s[18:19], vcc
	s_xor_b64 s[18:19], exec, s[18:19]
; %bb.3495:                             ;   in Loop: Header=BB2_2849 Depth=2
	v_cmp_lt_u64_e32 vcc, s[74:75], v[34:35]
	v_add_u32_e32 v2, 7, v15
	v_cndmask_b32_e64 v10, 0, 1, vcc
	v_cndmask_b32_e32 v2, v12, v2, vcc
	v_lshrrev_b64 v[10:11], v10, v[34:35]
; %bb.3496:                             ;   in Loop: Header=BB2_2849 Depth=2
	s_andn2_saveexec_b64 s[18:19], s[18:19]
; %bb.3497:                             ;   in Loop: Header=BB2_2849 Depth=2
	v_mov_b32_e32 v10, v34
	v_bfe_u32 v2, v34, 23, 1
	v_mov_b32_e32 v11, v35
; %bb.3498:                             ;   in Loop: Header=BB2_2849 Depth=2
	s_or_b64 exec, exec, s[18:19]
	v_lshrrev_b64 v[10:11], 20, v[10:11]
	v_cmp_gt_i32_e32 vcc, 16, v2
	v_cndmask_b32_e32 v11, 0, v11, vcc
	v_cndmask_b32_e32 v10, 7, v10, vcc
	v_cmp_eq_u32_e32 vcc, 0, v2
	v_min_i32_e32 v2, 15, v2
	v_cmp_eq_u64_e64 s[18:19], 0, v[10:11]
	v_lshlrev_b32_e32 v2, 3, v2
	v_and_b32_e32 v2, 0xf8, v2
	v_and_or_b32 v2, v10, 7, v2
	s_and_b64 s[18:19], vcc, s[18:19]
	v_cndmask_b32_e64 v2, v2, 0, s[18:19]
	v_or_b32_e32 v10, v2, v13
.LBB2_3499:                             ;   in Loop: Header=BB2_2849 Depth=2
	s_or_b64 exec, exec, s[24:25]
                                        ; implicit-def: $vgpr13
.LBB2_3500:                             ;   in Loop: Header=BB2_2849 Depth=2
	s_andn2_saveexec_b64 s[18:19], s[22:23]
; %bb.3501:                             ;   in Loop: Header=BB2_2849 Depth=2
	v_or_b32_e32 v10, 0x7e, v13
; %bb.3502:                             ;   in Loop: Header=BB2_2849 Depth=2
	s_or_b64 exec, exec, s[18:19]
                                        ; implicit-def: $vgpr12
.LBB2_3503:                             ;   in Loop: Header=BB2_2849 Depth=2
	s_andn2_saveexec_b64 s[18:19], s[20:21]
	s_cbranch_execz .LBB2_2848
; %bb.3504:                             ;   in Loop: Header=BB2_2849 Depth=2
	v_or_b32_sdwa v10, v12, s49 dst_sel:DWORD dst_unused:UNUSED_PAD src0_sel:BYTE_3 src1_sel:DWORD
	s_branch .LBB2_2848
.LBB2_3505:                             ;   in Loop: Header=BB2_2849 Depth=2
	s_or_saveexec_b64 s[24:25], s[24:25]
	v_bfrev_b32_e32 v2, 1
	s_xor_b64 exec, exec, s[24:25]
	s_cbranch_execz .LBB2_2860
.LBB2_3506:                             ;   in Loop: Header=BB2_2849 Depth=2
	v_cmp_ne_u16_sdwa vcc, v14, v35 src0_sel:BYTE_0 src1_sel:DWORD
	s_andn2_b64 s[22:23], s[22:23], exec
	s_and_b64 vcc, vcc, exec
	v_mov_b32_e32 v2, 0
	s_or_b64 s[22:23], s[22:23], vcc
	s_or_b64 exec, exec, s[24:25]
	s_and_saveexec_b64 s[24:25], s[22:23]
	s_cbranch_execnz .LBB2_2861
	s_branch .LBB2_2862
.LBB2_3507:                             ;   in Loop: Header=BB2_2849 Depth=2
	s_or_saveexec_b64 s[22:23], s[22:23]
	v_bfrev_b32_e32 v2, 1
	s_xor_b64 exec, exec, s[22:23]
	s_cbranch_execz .LBB2_2874
.LBB2_3508:                             ;   in Loop: Header=BB2_2849 Depth=2
	v_cmp_ne_u16_sdwa s[24:25], v14, v35 src0_sel:BYTE_0 src1_sel:DWORD
	s_andn2_b64 s[20:21], s[20:21], exec
	s_and_b64 s[24:25], s[24:25], exec
	v_mov_b32_e32 v2, 0
	s_or_b64 s[20:21], s[20:21], s[24:25]
	s_or_b64 exec, exec, s[22:23]
	s_and_saveexec_b64 s[22:23], s[20:21]
	s_cbranch_execnz .LBB2_2875
	s_branch .LBB2_2876
.LBB2_3509:                             ;   in Loop: Header=BB2_2849 Depth=2
	s_or_saveexec_b64 s[24:25], s[24:25]
	v_bfrev_b32_e32 v2, 1
	s_xor_b64 exec, exec, s[24:25]
	s_cbranch_execz .LBB2_2904
.LBB2_3510:                             ;   in Loop: Header=BB2_2849 Depth=2
	v_cmp_ne_u16_e32 vcc, 0, v34
	s_andn2_b64 s[22:23], s[22:23], exec
	s_and_b64 vcc, vcc, exec
	v_mov_b32_e32 v2, 0
	s_or_b64 s[22:23], s[22:23], vcc
	s_or_b64 exec, exec, s[24:25]
	s_and_saveexec_b64 s[24:25], s[22:23]
	s_cbranch_execnz .LBB2_2905
	s_branch .LBB2_2906
.LBB2_3511:                             ;   in Loop: Header=BB2_2849 Depth=2
	s_or_saveexec_b64 s[22:23], s[22:23]
	v_bfrev_b32_e32 v2, 1
	s_xor_b64 exec, exec, s[22:23]
	s_cbranch_execz .LBB2_2918
.LBB2_3512:                             ;   in Loop: Header=BB2_2849 Depth=2
	v_cmp_ne_u16_e32 vcc, 0, v34
	s_andn2_b64 s[20:21], s[20:21], exec
	s_and_b64 s[24:25], vcc, exec
	v_mov_b32_e32 v2, 0
	s_or_b64 s[20:21], s[20:21], s[24:25]
	s_or_b64 exec, exec, s[22:23]
	s_and_saveexec_b64 s[22:23], s[20:21]
	s_cbranch_execnz .LBB2_2919
	s_branch .LBB2_2920
.LBB2_3513:                             ;   in Loop: Header=BB2_2849 Depth=2
	s_or_saveexec_b64 s[24:25], s[24:25]
	v_bfrev_b32_e32 v2, 1
	s_xor_b64 exec, exec, s[24:25]
	s_cbranch_execz .LBB2_2948
.LBB2_3514:                             ;   in Loop: Header=BB2_2849 Depth=2
	v_cmp_ne_u16_sdwa vcc, v30, v35 src0_sel:BYTE_0 src1_sel:DWORD
	s_andn2_b64 s[22:23], s[22:23], exec
	s_and_b64 vcc, vcc, exec
	v_mov_b32_e32 v2, 0
	s_or_b64 s[22:23], s[22:23], vcc
	s_or_b64 exec, exec, s[24:25]
	s_and_saveexec_b64 s[24:25], s[22:23]
	s_cbranch_execnz .LBB2_2949
	s_branch .LBB2_2950
.LBB2_3515:                             ;   in Loop: Header=BB2_2849 Depth=2
	s_or_saveexec_b64 s[22:23], s[22:23]
	v_bfrev_b32_e32 v2, 1
	s_xor_b64 exec, exec, s[22:23]
	s_cbranch_execz .LBB2_2962
.LBB2_3516:                             ;   in Loop: Header=BB2_2849 Depth=2
	v_cmp_ne_u16_sdwa s[24:25], v30, v35 src0_sel:BYTE_0 src1_sel:DWORD
	s_andn2_b64 s[20:21], s[20:21], exec
	s_and_b64 s[24:25], s[24:25], exec
	v_mov_b32_e32 v2, 0
	s_or_b64 s[20:21], s[20:21], s[24:25]
	s_or_b64 exec, exec, s[22:23]
	s_and_saveexec_b64 s[22:23], s[20:21]
	s_cbranch_execnz .LBB2_2963
	s_branch .LBB2_2964
.LBB2_3517:                             ;   in Loop: Header=BB2_2849 Depth=2
	s_or_saveexec_b64 s[24:25], s[24:25]
	v_bfrev_b32_e32 v2, 1
	s_xor_b64 exec, exec, s[24:25]
	s_cbranch_execz .LBB2_3024
.LBB2_3518:                             ;   in Loop: Header=BB2_2849 Depth=2
	v_cmp_ne_u16_sdwa vcc, v15, v35 src0_sel:BYTE_0 src1_sel:DWORD
	s_andn2_b64 s[22:23], s[22:23], exec
	s_and_b64 vcc, vcc, exec
	v_mov_b32_e32 v2, 0
	s_or_b64 s[22:23], s[22:23], vcc
	s_or_b64 exec, exec, s[24:25]
	s_and_saveexec_b64 s[24:25], s[22:23]
	s_cbranch_execnz .LBB2_3025
	s_branch .LBB2_3026
.LBB2_3519:                             ;   in Loop: Header=BB2_2849 Depth=2
	s_or_saveexec_b64 s[22:23], s[22:23]
	v_bfrev_b32_e32 v2, 1
	s_xor_b64 exec, exec, s[22:23]
	s_cbranch_execz .LBB2_3038
.LBB2_3520:                             ;   in Loop: Header=BB2_2849 Depth=2
	v_cmp_ne_u16_sdwa s[24:25], v15, v35 src0_sel:BYTE_0 src1_sel:DWORD
	s_andn2_b64 s[20:21], s[20:21], exec
	s_and_b64 s[24:25], s[24:25], exec
	v_mov_b32_e32 v2, 0
	s_or_b64 s[20:21], s[20:21], s[24:25]
	s_or_b64 exec, exec, s[22:23]
	s_and_saveexec_b64 s[22:23], s[20:21]
	s_cbranch_execnz .LBB2_3039
	s_branch .LBB2_3040
.LBB2_3521:                             ;   in Loop: Header=BB2_2849 Depth=2
	s_or_saveexec_b64 s[24:25], s[24:25]
	v_bfrev_b32_e32 v2, 1
	s_xor_b64 exec, exec, s[24:25]
	s_cbranch_execz .LBB2_3068
.LBB2_3522:                             ;   in Loop: Header=BB2_2849 Depth=2
	v_cmp_ne_u16_e32 vcc, 0, v34
	s_andn2_b64 s[22:23], s[22:23], exec
	s_and_b64 vcc, vcc, exec
	v_mov_b32_e32 v2, 0
	s_or_b64 s[22:23], s[22:23], vcc
	s_or_b64 exec, exec, s[24:25]
	s_and_saveexec_b64 s[24:25], s[22:23]
	s_cbranch_execnz .LBB2_3069
	s_branch .LBB2_3070
.LBB2_3523:                             ;   in Loop: Header=BB2_2849 Depth=2
	s_or_saveexec_b64 s[22:23], s[22:23]
	v_bfrev_b32_e32 v2, 1
	s_xor_b64 exec, exec, s[22:23]
	s_cbranch_execz .LBB2_3082
.LBB2_3524:                             ;   in Loop: Header=BB2_2849 Depth=2
	v_cmp_ne_u16_e32 vcc, 0, v34
	s_andn2_b64 s[20:21], s[20:21], exec
	s_and_b64 s[24:25], vcc, exec
	v_mov_b32_e32 v2, 0
	s_or_b64 s[20:21], s[20:21], s[24:25]
	s_or_b64 exec, exec, s[22:23]
	s_and_saveexec_b64 s[22:23], s[20:21]
	s_cbranch_execnz .LBB2_3083
	s_branch .LBB2_3084
.LBB2_3525:                             ;   in Loop: Header=BB2_2849 Depth=2
	s_or_saveexec_b64 s[24:25], s[24:25]
	v_bfrev_b32_e32 v2, 1
	s_xor_b64 exec, exec, s[24:25]
	s_cbranch_execz .LBB2_3112
.LBB2_3526:                             ;   in Loop: Header=BB2_2849 Depth=2
	v_cmp_ne_u16_sdwa vcc, v30, v35 src0_sel:BYTE_0 src1_sel:DWORD
	s_andn2_b64 s[22:23], s[22:23], exec
	s_and_b64 vcc, vcc, exec
	v_mov_b32_e32 v2, 0
	s_or_b64 s[22:23], s[22:23], vcc
	s_or_b64 exec, exec, s[24:25]
	s_and_saveexec_b64 s[24:25], s[22:23]
	s_cbranch_execnz .LBB2_3113
	s_branch .LBB2_3114
.LBB2_3527:                             ;   in Loop: Header=BB2_2849 Depth=2
	s_or_saveexec_b64 s[22:23], s[22:23]
	v_bfrev_b32_e32 v2, 1
	s_xor_b64 exec, exec, s[22:23]
	s_cbranch_execz .LBB2_3126
.LBB2_3528:                             ;   in Loop: Header=BB2_2849 Depth=2
	v_cmp_ne_u16_sdwa s[24:25], v30, v35 src0_sel:BYTE_0 src1_sel:DWORD
	s_andn2_b64 s[20:21], s[20:21], exec
	s_and_b64 s[24:25], s[24:25], exec
	v_mov_b32_e32 v2, 0
	s_or_b64 s[20:21], s[20:21], s[24:25]
	s_or_b64 exec, exec, s[22:23]
	s_and_saveexec_b64 s[22:23], s[20:21]
	s_cbranch_execnz .LBB2_3127
	s_branch .LBB2_3128
.LBB2_3529:                             ;   in Loop: Header=BB2_2849 Depth=2
	s_or_saveexec_b64 s[24:25], s[24:25]
	v_bfrev_b32_e32 v2, 1
	s_xor_b64 exec, exec, s[24:25]
	s_cbranch_execz .LBB2_3188
.LBB2_3530:                             ;   in Loop: Header=BB2_2849 Depth=2
	v_cmp_ne_u16_sdwa vcc, v16, v35 src0_sel:BYTE_0 src1_sel:DWORD
	s_andn2_b64 s[22:23], s[22:23], exec
	s_and_b64 vcc, vcc, exec
	v_mov_b32_e32 v2, 0
	s_or_b64 s[22:23], s[22:23], vcc
	s_or_b64 exec, exec, s[24:25]
	s_and_saveexec_b64 s[24:25], s[22:23]
	s_cbranch_execnz .LBB2_3189
	s_branch .LBB2_3190
.LBB2_3531:                             ;   in Loop: Header=BB2_2849 Depth=2
	s_or_saveexec_b64 s[22:23], s[22:23]
	v_bfrev_b32_e32 v2, 1
	s_xor_b64 exec, exec, s[22:23]
	s_cbranch_execz .LBB2_3202
.LBB2_3532:                             ;   in Loop: Header=BB2_2849 Depth=2
	v_cmp_ne_u16_sdwa s[24:25], v16, v35 src0_sel:BYTE_0 src1_sel:DWORD
	s_andn2_b64 s[20:21], s[20:21], exec
	s_and_b64 s[24:25], s[24:25], exec
	v_mov_b32_e32 v2, 0
	s_or_b64 s[20:21], s[20:21], s[24:25]
	s_or_b64 exec, exec, s[22:23]
	s_and_saveexec_b64 s[22:23], s[20:21]
	s_cbranch_execnz .LBB2_3203
	s_branch .LBB2_3204
.LBB2_3533:                             ;   in Loop: Header=BB2_2849 Depth=2
	s_or_saveexec_b64 s[24:25], s[24:25]
	v_bfrev_b32_e32 v2, 1
	s_xor_b64 exec, exec, s[24:25]
	s_cbranch_execz .LBB2_3232
.LBB2_3534:                             ;   in Loop: Header=BB2_2849 Depth=2
	v_cmp_ne_u16_e32 vcc, 0, v34
	s_andn2_b64 s[22:23], s[22:23], exec
	s_and_b64 vcc, vcc, exec
	v_mov_b32_e32 v2, 0
	s_or_b64 s[22:23], s[22:23], vcc
	s_or_b64 exec, exec, s[24:25]
	s_and_saveexec_b64 s[24:25], s[22:23]
	s_cbranch_execnz .LBB2_3233
	s_branch .LBB2_3234
.LBB2_3535:                             ;   in Loop: Header=BB2_2849 Depth=2
	s_or_saveexec_b64 s[22:23], s[22:23]
	v_bfrev_b32_e32 v2, 1
	s_xor_b64 exec, exec, s[22:23]
	s_cbranch_execz .LBB2_3246
.LBB2_3536:                             ;   in Loop: Header=BB2_2849 Depth=2
	v_cmp_ne_u16_e32 vcc, 0, v34
	s_andn2_b64 s[20:21], s[20:21], exec
	s_and_b64 s[24:25], vcc, exec
	v_mov_b32_e32 v2, 0
	s_or_b64 s[20:21], s[20:21], s[24:25]
	s_or_b64 exec, exec, s[22:23]
	s_and_saveexec_b64 s[22:23], s[20:21]
	s_cbranch_execnz .LBB2_3247
	s_branch .LBB2_3248
.LBB2_3537:                             ;   in Loop: Header=BB2_2849 Depth=2
	s_or_saveexec_b64 s[24:25], s[24:25]
	v_bfrev_b32_e32 v2, 1
	s_xor_b64 exec, exec, s[24:25]
	s_cbranch_execz .LBB2_3276
.LBB2_3538:                             ;   in Loop: Header=BB2_2849 Depth=2
	v_cmp_ne_u16_sdwa vcc, v10, v35 src0_sel:BYTE_0 src1_sel:DWORD
	s_andn2_b64 s[22:23], s[22:23], exec
	s_and_b64 vcc, vcc, exec
	v_mov_b32_e32 v2, 0
	s_or_b64 s[22:23], s[22:23], vcc
	s_or_b64 exec, exec, s[24:25]
	s_and_saveexec_b64 s[24:25], s[22:23]
	s_cbranch_execnz .LBB2_3277
	s_branch .LBB2_3278
.LBB2_3539:                             ;   in Loop: Header=BB2_2849 Depth=2
	s_or_saveexec_b64 s[22:23], s[22:23]
	v_bfrev_b32_e32 v2, 1
	s_xor_b64 exec, exec, s[22:23]
	s_cbranch_execz .LBB2_3290
.LBB2_3540:                             ;   in Loop: Header=BB2_2849 Depth=2
	v_cmp_ne_u16_sdwa s[24:25], v10, v35 src0_sel:BYTE_0 src1_sel:DWORD
	s_andn2_b64 s[20:21], s[20:21], exec
	s_and_b64 s[24:25], s[24:25], exec
	v_mov_b32_e32 v2, 0
	s_or_b64 s[20:21], s[20:21], s[24:25]
	s_or_b64 exec, exec, s[22:23]
	s_and_saveexec_b64 s[22:23], s[20:21]
	s_cbranch_execnz .LBB2_3291
	s_branch .LBB2_3292
.LBB2_3541:                             ;   in Loop: Header=BB2_2849 Depth=2
	s_or_saveexec_b64 s[24:25], s[24:25]
	v_bfrev_b32_e32 v2, 1
	s_xor_b64 exec, exec, s[24:25]
	s_cbranch_execz .LBB2_3352
.LBB2_3542:                             ;   in Loop: Header=BB2_2849 Depth=2
	v_cmp_ne_u16_sdwa vcc, v17, v35 src0_sel:BYTE_0 src1_sel:DWORD
	s_andn2_b64 s[22:23], s[22:23], exec
	s_and_b64 vcc, vcc, exec
	v_mov_b32_e32 v2, 0
	s_or_b64 s[22:23], s[22:23], vcc
	s_or_b64 exec, exec, s[24:25]
	s_and_saveexec_b64 s[24:25], s[22:23]
	s_cbranch_execnz .LBB2_3353
	s_branch .LBB2_3354
.LBB2_3543:                             ;   in Loop: Header=BB2_2849 Depth=2
	s_or_saveexec_b64 s[22:23], s[22:23]
	v_bfrev_b32_e32 v2, 1
	s_xor_b64 exec, exec, s[22:23]
	s_cbranch_execz .LBB2_3366
.LBB2_3544:                             ;   in Loop: Header=BB2_2849 Depth=2
	v_cmp_ne_u16_sdwa s[24:25], v17, v35 src0_sel:BYTE_0 src1_sel:DWORD
	s_andn2_b64 s[20:21], s[20:21], exec
	s_and_b64 s[24:25], s[24:25], exec
	v_mov_b32_e32 v2, 0
	s_or_b64 s[20:21], s[20:21], s[24:25]
	s_or_b64 exec, exec, s[22:23]
	s_and_saveexec_b64 s[22:23], s[20:21]
	s_cbranch_execnz .LBB2_3367
	s_branch .LBB2_3368
.LBB2_3545:                             ;   in Loop: Header=BB2_2849 Depth=2
	s_or_saveexec_b64 s[24:25], s[24:25]
	v_bfrev_b32_e32 v2, 1
	s_xor_b64 exec, exec, s[24:25]
	s_cbranch_execz .LBB2_3396
.LBB2_3546:                             ;   in Loop: Header=BB2_2849 Depth=2
	v_cmp_ne_u16_e32 vcc, 0, v10
	s_andn2_b64 s[22:23], s[22:23], exec
	s_and_b64 vcc, vcc, exec
	v_mov_b32_e32 v2, 0
	s_or_b64 s[22:23], s[22:23], vcc
	s_or_b64 exec, exec, s[24:25]
	s_and_saveexec_b64 s[24:25], s[22:23]
	s_cbranch_execnz .LBB2_3397
	s_branch .LBB2_3398
.LBB2_3547:                             ;   in Loop: Header=BB2_2849 Depth=2
	s_or_saveexec_b64 s[22:23], s[22:23]
	v_bfrev_b32_e32 v2, 1
	s_xor_b64 exec, exec, s[22:23]
	s_cbranch_execz .LBB2_3410
.LBB2_3548:                             ;   in Loop: Header=BB2_2849 Depth=2
	v_cmp_ne_u16_e32 vcc, 0, v10
	s_andn2_b64 s[20:21], s[20:21], exec
	s_and_b64 s[24:25], vcc, exec
	v_mov_b32_e32 v2, 0
	s_or_b64 s[20:21], s[20:21], s[24:25]
	s_or_b64 exec, exec, s[22:23]
	s_and_saveexec_b64 s[22:23], s[20:21]
	s_cbranch_execnz .LBB2_3411
	s_branch .LBB2_3412
.LBB2_3549:                             ;   in Loop: Header=BB2_2849 Depth=2
	s_or_saveexec_b64 s[24:25], s[24:25]
	v_bfrev_b32_e32 v2, 1
	s_xor_b64 exec, exec, s[24:25]
	s_cbranch_execz .LBB2_3440
.LBB2_3550:                             ;   in Loop: Header=BB2_2849 Depth=2
	v_cmp_ne_u16_sdwa vcc, v10, v35 src0_sel:BYTE_0 src1_sel:DWORD
	s_andn2_b64 s[22:23], s[22:23], exec
	s_and_b64 vcc, vcc, exec
	v_mov_b32_e32 v2, 0
	s_or_b64 s[22:23], s[22:23], vcc
	s_or_b64 exec, exec, s[24:25]
	s_and_saveexec_b64 s[24:25], s[22:23]
	s_cbranch_execnz .LBB2_3441
	s_branch .LBB2_3442
.LBB2_3551:                             ;   in Loop: Header=BB2_2849 Depth=2
	s_or_saveexec_b64 s[22:23], s[22:23]
	v_bfrev_b32_e32 v2, 1
	s_xor_b64 exec, exec, s[22:23]
	s_cbranch_execz .LBB2_3454
.LBB2_3552:                             ;   in Loop: Header=BB2_2849 Depth=2
	v_cmp_ne_u16_sdwa s[24:25], v10, v35 src0_sel:BYTE_0 src1_sel:DWORD
	s_andn2_b64 s[20:21], s[20:21], exec
	s_and_b64 s[24:25], s[24:25], exec
	v_mov_b32_e32 v2, 0
	s_or_b64 s[20:21], s[20:21], s[24:25]
	s_or_b64 exec, exec, s[22:23]
	s_and_saveexec_b64 s[22:23], s[20:21]
	s_cbranch_execnz .LBB2_3455
	s_branch .LBB2_3456
.LBB2_3553:                             ;   in Loop: Header=BB2_2065 Depth=1
	s_or_b64 exec, exec, s[92:93]
	buffer_load_dword v30, off, s[0:3], s33 offset:100 ; 4-byte Folded Reload
	buffer_load_dword v44, off, s[0:3], s33 offset:104 ; 4-byte Folded Reload
	;; [unrolled: 1-line block ×8, first 2 shown]
.LBB2_3554:                             ;   in Loop: Header=BB2_2065 Depth=1
	s_or_b64 exec, exec, s[90:91]
	v_cmp_lt_i32_e32 vcc, 0, v1
	v_cndmask_b32_e32 v0, 0, v46, vcc
	v_sub_u32_e32 v0, v0, v1
	s_mov_b64 s[20:21], exec
	s_waitcnt vmcnt(0)
	v_lshl_add_u32 v1, v0, 6, v11
.LBB2_3555:                             ;   in Loop: Header=BB2_2065 Depth=1
	s_or_b64 exec, exec, s[26:27]
	s_and_saveexec_b64 s[24:25], s[20:21]
	s_cbranch_execz .LBB2_3996
.LBB2_3556:                             ;   in Loop: Header=BB2_2065 Depth=1
	buffer_load_dword v2, off, s[0:3], s33 offset:72 ; 4-byte Folded Reload
	s_waitcnt vmcnt(2)
	v_ashrrev_i32_e32 v0, 31, v1
	v_lshrrev_b32_e32 v0, 26, v0
	v_add_u32_e32 v0, v1, v0
	v_ashrrev_i32_e32 v3, 6, v0
	s_waitcnt vmcnt(0)
	v_lshrrev_b32_e32 v2, 9, v2
	v_sub_u32_e32 v20, v2, v3
	v_cmp_lt_i32_e32 vcc, 0, v20
	s_and_saveexec_b64 s[22:23], vcc
	s_cbranch_execz .LBB2_3944
; %bb.3557:                             ;   in Loop: Header=BB2_2065 Depth=1
	v_and_b32_e32 v0, 0xffffffc0, v0
	v_sub_u32_e32 v0, v1, v0
	v_lshlrev_b32_e32 v2, 9, v3
	v_add3_u32 v0, v10, v0, v2
	s_trap 2
	ds_read_b64 v[12:13], v0
	v_mov_b32_e32 v58, v10
	v_ashrrev_i32_e32 v2, 31, v0
	v_add_co_u32_e32 v10, vcc, v0, v16
	v_addc_co_u32_e32 v11, vcc, v2, v17, vcc
	s_waitcnt lgkmcnt(0)
	v_add_co_u32_e32 v12, vcc, v12, v0
	v_addc_co_u32_e32 v13, vcc, v13, v2, vcc
	v_add_co_u32_e32 v14, vcc, 0x1c0, v14
	v_addc_co_u32_e32 v15, vcc, 0, v15, vcc
	s_bitcmp1_b32 s38, 0
	v_add_co_u32_e32 v14, vcc, v14, v0
	s_cselect_b64 s[26:27], -1, 0
	v_addc_co_u32_e32 v15, vcc, v15, v2, vcc
	s_mov_b64 s[90:91], 0
	s_branch .LBB2_3559
.LBB2_3558:                             ;   in Loop: Header=BB2_3559 Depth=2
	s_or_b64 exec, exec, s[18:19]
	v_add_co_u32_e32 v24, vcc, 0xfffffe40, v14
	v_addc_co_u32_e32 v25, vcc, -1, v15, vcc
	flat_store_byte v[24:25], v39 glc slc
	v_add_co_u32_e32 v24, vcc, 0xfffffe80, v14
	v_addc_co_u32_e32 v25, vcc, -1, v15, vcc
	flat_store_byte v[24:25], v51 glc slc
	;; [unrolled: 3-line block ×6, first 2 shown]
	v_add_co_u32_e32 v18, vcc, s55, v14
	v_addc_co_u32_e32 v19, vcc, -1, v15, vcc
	v_add_co_u32_e32 v10, vcc, v10, v45
	v_addc_co_u32_e32 v11, vcc, 0, v11, vcc
	v_add_co_u32_e32 v12, vcc, v12, v45
	v_addc_co_u32_e32 v13, vcc, 0, v13, vcc
	v_sub_u32_e32 v20, v20, v46
	v_cmp_gt_i32_e32 vcc, 1, v20
	flat_store_byte v[18:19], v0 glc slc
	flat_store_byte v[14:15], v17 glc slc
	s_or_b64 s[90:91], vcc, s[90:91]
	v_add_co_u32_e32 v14, vcc, v14, v45
	v_addc_co_u32_e32 v15, vcc, 0, v15, vcc
	s_andn2_b64 exec, exec, s[90:91]
	s_cbranch_execz .LBB2_3943
.LBB2_3559:                             ;   Parent Loop BB2_2065 Depth=1
                                        ; =>  This Inner Loop Header: Depth=2
	flat_load_ubyte v34, v[10:11] glc slc
	flat_load_ubyte v42, v[10:11] offset:64 glc slc
	flat_load_ubyte v41, v[10:11] offset:128 glc slc
	;; [unrolled: 1-line block ×7, first 2 shown]
	flat_load_ubyte v17, v[12:13] glc slc
	flat_load_ubyte v51, v[12:13] offset:64 glc slc
	flat_load_ubyte v52, v[12:13] offset:128 glc slc
	;; [unrolled: 1-line block ×7, first 2 shown]
	s_mov_b64 s[20:21], -1
	s_and_b64 vcc, exec, s[26:27]
                                        ; implicit-def: $vgpr16
	s_waitcnt vmcnt(0) lgkmcnt(0)
	v_cmp_ne_u16_e64 s[18:19], 0, v34
	s_cbranch_vccz .LBB2_3573
; %bb.3560:                             ;   in Loop: Header=BB2_3559 Depth=2
	v_mov_b32_e32 v39, 0
	v_mov_b32_e32 v48, 0
	s_and_saveexec_b64 s[20:21], s[18:19]
	s_cbranch_execz .LBB2_3566
; %bb.3561:                             ;   in Loop: Header=BB2_3559 Depth=2
	v_cmp_ne_u16_e32 vcc, s52, v34
	v_bfrev_b32_e32 v48, 1
	s_and_saveexec_b64 s[92:93], vcc
	s_cbranch_execz .LBB2_3565
; %bb.3562:                             ;   in Loop: Header=BB2_3559 Depth=2
	v_and_b32_e32 v16, 0xffff, v34
	v_and_b32_e32 v2, 0x7f, v16
	v_cmp_ne_u32_e32 vcc, s49, v2
	v_mov_b32_e32 v48, 0x7f800001
	s_and_saveexec_b64 s[94:95], vcc
	s_cbranch_execz .LBB2_3564
; %bb.3563:                             ;   in Loop: Header=BB2_3559 Depth=2
	v_and_b32_e32 v48, 7, v16
	v_lshrrev_b32_e32 v49, 3, v2
	v_cmp_gt_u32_e32 vcc, 8, v2
	v_ffbh_u32_e32 v2, v48
	v_min_u32_e32 v2, 32, v2
	v_subrev_u32_e32 v24, 28, v2
	v_lshlrev_b64 v[24:25], v24, v[16:17]
	v_sub_u32_e32 v2, 29, v2
	v_and_b32_e32 v16, 7, v24
	v_cndmask_b32_e32 v2, v49, v2, vcc
	v_cndmask_b32_e32 v16, v48, v16, vcc
	v_lshlrev_b32_e32 v24, 24, v34
	v_lshlrev_b32_e32 v16, 20, v16
	v_and_b32_e32 v24, 0x80000000, v24
	v_lshl_add_u32 v2, v2, 23, v56
	v_or3_b32 v48, v24, v2, v16
.LBB2_3564:                             ;   in Loop: Header=BB2_3559 Depth=2
	s_or_b64 exec, exec, s[94:95]
.LBB2_3565:                             ;   in Loop: Header=BB2_3559 Depth=2
	s_or_b64 exec, exec, s[92:93]
.LBB2_3566:                             ;   in Loop: Header=BB2_3559 Depth=2
	s_or_b64 exec, exec, s[20:21]
	v_and_b32_e32 v16, 0xff, v17
	v_cmp_ne_u16_e32 vcc, 0, v16
	s_and_saveexec_b64 s[20:21], vcc
	s_cbranch_execz .LBB2_3572
; %bb.3567:                             ;   in Loop: Header=BB2_3559 Depth=2
	v_cmp_ne_u16_e32 vcc, s52, v16
	v_bfrev_b32_e32 v39, 1
	s_and_saveexec_b64 s[92:93], vcc
	s_cbranch_execz .LBB2_3571
; %bb.3568:                             ;   in Loop: Header=BB2_3559 Depth=2
	v_and_b32_e32 v2, 0x7f, v17
	v_cmp_ne_u32_e32 vcc, s49, v2
	v_mov_b32_e32 v39, 0x7f800001
	s_and_saveexec_b64 s[94:95], vcc
	s_cbranch_execz .LBB2_3570
; %bb.3569:                             ;   in Loop: Header=BB2_3559 Depth=2
	v_and_b32_e32 v39, 7, v16
	v_lshrrev_b32_e32 v49, 3, v2
	v_cmp_gt_u32_e32 vcc, 8, v2
	v_ffbh_u32_e32 v2, v39
	v_min_u32_e32 v2, 32, v2
	v_subrev_u32_e32 v24, 28, v2
	v_lshlrev_b64 v[24:25], v24, v[16:17]
	v_sub_u32_e32 v2, 29, v2
	v_and_b32_e32 v16, 7, v24
	v_cndmask_b32_e32 v2, v49, v2, vcc
	v_cndmask_b32_e32 v16, v39, v16, vcc
	v_lshlrev_b32_e32 v24, 24, v17
	v_lshlrev_b32_e32 v16, 20, v16
	v_and_b32_e32 v24, 0x80000000, v24
	v_lshl_add_u32 v2, v2, 23, v56
	v_or3_b32 v39, v24, v2, v16
.LBB2_3570:                             ;   in Loop: Header=BB2_3559 Depth=2
	s_or_b64 exec, exec, s[94:95]
.LBB2_3571:                             ;   in Loop: Header=BB2_3559 Depth=2
	s_or_b64 exec, exec, s[92:93]
.LBB2_3572:                             ;   in Loop: Header=BB2_3559 Depth=2
	s_or_b64 exec, exec, s[20:21]
	v_max_f32_e32 v2, v39, v39
	v_max_f32_e32 v16, v48, v48
	;; [unrolled: 1-line block ×3, first 2 shown]
	s_mov_b64 s[20:21], 0
.LBB2_3573:                             ;   in Loop: Header=BB2_3559 Depth=2
	s_and_b64 vcc, exec, s[20:21]
	s_cbranch_vccz .LBB2_3587
; %bb.3574:                             ;   in Loop: Header=BB2_3559 Depth=2
	v_mov_b32_e32 v39, 0
	v_mov_b32_e32 v48, 0
	s_and_saveexec_b64 s[20:21], s[18:19]
	s_cbranch_execz .LBB2_3580
; %bb.3575:                             ;   in Loop: Header=BB2_3559 Depth=2
	v_cmp_ne_u16_e32 vcc, s52, v34
	v_bfrev_b32_e32 v48, 1
	s_and_saveexec_b64 s[18:19], vcc
	s_cbranch_execz .LBB2_3579
; %bb.3576:                             ;   in Loop: Header=BB2_3559 Depth=2
	v_and_b32_e32 v16, 0xffff, v34
	v_and_b32_e32 v2, 0x7f, v16
	v_cmp_ne_u32_e32 vcc, s49, v2
	v_mov_b32_e32 v48, 0x7f800001
	s_and_saveexec_b64 s[92:93], vcc
	s_cbranch_execz .LBB2_3578
; %bb.3577:                             ;   in Loop: Header=BB2_3559 Depth=2
	v_and_b32_e32 v48, 7, v16
	v_lshrrev_b32_e32 v49, 3, v2
	v_cmp_gt_u32_e32 vcc, 8, v2
	v_ffbh_u32_e32 v2, v48
	v_min_u32_e32 v2, 32, v2
	v_subrev_u32_e32 v24, 28, v2
	v_lshlrev_b64 v[24:25], v24, v[16:17]
	v_sub_u32_e32 v2, 29, v2
	v_and_b32_e32 v16, 7, v24
	v_cndmask_b32_e32 v2, v49, v2, vcc
	v_cndmask_b32_e32 v16, v48, v16, vcc
	v_lshlrev_b32_e32 v24, 24, v34
	v_lshlrev_b32_e32 v16, 20, v16
	v_and_b32_e32 v24, 0x80000000, v24
	v_lshl_add_u32 v2, v2, 23, v56
	v_or3_b32 v48, v24, v2, v16
.LBB2_3578:                             ;   in Loop: Header=BB2_3559 Depth=2
	s_or_b64 exec, exec, s[92:93]
.LBB2_3579:                             ;   in Loop: Header=BB2_3559 Depth=2
	s_or_b64 exec, exec, s[18:19]
.LBB2_3580:                             ;   in Loop: Header=BB2_3559 Depth=2
	s_or_b64 exec, exec, s[20:21]
	v_and_b32_e32 v16, 0xff, v17
	v_cmp_ne_u16_e32 vcc, 0, v16
	s_and_saveexec_b64 s[18:19], vcc
	s_cbranch_execz .LBB2_3586
; %bb.3581:                             ;   in Loop: Header=BB2_3559 Depth=2
	v_cmp_ne_u16_e32 vcc, s52, v16
	v_bfrev_b32_e32 v39, 1
	s_and_saveexec_b64 s[20:21], vcc
	s_cbranch_execz .LBB2_3585
; %bb.3582:                             ;   in Loop: Header=BB2_3559 Depth=2
	v_and_b32_e32 v2, 0x7f, v17
	v_cmp_ne_u32_e32 vcc, s49, v2
	v_mov_b32_e32 v39, 0x7f800001
	s_and_saveexec_b64 s[92:93], vcc
	s_cbranch_execz .LBB2_3584
; %bb.3583:                             ;   in Loop: Header=BB2_3559 Depth=2
	v_and_b32_e32 v34, 7, v16
	v_lshrrev_b32_e32 v39, 3, v2
	v_cmp_gt_u32_e32 vcc, 8, v2
	v_ffbh_u32_e32 v2, v34
	v_min_u32_e32 v2, 32, v2
	v_subrev_u32_e32 v24, 28, v2
	v_lshlrev_b64 v[24:25], v24, v[16:17]
	v_sub_u32_e32 v2, 29, v2
	v_and_b32_e32 v16, 7, v24
	v_cndmask_b32_e32 v2, v39, v2, vcc
	v_cndmask_b32_e32 v16, v34, v16, vcc
	v_lshlrev_b32_e32 v17, 24, v17
	v_lshlrev_b32_e32 v16, 20, v16
	v_and_b32_e32 v17, 0x80000000, v17
	v_lshl_add_u32 v2, v2, 23, v56
	v_or3_b32 v39, v17, v2, v16
.LBB2_3584:                             ;   in Loop: Header=BB2_3559 Depth=2
	s_or_b64 exec, exec, s[92:93]
.LBB2_3585:                             ;   in Loop: Header=BB2_3559 Depth=2
	s_or_b64 exec, exec, s[20:21]
.LBB2_3586:                             ;   in Loop: Header=BB2_3559 Depth=2
	s_or_b64 exec, exec, s[18:19]
	v_max_f32_e32 v2, v39, v39
	v_max_f32_e32 v16, v48, v48
	v_min_f32_e32 v16, v16, v2
.LBB2_3587:                             ;   in Loop: Header=BB2_3559 Depth=2
	v_and_b32_e32 v34, 0x7f800000, v16
	v_cmp_ne_u64_e32 vcc, s[62:63], v[34:35]
                                        ; implicit-def: $vgpr39
	s_and_saveexec_b64 s[18:19], vcc
	s_xor_b64 s[20:21], exec, s[18:19]
	s_cbranch_execz .LBB2_3605
; %bb.3588:                             ;   in Loop: Header=BB2_3559 Depth=2
	v_and_b32_e32 v34, 0x7fffffff, v16
	v_cmp_gt_u64_e32 vcc, s[72:73], v[34:35]
	v_and_b32_sdwa v43, v16, s52 dst_sel:DWORD dst_unused:UNUSED_PAD src0_sel:BYTE_3 src1_sel:DWORD
                                        ; implicit-def: $vgpr39
	s_and_saveexec_b64 s[18:19], vcc
	s_xor_b64 s[92:93], exec, s[18:19]
	s_cbranch_execz .LBB2_3602
; %bb.3589:                             ;   in Loop: Header=BB2_3559 Depth=2
	v_cmp_ne_u32_e32 vcc, 0, v16
	v_mov_b32_e32 v39, 0
	s_and_saveexec_b64 s[94:95], vcc
	s_cbranch_execz .LBB2_3601
; %bb.3590:                             ;   in Loop: Header=BB2_3559 Depth=2
	v_bfe_u32 v39, v16, 23, 8
	v_cmp_gt_u32_e64 s[18:19], s53, v39
	v_sub_u32_e32 v2, 0x79, v39
	v_and_b32_e32 v17, 0x7fffff, v16
	v_cmp_eq_u32_e32 vcc, 0, v39
	v_cndmask_b32_e64 v2, 0, v2, s[18:19]
	v_or_b32_e32 v16, 0x800000, v17
	v_cndmask_b32_e32 v2, v2, v60, vcc
	v_cndmask_b32_e32 v34, v16, v17, vcc
	v_add_u32_e32 v16, 20, v2
	v_lshlrev_b64 v[16:17], v16, -1
	v_add_u32_e32 v24, 19, v2
	v_lshlrev_b64 v[24:25], v24, 1
	v_bfi_b32 v17, v17, 0, 0
	v_bfi_b32 v16, v16, 0, v34
	v_cmp_eq_u64_e64 s[18:19], v[16:17], v[24:25]
	v_lshrrev_b64 v[16:17], v2, v[34:35]
	v_mov_b32_e32 v49, v17
	v_mov_b32_e32 v48, v16
	s_and_saveexec_b64 s[30:31], s[18:19]
; %bb.3591:                             ;   in Loop: Header=BB2_3559 Depth=2
	v_bfe_u32 v17, v16, 20, 1
	v_add_co_u32_e64 v17, s[18:19], v16, v17
	v_add_co_u32_e64 v48, s[18:19], -1, v17
; %bb.3592:                             ;   in Loop: Header=BB2_3559 Depth=2
	s_or_b64 exec, exec, s[30:31]
	v_add_u32_e32 v17, 0xffffff81, v39
	v_cndmask_b32_e32 v17, v17, v61, vcc
	v_lshrrev_b32_e32 v24, 23, v16
	v_add3_u32 v39, v2, v17, v24
	v_add_u32_e32 v2, 6, v39
	v_and_b32_e32 v17, 0xfffff, v48
	v_add_u32_e32 v34, v17, v16
	v_cmp_ne_u32_e32 vcc, 0, v2
                                        ; implicit-def: $vgpr16_vgpr17
                                        ; implicit-def: $vgpr48
	s_and_saveexec_b64 s[18:19], vcc
	s_xor_b64 s[18:19], exec, s[18:19]
; %bb.3593:                             ;   in Loop: Header=BB2_3559 Depth=2
	v_cmp_lt_u64_e32 vcc, s[74:75], v[34:35]
	v_add_u32_e32 v16, 7, v39
	v_cndmask_b32_e32 v48, v2, v16, vcc
	v_cndmask_b32_e64 v2, 0, 1, vcc
	v_lshrrev_b64 v[16:17], v2, v[34:35]
; %bb.3594:                             ;   in Loop: Header=BB2_3559 Depth=2
	s_andn2_saveexec_b64 s[18:19], s[18:19]
; %bb.3595:                             ;   in Loop: Header=BB2_3559 Depth=2
	v_mov_b32_e32 v16, v34
	v_bfe_u32 v48, v34, 23, 1
	v_mov_b32_e32 v17, v35
; %bb.3596:                             ;   in Loop: Header=BB2_3559 Depth=2
	s_or_b64 exec, exec, s[18:19]
	v_lshrrev_b64 v[16:17], 20, v[16:17]
	v_cmp_gt_i32_e32 vcc, 16, v48
	v_cndmask_b32_e32 v17, 0, v17, vcc
	v_cndmask_b32_e32 v16, 7, v16, vcc
	v_cmp_ne_u64_e32 vcc, 0, v[16:17]
	v_cmp_ne_u32_e64 s[18:19], 0, v48
	s_or_b64 s[18:19], s[18:19], vcc
                                        ; implicit-def: $vgpr39
	s_and_saveexec_b64 vcc, s[18:19]
	s_xor_b64 s[18:19], exec, vcc
; %bb.3597:                             ;   in Loop: Header=BB2_3559 Depth=2
	v_min_i32_e32 v2, 15, v48
	v_lshl_or_b32 v2, v2, 3, v43
	v_and_or_b32 v39, v16, 7, v2
                                        ; implicit-def: $vgpr43
; %bb.3598:                             ;   in Loop: Header=BB2_3559 Depth=2
	s_andn2_saveexec_b64 s[18:19], s[18:19]
; %bb.3599:                             ;   in Loop: Header=BB2_3559 Depth=2
	v_mov_b32_e32 v39, v43
; %bb.3600:                             ;   in Loop: Header=BB2_3559 Depth=2
	s_or_b64 exec, exec, s[18:19]
.LBB2_3601:                             ;   in Loop: Header=BB2_3559 Depth=2
	s_or_b64 exec, exec, s[94:95]
                                        ; implicit-def: $vgpr43
.LBB2_3602:                             ;   in Loop: Header=BB2_3559 Depth=2
	s_andn2_saveexec_b64 s[18:19], s[92:93]
; %bb.3603:                             ;   in Loop: Header=BB2_3559 Depth=2
	v_or_b32_e32 v39, 0x7e, v43
; %bb.3604:                             ;   in Loop: Header=BB2_3559 Depth=2
	s_or_b64 exec, exec, s[18:19]
                                        ; implicit-def: $vgpr16
.LBB2_3605:                             ;   in Loop: Header=BB2_3559 Depth=2
	s_andn2_saveexec_b64 s[18:19], s[20:21]
; %bb.3606:                             ;   in Loop: Header=BB2_3559 Depth=2
	v_or_b32_sdwa v39, v16, s49 dst_sel:DWORD dst_unused:UNUSED_PAD src0_sel:BYTE_3 src1_sel:DWORD
; %bb.3607:                             ;   in Loop: Header=BB2_3559 Depth=2
	s_or_b64 exec, exec, s[18:19]
	v_and_b32_e32 v16, 0xff, v42
	v_cndmask_b32_e64 v2, 0, 1, s[26:27]
	v_cmp_ne_u16_e64 s[20:21], 0, v16
	v_cmp_ne_u32_e64 s[18:19], 1, v2
	s_andn2_b64 vcc, exec, s[26:27]
	s_mov_b64 s[92:93], -1
                                        ; implicit-def: $vgpr17
	s_cbranch_vccnz .LBB2_3621
; %bb.3608:                             ;   in Loop: Header=BB2_3559 Depth=2
	v_mov_b32_e32 v48, 0
	v_mov_b32_e32 v34, 0
	s_and_saveexec_b64 s[92:93], s[20:21]
	s_cbranch_execz .LBB2_3614
; %bb.3609:                             ;   in Loop: Header=BB2_3559 Depth=2
	v_cmp_ne_u16_e32 vcc, s52, v16
	v_bfrev_b32_e32 v34, 1
	s_and_saveexec_b64 s[94:95], vcc
	s_cbranch_execz .LBB2_3613
; %bb.3610:                             ;   in Loop: Header=BB2_3559 Depth=2
	v_and_b32_e32 v2, 0x7f, v42
	v_cmp_ne_u32_e32 vcc, s49, v2
	v_mov_b32_e32 v34, 0x7f800001
	s_and_saveexec_b64 s[30:31], vcc
	s_cbranch_execz .LBB2_3612
; %bb.3611:                             ;   in Loop: Header=BB2_3559 Depth=2
	v_and_b32_e32 v17, 7, v16
	v_lshrrev_b32_e32 v34, 3, v2
	v_cmp_gt_u32_e32 vcc, 8, v2
	v_ffbh_u32_e32 v2, v17
	v_min_u32_e32 v2, 32, v2
	v_subrev_u32_e32 v24, 28, v2
	v_lshlrev_b64 v[24:25], v24, v[16:17]
	v_sub_u32_e32 v2, 29, v2
	v_and_b32_e32 v24, 7, v24
	v_cndmask_b32_e32 v2, v34, v2, vcc
	v_cndmask_b32_e32 v17, v17, v24, vcc
	v_lshlrev_b32_e32 v24, 24, v42
	v_lshlrev_b32_e32 v17, 20, v17
	v_and_b32_e32 v24, 0x80000000, v24
	v_lshl_add_u32 v2, v2, 23, v56
	v_or3_b32 v34, v24, v2, v17
.LBB2_3612:                             ;   in Loop: Header=BB2_3559 Depth=2
	s_or_b64 exec, exec, s[30:31]
.LBB2_3613:                             ;   in Loop: Header=BB2_3559 Depth=2
	s_or_b64 exec, exec, s[94:95]
.LBB2_3614:                             ;   in Loop: Header=BB2_3559 Depth=2
	s_or_b64 exec, exec, s[92:93]
	v_and_b32_e32 v17, 0xff, v51
	v_cmp_ne_u16_e32 vcc, 0, v17
	s_and_saveexec_b64 s[92:93], vcc
	s_cbranch_execz .LBB2_3620
; %bb.3615:                             ;   in Loop: Header=BB2_3559 Depth=2
	v_cmp_ne_u16_e32 vcc, s52, v17
	v_bfrev_b32_e32 v48, 1
	s_and_saveexec_b64 s[94:95], vcc
	s_cbranch_execz .LBB2_3619
; %bb.3616:                             ;   in Loop: Header=BB2_3559 Depth=2
	v_and_b32_e32 v2, 0x7f, v51
	v_cmp_ne_u32_e32 vcc, s49, v2
	v_mov_b32_e32 v48, 0x7f800001
	s_and_saveexec_b64 s[30:31], vcc
	s_cbranch_execz .LBB2_3618
; %bb.3617:                             ;   in Loop: Header=BB2_3559 Depth=2
	v_and_b32_e32 v48, 7, v17
	v_lshrrev_b32_e32 v49, 3, v2
	v_cmp_gt_u32_e32 vcc, 8, v2
	v_ffbh_u32_e32 v2, v48
	v_min_u32_e32 v2, 32, v2
	v_subrev_u32_e32 v24, 28, v2
	v_lshlrev_b64 v[24:25], v24, v[17:18]
	v_sub_u32_e32 v2, 29, v2
	v_and_b32_e32 v17, 7, v24
	v_cndmask_b32_e32 v2, v49, v2, vcc
	v_cndmask_b32_e32 v17, v48, v17, vcc
	v_lshlrev_b32_e32 v24, 24, v51
	v_lshlrev_b32_e32 v17, 20, v17
	v_and_b32_e32 v24, 0x80000000, v24
	v_lshl_add_u32 v2, v2, 23, v56
	v_or3_b32 v48, v24, v2, v17
.LBB2_3618:                             ;   in Loop: Header=BB2_3559 Depth=2
	s_or_b64 exec, exec, s[30:31]
.LBB2_3619:                             ;   in Loop: Header=BB2_3559 Depth=2
	s_or_b64 exec, exec, s[94:95]
.LBB2_3620:                             ;   in Loop: Header=BB2_3559 Depth=2
	s_or_b64 exec, exec, s[92:93]
	v_max_f32_e32 v2, v48, v48
	v_max_f32_e32 v17, v34, v34
	;; [unrolled: 1-line block ×3, first 2 shown]
	s_mov_b64 s[92:93], 0
.LBB2_3621:                             ;   in Loop: Header=BB2_3559 Depth=2
	s_and_b64 vcc, exec, s[92:93]
	s_cbranch_vccz .LBB2_3635
; %bb.3622:                             ;   in Loop: Header=BB2_3559 Depth=2
	v_mov_b32_e32 v34, 0
	v_mov_b32_e32 v17, 0
	s_and_saveexec_b64 s[92:93], s[20:21]
	s_cbranch_execz .LBB2_3628
; %bb.3623:                             ;   in Loop: Header=BB2_3559 Depth=2
	v_cmp_ne_u16_e32 vcc, s52, v16
	v_bfrev_b32_e32 v17, 1
	s_and_saveexec_b64 s[20:21], vcc
	s_cbranch_execz .LBB2_3627
; %bb.3624:                             ;   in Loop: Header=BB2_3559 Depth=2
	v_and_b32_e32 v2, 0x7f, v42
	v_cmp_ne_u32_e32 vcc, s49, v2
	v_mov_b32_e32 v17, 0x7f800001
	s_and_saveexec_b64 s[94:95], vcc
	s_cbranch_execz .LBB2_3626
; %bb.3625:                             ;   in Loop: Header=BB2_3559 Depth=2
	v_and_b32_e32 v24, 7, v16
	v_lshrrev_b32_e32 v25, 3, v2
	v_cmp_gt_u32_e32 vcc, 8, v2
	v_ffbh_u32_e32 v2, v24
	v_min_u32_e32 v2, 32, v2
	v_subrev_u32_e32 v17, 28, v2
	v_lshlrev_b64 v[16:17], v17, v[16:17]
	v_sub_u32_e32 v2, 29, v2
	v_and_b32_e32 v16, 7, v16
	v_cndmask_b32_e32 v2, v25, v2, vcc
	v_cndmask_b32_e32 v16, v24, v16, vcc
	v_lshlrev_b32_e32 v17, 24, v42
	v_lshlrev_b32_e32 v16, 20, v16
	v_and_b32_e32 v17, 0x80000000, v17
	v_lshl_add_u32 v2, v2, 23, v56
	v_or3_b32 v17, v17, v2, v16
.LBB2_3626:                             ;   in Loop: Header=BB2_3559 Depth=2
	s_or_b64 exec, exec, s[94:95]
.LBB2_3627:                             ;   in Loop: Header=BB2_3559 Depth=2
	s_or_b64 exec, exec, s[20:21]
.LBB2_3628:                             ;   in Loop: Header=BB2_3559 Depth=2
	s_or_b64 exec, exec, s[92:93]
	v_and_b32_e32 v16, 0xff, v51
	v_cmp_ne_u16_e32 vcc, 0, v16
	s_and_saveexec_b64 s[20:21], vcc
	s_cbranch_execz .LBB2_3634
; %bb.3629:                             ;   in Loop: Header=BB2_3559 Depth=2
	v_cmp_ne_u16_e32 vcc, s52, v16
	v_bfrev_b32_e32 v34, 1
	s_and_saveexec_b64 s[92:93], vcc
	s_cbranch_execz .LBB2_3633
; %bb.3630:                             ;   in Loop: Header=BB2_3559 Depth=2
	v_and_b32_e32 v2, 0x7f, v51
	v_cmp_ne_u32_e32 vcc, s49, v2
	v_mov_b32_e32 v34, 0x7f800001
	s_and_saveexec_b64 s[94:95], vcc
	s_cbranch_execz .LBB2_3632
; %bb.3631:                             ;   in Loop: Header=BB2_3559 Depth=2
	v_and_b32_e32 v34, 7, v16
	v_lshrrev_b32_e32 v48, 3, v2
	v_cmp_gt_u32_e32 vcc, 8, v2
	v_ffbh_u32_e32 v2, v34
	v_min_u32_e32 v2, 32, v2
	v_subrev_u32_e32 v24, 28, v2
	v_lshlrev_b64 v[24:25], v24, v[16:17]
	v_sub_u32_e32 v2, 29, v2
	v_and_b32_e32 v16, 7, v24
	v_cndmask_b32_e32 v2, v48, v2, vcc
	v_cndmask_b32_e32 v16, v34, v16, vcc
	v_lshlrev_b32_e32 v24, 24, v51
	v_lshlrev_b32_e32 v16, 20, v16
	v_and_b32_e32 v24, 0x80000000, v24
	v_lshl_add_u32 v2, v2, 23, v56
	v_or3_b32 v34, v24, v2, v16
.LBB2_3632:                             ;   in Loop: Header=BB2_3559 Depth=2
	s_or_b64 exec, exec, s[94:95]
.LBB2_3633:                             ;   in Loop: Header=BB2_3559 Depth=2
	s_or_b64 exec, exec, s[92:93]
.LBB2_3634:                             ;   in Loop: Header=BB2_3559 Depth=2
	s_or_b64 exec, exec, s[20:21]
	v_max_f32_e32 v2, v34, v34
	v_max_f32_e32 v16, v17, v17
	v_min_f32_e32 v17, v16, v2
.LBB2_3635:                             ;   in Loop: Header=BB2_3559 Depth=2
	v_and_b32_e32 v34, 0x7f800000, v17
	v_cmp_ne_u64_e32 vcc, s[62:63], v[34:35]
                                        ; implicit-def: $vgpr51
	s_and_saveexec_b64 s[20:21], vcc
	s_xor_b64 s[92:93], exec, s[20:21]
	s_cbranch_execz .LBB2_3653
; %bb.3636:                             ;   in Loop: Header=BB2_3559 Depth=2
	v_and_b32_e32 v34, 0x7fffffff, v17
	v_cmp_gt_u64_e32 vcc, s[72:73], v[34:35]
	v_and_b32_sdwa v42, v17, s52 dst_sel:DWORD dst_unused:UNUSED_PAD src0_sel:BYTE_3 src1_sel:DWORD
                                        ; implicit-def: $vgpr51
	s_and_saveexec_b64 s[20:21], vcc
	s_xor_b64 s[94:95], exec, s[20:21]
	s_cbranch_execz .LBB2_3650
; %bb.3637:                             ;   in Loop: Header=BB2_3559 Depth=2
	v_cmp_ne_u32_e32 vcc, 0, v17
	v_mov_b32_e32 v51, 0
	s_and_saveexec_b64 s[30:31], vcc
	s_cbranch_execz .LBB2_3649
; %bb.3638:                             ;   in Loop: Header=BB2_3559 Depth=2
	v_bfe_u32 v51, v17, 23, 8
	v_cmp_gt_u32_e64 s[20:21], s53, v51
	v_sub_u32_e32 v2, 0x79, v51
	v_and_b32_e32 v16, 0x7fffff, v17
	v_cmp_eq_u32_e32 vcc, 0, v51
	v_cndmask_b32_e64 v2, 0, v2, s[20:21]
	v_or_b32_e32 v17, 0x800000, v16
	v_cndmask_b32_e32 v2, v2, v60, vcc
	v_cndmask_b32_e32 v34, v17, v16, vcc
	v_add_u32_e32 v16, 20, v2
	v_lshlrev_b64 v[16:17], v16, -1
	v_add_u32_e32 v24, 19, v2
	v_lshlrev_b64 v[24:25], v24, 1
	v_bfi_b32 v17, v17, 0, 0
	v_bfi_b32 v16, v16, 0, v34
	v_cmp_eq_u64_e64 s[20:21], v[16:17], v[24:25]
	v_lshrrev_b64 v[16:17], v2, v[34:35]
	v_mov_b32_e32 v49, v17
	v_mov_b32_e32 v48, v16
	s_and_saveexec_b64 s[34:35], s[20:21]
; %bb.3639:                             ;   in Loop: Header=BB2_3559 Depth=2
	v_bfe_u32 v17, v16, 20, 1
	v_add_co_u32_e64 v17, s[20:21], v16, v17
	v_add_co_u32_e64 v48, s[20:21], -1, v17
; %bb.3640:                             ;   in Loop: Header=BB2_3559 Depth=2
	s_or_b64 exec, exec, s[34:35]
	v_add_u32_e32 v17, 0xffffff81, v51
	v_cndmask_b32_e32 v17, v17, v61, vcc
	v_lshrrev_b32_e32 v24, 23, v16
	v_add3_u32 v49, v2, v17, v24
	v_add_u32_e32 v2, 6, v49
	v_and_b32_e32 v17, 0xfffff, v48
	v_add_u32_e32 v34, v17, v16
	v_cmp_ne_u32_e32 vcc, 0, v2
                                        ; implicit-def: $vgpr16_vgpr17
                                        ; implicit-def: $vgpr48
	s_and_saveexec_b64 s[20:21], vcc
	s_xor_b64 s[20:21], exec, s[20:21]
; %bb.3641:                             ;   in Loop: Header=BB2_3559 Depth=2
	v_cmp_lt_u64_e32 vcc, s[74:75], v[34:35]
	v_add_u32_e32 v16, 7, v49
	v_cndmask_b32_e32 v48, v2, v16, vcc
	v_cndmask_b32_e64 v2, 0, 1, vcc
	v_lshrrev_b64 v[16:17], v2, v[34:35]
; %bb.3642:                             ;   in Loop: Header=BB2_3559 Depth=2
	s_andn2_saveexec_b64 s[20:21], s[20:21]
; %bb.3643:                             ;   in Loop: Header=BB2_3559 Depth=2
	v_mov_b32_e32 v16, v34
	v_bfe_u32 v48, v34, 23, 1
	v_mov_b32_e32 v17, v35
; %bb.3644:                             ;   in Loop: Header=BB2_3559 Depth=2
	s_or_b64 exec, exec, s[20:21]
	v_lshrrev_b64 v[16:17], 20, v[16:17]
	v_cmp_gt_i32_e32 vcc, 16, v48
	v_cndmask_b32_e32 v17, 0, v17, vcc
	v_cndmask_b32_e32 v16, 7, v16, vcc
	v_cmp_ne_u64_e32 vcc, 0, v[16:17]
	v_cmp_ne_u32_e64 s[20:21], 0, v48
	s_or_b64 s[20:21], s[20:21], vcc
                                        ; implicit-def: $vgpr51
	s_and_saveexec_b64 vcc, s[20:21]
	s_xor_b64 s[20:21], exec, vcc
; %bb.3645:                             ;   in Loop: Header=BB2_3559 Depth=2
	v_min_i32_e32 v2, 15, v48
	v_lshl_or_b32 v2, v2, 3, v42
	v_and_or_b32 v51, v16, 7, v2
                                        ; implicit-def: $vgpr42
; %bb.3646:                             ;   in Loop: Header=BB2_3559 Depth=2
	s_andn2_saveexec_b64 s[20:21], s[20:21]
; %bb.3647:                             ;   in Loop: Header=BB2_3559 Depth=2
	v_mov_b32_e32 v51, v42
; %bb.3648:                             ;   in Loop: Header=BB2_3559 Depth=2
	s_or_b64 exec, exec, s[20:21]
.LBB2_3649:                             ;   in Loop: Header=BB2_3559 Depth=2
	s_or_b64 exec, exec, s[30:31]
                                        ; implicit-def: $vgpr42
.LBB2_3650:                             ;   in Loop: Header=BB2_3559 Depth=2
	s_andn2_saveexec_b64 s[20:21], s[94:95]
; %bb.3651:                             ;   in Loop: Header=BB2_3559 Depth=2
	v_or_b32_e32 v51, 0x7e, v42
; %bb.3652:                             ;   in Loop: Header=BB2_3559 Depth=2
	s_or_b64 exec, exec, s[20:21]
                                        ; implicit-def: $vgpr17
.LBB2_3653:                             ;   in Loop: Header=BB2_3559 Depth=2
	s_andn2_saveexec_b64 s[20:21], s[92:93]
; %bb.3654:                             ;   in Loop: Header=BB2_3559 Depth=2
	v_or_b32_sdwa v51, v17, s49 dst_sel:DWORD dst_unused:UNUSED_PAD src0_sel:BYTE_3 src1_sel:DWORD
; %bb.3655:                             ;   in Loop: Header=BB2_3559 Depth=2
	s_or_b64 exec, exec, s[20:21]
	v_and_b32_e32 v16, 0xff, v41
	v_cmp_ne_u16_e64 s[20:21], 0, v16
	s_and_b64 vcc, exec, s[18:19]
	s_mov_b64 s[92:93], -1
                                        ; implicit-def: $vgpr17
	s_cbranch_vccnz .LBB2_3669
; %bb.3656:                             ;   in Loop: Header=BB2_3559 Depth=2
	v_mov_b32_e32 v48, 0
	v_mov_b32_e32 v34, 0
	s_and_saveexec_b64 s[92:93], s[20:21]
	s_cbranch_execz .LBB2_3662
; %bb.3657:                             ;   in Loop: Header=BB2_3559 Depth=2
	v_cmp_ne_u16_e32 vcc, s52, v16
	v_bfrev_b32_e32 v34, 1
	s_and_saveexec_b64 s[94:95], vcc
	s_cbranch_execz .LBB2_3661
; %bb.3658:                             ;   in Loop: Header=BB2_3559 Depth=2
	v_and_b32_e32 v2, 0x7f, v41
	v_cmp_ne_u32_e32 vcc, s49, v2
	v_mov_b32_e32 v34, 0x7f800001
	s_and_saveexec_b64 s[30:31], vcc
	s_cbranch_execz .LBB2_3660
; %bb.3659:                             ;   in Loop: Header=BB2_3559 Depth=2
	v_and_b32_e32 v17, 7, v16
	v_lshrrev_b32_e32 v34, 3, v2
	v_cmp_gt_u32_e32 vcc, 8, v2
	v_ffbh_u32_e32 v2, v17
	v_min_u32_e32 v2, 32, v2
	v_subrev_u32_e32 v24, 28, v2
	v_lshlrev_b64 v[24:25], v24, v[16:17]
	v_sub_u32_e32 v2, 29, v2
	v_and_b32_e32 v24, 7, v24
	v_cndmask_b32_e32 v2, v34, v2, vcc
	v_cndmask_b32_e32 v17, v17, v24, vcc
	v_lshlrev_b32_e32 v24, 24, v41
	v_lshlrev_b32_e32 v17, 20, v17
	v_and_b32_e32 v24, 0x80000000, v24
	v_lshl_add_u32 v2, v2, 23, v56
	v_or3_b32 v34, v24, v2, v17
.LBB2_3660:                             ;   in Loop: Header=BB2_3559 Depth=2
	s_or_b64 exec, exec, s[30:31]
.LBB2_3661:                             ;   in Loop: Header=BB2_3559 Depth=2
	s_or_b64 exec, exec, s[94:95]
.LBB2_3662:                             ;   in Loop: Header=BB2_3559 Depth=2
	s_or_b64 exec, exec, s[92:93]
	v_and_b32_e32 v17, 0xff, v52
	v_cmp_ne_u16_e32 vcc, 0, v17
	s_and_saveexec_b64 s[92:93], vcc
	s_cbranch_execz .LBB2_3668
; %bb.3663:                             ;   in Loop: Header=BB2_3559 Depth=2
	v_cmp_ne_u16_e32 vcc, s52, v17
	v_bfrev_b32_e32 v48, 1
	s_and_saveexec_b64 s[94:95], vcc
	s_cbranch_execz .LBB2_3667
; %bb.3664:                             ;   in Loop: Header=BB2_3559 Depth=2
	v_and_b32_e32 v2, 0x7f, v52
	v_cmp_ne_u32_e32 vcc, s49, v2
	v_mov_b32_e32 v48, 0x7f800001
	s_and_saveexec_b64 s[30:31], vcc
	s_cbranch_execz .LBB2_3666
; %bb.3665:                             ;   in Loop: Header=BB2_3559 Depth=2
	v_and_b32_e32 v48, 7, v17
	v_lshrrev_b32_e32 v49, 3, v2
	v_cmp_gt_u32_e32 vcc, 8, v2
	v_ffbh_u32_e32 v2, v48
	v_min_u32_e32 v2, 32, v2
	v_subrev_u32_e32 v24, 28, v2
	v_lshlrev_b64 v[24:25], v24, v[17:18]
	v_sub_u32_e32 v2, 29, v2
	v_and_b32_e32 v17, 7, v24
	v_cndmask_b32_e32 v2, v49, v2, vcc
	v_cndmask_b32_e32 v17, v48, v17, vcc
	v_lshlrev_b32_e32 v24, 24, v52
	v_lshlrev_b32_e32 v17, 20, v17
	v_and_b32_e32 v24, 0x80000000, v24
	v_lshl_add_u32 v2, v2, 23, v56
	v_or3_b32 v48, v24, v2, v17
.LBB2_3666:                             ;   in Loop: Header=BB2_3559 Depth=2
	s_or_b64 exec, exec, s[30:31]
.LBB2_3667:                             ;   in Loop: Header=BB2_3559 Depth=2
	s_or_b64 exec, exec, s[94:95]
.LBB2_3668:                             ;   in Loop: Header=BB2_3559 Depth=2
	s_or_b64 exec, exec, s[92:93]
	v_max_f32_e32 v2, v48, v48
	v_max_f32_e32 v17, v34, v34
	v_max_f32_e32 v17, v17, v2
	s_mov_b64 s[92:93], 0
.LBB2_3669:                             ;   in Loop: Header=BB2_3559 Depth=2
	s_and_b64 vcc, exec, s[92:93]
	s_cbranch_vccz .LBB2_3683
; %bb.3670:                             ;   in Loop: Header=BB2_3559 Depth=2
	v_mov_b32_e32 v34, 0
	v_mov_b32_e32 v17, 0
	s_and_saveexec_b64 s[92:93], s[20:21]
	s_cbranch_execz .LBB2_3676
; %bb.3671:                             ;   in Loop: Header=BB2_3559 Depth=2
	v_cmp_ne_u16_e32 vcc, s52, v16
	v_bfrev_b32_e32 v17, 1
	s_and_saveexec_b64 s[20:21], vcc
	s_cbranch_execz .LBB2_3675
; %bb.3672:                             ;   in Loop: Header=BB2_3559 Depth=2
	v_and_b32_e32 v2, 0x7f, v41
	v_cmp_ne_u32_e32 vcc, s49, v2
	v_mov_b32_e32 v17, 0x7f800001
	s_and_saveexec_b64 s[94:95], vcc
	s_cbranch_execz .LBB2_3674
; %bb.3673:                             ;   in Loop: Header=BB2_3559 Depth=2
	v_and_b32_e32 v24, 7, v16
	v_lshrrev_b32_e32 v25, 3, v2
	v_cmp_gt_u32_e32 vcc, 8, v2
	v_ffbh_u32_e32 v2, v24
	v_min_u32_e32 v2, 32, v2
	v_subrev_u32_e32 v17, 28, v2
	v_lshlrev_b64 v[16:17], v17, v[16:17]
	v_sub_u32_e32 v2, 29, v2
	v_and_b32_e32 v16, 7, v16
	v_cndmask_b32_e32 v2, v25, v2, vcc
	v_cndmask_b32_e32 v16, v24, v16, vcc
	v_lshlrev_b32_e32 v17, 24, v41
	v_lshlrev_b32_e32 v16, 20, v16
	v_and_b32_e32 v17, 0x80000000, v17
	v_lshl_add_u32 v2, v2, 23, v56
	v_or3_b32 v17, v17, v2, v16
.LBB2_3674:                             ;   in Loop: Header=BB2_3559 Depth=2
	s_or_b64 exec, exec, s[94:95]
.LBB2_3675:                             ;   in Loop: Header=BB2_3559 Depth=2
	s_or_b64 exec, exec, s[20:21]
.LBB2_3676:                             ;   in Loop: Header=BB2_3559 Depth=2
	s_or_b64 exec, exec, s[92:93]
	v_and_b32_e32 v16, 0xff, v52
	v_cmp_ne_u16_e32 vcc, 0, v16
	s_and_saveexec_b64 s[20:21], vcc
	s_cbranch_execz .LBB2_3682
; %bb.3677:                             ;   in Loop: Header=BB2_3559 Depth=2
	v_cmp_ne_u16_e32 vcc, s52, v16
	v_bfrev_b32_e32 v34, 1
	s_and_saveexec_b64 s[92:93], vcc
	s_cbranch_execz .LBB2_3681
; %bb.3678:                             ;   in Loop: Header=BB2_3559 Depth=2
	v_and_b32_e32 v2, 0x7f, v52
	v_cmp_ne_u32_e32 vcc, s49, v2
	v_mov_b32_e32 v34, 0x7f800001
	s_and_saveexec_b64 s[94:95], vcc
	s_cbranch_execz .LBB2_3680
; %bb.3679:                             ;   in Loop: Header=BB2_3559 Depth=2
	v_and_b32_e32 v34, 7, v16
	v_lshrrev_b32_e32 v48, 3, v2
	v_cmp_gt_u32_e32 vcc, 8, v2
	v_ffbh_u32_e32 v2, v34
	v_min_u32_e32 v2, 32, v2
	v_subrev_u32_e32 v24, 28, v2
	v_lshlrev_b64 v[24:25], v24, v[16:17]
	v_sub_u32_e32 v2, 29, v2
	v_and_b32_e32 v16, 7, v24
	v_cndmask_b32_e32 v2, v48, v2, vcc
	v_cndmask_b32_e32 v16, v34, v16, vcc
	v_lshlrev_b32_e32 v24, 24, v52
	v_lshlrev_b32_e32 v16, 20, v16
	v_and_b32_e32 v24, 0x80000000, v24
	v_lshl_add_u32 v2, v2, 23, v56
	v_or3_b32 v34, v24, v2, v16
.LBB2_3680:                             ;   in Loop: Header=BB2_3559 Depth=2
	s_or_b64 exec, exec, s[94:95]
.LBB2_3681:                             ;   in Loop: Header=BB2_3559 Depth=2
	s_or_b64 exec, exec, s[92:93]
.LBB2_3682:                             ;   in Loop: Header=BB2_3559 Depth=2
	s_or_b64 exec, exec, s[20:21]
	v_max_f32_e32 v2, v34, v34
	v_max_f32_e32 v16, v17, v17
	v_min_f32_e32 v17, v16, v2
.LBB2_3683:                             ;   in Loop: Header=BB2_3559 Depth=2
	v_and_b32_e32 v34, 0x7f800000, v17
	v_cmp_ne_u64_e32 vcc, s[62:63], v[34:35]
                                        ; implicit-def: $vgpr52
	s_and_saveexec_b64 s[20:21], vcc
	s_xor_b64 s[92:93], exec, s[20:21]
	s_cbranch_execz .LBB2_3701
; %bb.3684:                             ;   in Loop: Header=BB2_3559 Depth=2
	v_and_b32_e32 v34, 0x7fffffff, v17
	v_cmp_gt_u64_e32 vcc, s[72:73], v[34:35]
	v_and_b32_sdwa v41, v17, s52 dst_sel:DWORD dst_unused:UNUSED_PAD src0_sel:BYTE_3 src1_sel:DWORD
                                        ; implicit-def: $vgpr52
	s_and_saveexec_b64 s[20:21], vcc
	s_xor_b64 s[94:95], exec, s[20:21]
	s_cbranch_execz .LBB2_3698
; %bb.3685:                             ;   in Loop: Header=BB2_3559 Depth=2
	v_cmp_ne_u32_e32 vcc, 0, v17
	v_mov_b32_e32 v52, 0
	s_and_saveexec_b64 s[30:31], vcc
	s_cbranch_execz .LBB2_3697
; %bb.3686:                             ;   in Loop: Header=BB2_3559 Depth=2
	v_bfe_u32 v52, v17, 23, 8
	v_cmp_gt_u32_e64 s[20:21], s53, v52
	v_sub_u32_e32 v2, 0x79, v52
	v_and_b32_e32 v16, 0x7fffff, v17
	v_cmp_eq_u32_e32 vcc, 0, v52
	v_cndmask_b32_e64 v2, 0, v2, s[20:21]
	v_or_b32_e32 v17, 0x800000, v16
	v_cndmask_b32_e32 v2, v2, v60, vcc
	v_cndmask_b32_e32 v34, v17, v16, vcc
	v_add_u32_e32 v16, 20, v2
	v_lshlrev_b64 v[16:17], v16, -1
	v_add_u32_e32 v24, 19, v2
	v_lshlrev_b64 v[24:25], v24, 1
	v_bfi_b32 v17, v17, 0, 0
	v_bfi_b32 v16, v16, 0, v34
	v_cmp_eq_u64_e64 s[20:21], v[16:17], v[24:25]
	v_lshrrev_b64 v[16:17], v2, v[34:35]
	v_mov_b32_e32 v49, v17
	v_mov_b32_e32 v48, v16
	s_and_saveexec_b64 s[34:35], s[20:21]
; %bb.3687:                             ;   in Loop: Header=BB2_3559 Depth=2
	v_bfe_u32 v17, v16, 20, 1
	v_add_co_u32_e64 v17, s[20:21], v16, v17
	v_add_co_u32_e64 v48, s[20:21], -1, v17
; %bb.3688:                             ;   in Loop: Header=BB2_3559 Depth=2
	s_or_b64 exec, exec, s[34:35]
	v_add_u32_e32 v17, 0xffffff81, v52
	v_cndmask_b32_e32 v17, v17, v61, vcc
	v_lshrrev_b32_e32 v24, 23, v16
	v_add3_u32 v49, v2, v17, v24
	v_add_u32_e32 v2, 6, v49
	v_and_b32_e32 v17, 0xfffff, v48
	v_add_u32_e32 v34, v17, v16
	v_cmp_ne_u32_e32 vcc, 0, v2
                                        ; implicit-def: $vgpr16_vgpr17
                                        ; implicit-def: $vgpr48
	s_and_saveexec_b64 s[20:21], vcc
	s_xor_b64 s[20:21], exec, s[20:21]
; %bb.3689:                             ;   in Loop: Header=BB2_3559 Depth=2
	v_cmp_lt_u64_e32 vcc, s[74:75], v[34:35]
	v_add_u32_e32 v16, 7, v49
	v_cndmask_b32_e32 v48, v2, v16, vcc
	v_cndmask_b32_e64 v2, 0, 1, vcc
	v_lshrrev_b64 v[16:17], v2, v[34:35]
; %bb.3690:                             ;   in Loop: Header=BB2_3559 Depth=2
	s_andn2_saveexec_b64 s[20:21], s[20:21]
; %bb.3691:                             ;   in Loop: Header=BB2_3559 Depth=2
	v_mov_b32_e32 v16, v34
	v_bfe_u32 v48, v34, 23, 1
	v_mov_b32_e32 v17, v35
; %bb.3692:                             ;   in Loop: Header=BB2_3559 Depth=2
	s_or_b64 exec, exec, s[20:21]
	v_lshrrev_b64 v[16:17], 20, v[16:17]
	v_cmp_gt_i32_e32 vcc, 16, v48
	v_cndmask_b32_e32 v17, 0, v17, vcc
	v_cndmask_b32_e32 v16, 7, v16, vcc
	v_cmp_ne_u64_e32 vcc, 0, v[16:17]
	v_cmp_ne_u32_e64 s[20:21], 0, v48
	s_or_b64 s[20:21], s[20:21], vcc
                                        ; implicit-def: $vgpr52
	s_and_saveexec_b64 vcc, s[20:21]
	s_xor_b64 s[20:21], exec, vcc
; %bb.3693:                             ;   in Loop: Header=BB2_3559 Depth=2
	v_min_i32_e32 v2, 15, v48
	v_lshl_or_b32 v2, v2, 3, v41
	v_and_or_b32 v52, v16, 7, v2
                                        ; implicit-def: $vgpr41
; %bb.3694:                             ;   in Loop: Header=BB2_3559 Depth=2
	s_andn2_saveexec_b64 s[20:21], s[20:21]
; %bb.3695:                             ;   in Loop: Header=BB2_3559 Depth=2
	v_mov_b32_e32 v52, v41
; %bb.3696:                             ;   in Loop: Header=BB2_3559 Depth=2
	s_or_b64 exec, exec, s[20:21]
.LBB2_3697:                             ;   in Loop: Header=BB2_3559 Depth=2
	s_or_b64 exec, exec, s[30:31]
                                        ; implicit-def: $vgpr41
.LBB2_3698:                             ;   in Loop: Header=BB2_3559 Depth=2
	s_andn2_saveexec_b64 s[20:21], s[94:95]
; %bb.3699:                             ;   in Loop: Header=BB2_3559 Depth=2
	v_or_b32_e32 v52, 0x7e, v41
; %bb.3700:                             ;   in Loop: Header=BB2_3559 Depth=2
	s_or_b64 exec, exec, s[20:21]
                                        ; implicit-def: $vgpr17
.LBB2_3701:                             ;   in Loop: Header=BB2_3559 Depth=2
	s_andn2_saveexec_b64 s[20:21], s[92:93]
; %bb.3702:                             ;   in Loop: Header=BB2_3559 Depth=2
	v_or_b32_sdwa v52, v17, s49 dst_sel:DWORD dst_unused:UNUSED_PAD src0_sel:BYTE_3 src1_sel:DWORD
; %bb.3703:                             ;   in Loop: Header=BB2_3559 Depth=2
	s_or_b64 exec, exec, s[20:21]
	v_and_b32_e32 v16, 0xff, v40
	v_cmp_ne_u16_e64 s[20:21], 0, v16
	s_and_b64 vcc, exec, s[18:19]
	s_mov_b64 s[92:93], -1
                                        ; implicit-def: $vgpr17
	s_cbranch_vccnz .LBB2_3717
; %bb.3704:                             ;   in Loop: Header=BB2_3559 Depth=2
	v_mov_b32_e32 v48, 0
	v_mov_b32_e32 v34, 0
	s_and_saveexec_b64 s[92:93], s[20:21]
	s_cbranch_execz .LBB2_3710
; %bb.3705:                             ;   in Loop: Header=BB2_3559 Depth=2
	v_cmp_ne_u16_e32 vcc, s52, v16
	v_bfrev_b32_e32 v34, 1
	s_and_saveexec_b64 s[94:95], vcc
	s_cbranch_execz .LBB2_3709
; %bb.3706:                             ;   in Loop: Header=BB2_3559 Depth=2
	v_and_b32_e32 v2, 0x7f, v40
	v_cmp_ne_u32_e32 vcc, s49, v2
	v_mov_b32_e32 v34, 0x7f800001
	s_and_saveexec_b64 s[30:31], vcc
	s_cbranch_execz .LBB2_3708
; %bb.3707:                             ;   in Loop: Header=BB2_3559 Depth=2
	v_and_b32_e32 v17, 7, v16
	v_lshrrev_b32_e32 v34, 3, v2
	v_cmp_gt_u32_e32 vcc, 8, v2
	v_ffbh_u32_e32 v2, v17
	v_min_u32_e32 v2, 32, v2
	v_subrev_u32_e32 v24, 28, v2
	v_lshlrev_b64 v[24:25], v24, v[16:17]
	v_sub_u32_e32 v2, 29, v2
	v_and_b32_e32 v24, 7, v24
	v_cndmask_b32_e32 v2, v34, v2, vcc
	v_cndmask_b32_e32 v17, v17, v24, vcc
	v_lshlrev_b32_e32 v24, 24, v40
	v_lshlrev_b32_e32 v17, 20, v17
	v_and_b32_e32 v24, 0x80000000, v24
	v_lshl_add_u32 v2, v2, 23, v56
	v_or3_b32 v34, v24, v2, v17
.LBB2_3708:                             ;   in Loop: Header=BB2_3559 Depth=2
	s_or_b64 exec, exec, s[30:31]
.LBB2_3709:                             ;   in Loop: Header=BB2_3559 Depth=2
	s_or_b64 exec, exec, s[94:95]
.LBB2_3710:                             ;   in Loop: Header=BB2_3559 Depth=2
	s_or_b64 exec, exec, s[92:93]
	v_and_b32_e32 v17, 0xff, v55
	v_cmp_ne_u16_e32 vcc, 0, v17
	s_and_saveexec_b64 s[92:93], vcc
	s_cbranch_execz .LBB2_3716
; %bb.3711:                             ;   in Loop: Header=BB2_3559 Depth=2
	v_cmp_ne_u16_e32 vcc, s52, v17
	v_bfrev_b32_e32 v48, 1
	s_and_saveexec_b64 s[94:95], vcc
	s_cbranch_execz .LBB2_3715
; %bb.3712:                             ;   in Loop: Header=BB2_3559 Depth=2
	v_and_b32_e32 v2, 0x7f, v55
	v_cmp_ne_u32_e32 vcc, s49, v2
	v_mov_b32_e32 v48, 0x7f800001
	s_and_saveexec_b64 s[30:31], vcc
	s_cbranch_execz .LBB2_3714
; %bb.3713:                             ;   in Loop: Header=BB2_3559 Depth=2
	v_and_b32_e32 v48, 7, v17
	v_lshrrev_b32_e32 v49, 3, v2
	v_cmp_gt_u32_e32 vcc, 8, v2
	v_ffbh_u32_e32 v2, v48
	v_min_u32_e32 v2, 32, v2
	v_subrev_u32_e32 v24, 28, v2
	v_lshlrev_b64 v[24:25], v24, v[17:18]
	v_sub_u32_e32 v2, 29, v2
	v_and_b32_e32 v17, 7, v24
	v_cndmask_b32_e32 v2, v49, v2, vcc
	v_cndmask_b32_e32 v17, v48, v17, vcc
	v_lshlrev_b32_e32 v24, 24, v55
	v_lshlrev_b32_e32 v17, 20, v17
	v_and_b32_e32 v24, 0x80000000, v24
	v_lshl_add_u32 v2, v2, 23, v56
	v_or3_b32 v48, v24, v2, v17
.LBB2_3714:                             ;   in Loop: Header=BB2_3559 Depth=2
	s_or_b64 exec, exec, s[30:31]
.LBB2_3715:                             ;   in Loop: Header=BB2_3559 Depth=2
	s_or_b64 exec, exec, s[94:95]
.LBB2_3716:                             ;   in Loop: Header=BB2_3559 Depth=2
	s_or_b64 exec, exec, s[92:93]
	v_max_f32_e32 v2, v48, v48
	v_max_f32_e32 v17, v34, v34
	;; [unrolled: 1-line block ×3, first 2 shown]
	s_mov_b64 s[92:93], 0
.LBB2_3717:                             ;   in Loop: Header=BB2_3559 Depth=2
	s_and_b64 vcc, exec, s[92:93]
	s_cbranch_vccz .LBB2_3731
; %bb.3718:                             ;   in Loop: Header=BB2_3559 Depth=2
	v_mov_b32_e32 v34, 0
	v_mov_b32_e32 v17, 0
	s_and_saveexec_b64 s[92:93], s[20:21]
	s_cbranch_execz .LBB2_3724
; %bb.3719:                             ;   in Loop: Header=BB2_3559 Depth=2
	v_cmp_ne_u16_e32 vcc, s52, v16
	v_bfrev_b32_e32 v17, 1
	s_and_saveexec_b64 s[20:21], vcc
	s_cbranch_execz .LBB2_3723
; %bb.3720:                             ;   in Loop: Header=BB2_3559 Depth=2
	v_and_b32_e32 v2, 0x7f, v40
	v_cmp_ne_u32_e32 vcc, s49, v2
	v_mov_b32_e32 v17, 0x7f800001
	s_and_saveexec_b64 s[94:95], vcc
	s_cbranch_execz .LBB2_3722
; %bb.3721:                             ;   in Loop: Header=BB2_3559 Depth=2
	v_and_b32_e32 v24, 7, v16
	v_lshrrev_b32_e32 v25, 3, v2
	v_cmp_gt_u32_e32 vcc, 8, v2
	v_ffbh_u32_e32 v2, v24
	v_min_u32_e32 v2, 32, v2
	v_subrev_u32_e32 v17, 28, v2
	v_lshlrev_b64 v[16:17], v17, v[16:17]
	v_sub_u32_e32 v2, 29, v2
	v_and_b32_e32 v16, 7, v16
	v_cndmask_b32_e32 v2, v25, v2, vcc
	v_cndmask_b32_e32 v16, v24, v16, vcc
	v_lshlrev_b32_e32 v17, 24, v40
	v_lshlrev_b32_e32 v16, 20, v16
	v_and_b32_e32 v17, 0x80000000, v17
	v_lshl_add_u32 v2, v2, 23, v56
	v_or3_b32 v17, v17, v2, v16
.LBB2_3722:                             ;   in Loop: Header=BB2_3559 Depth=2
	s_or_b64 exec, exec, s[94:95]
.LBB2_3723:                             ;   in Loop: Header=BB2_3559 Depth=2
	s_or_b64 exec, exec, s[20:21]
.LBB2_3724:                             ;   in Loop: Header=BB2_3559 Depth=2
	s_or_b64 exec, exec, s[92:93]
	v_and_b32_e32 v16, 0xff, v55
	v_cmp_ne_u16_e32 vcc, 0, v16
	s_and_saveexec_b64 s[20:21], vcc
	s_cbranch_execz .LBB2_3730
; %bb.3725:                             ;   in Loop: Header=BB2_3559 Depth=2
	v_cmp_ne_u16_e32 vcc, s52, v16
	v_bfrev_b32_e32 v34, 1
	s_and_saveexec_b64 s[92:93], vcc
	s_cbranch_execz .LBB2_3729
; %bb.3726:                             ;   in Loop: Header=BB2_3559 Depth=2
	v_and_b32_e32 v2, 0x7f, v55
	v_cmp_ne_u32_e32 vcc, s49, v2
	v_mov_b32_e32 v34, 0x7f800001
	s_and_saveexec_b64 s[94:95], vcc
	s_cbranch_execz .LBB2_3728
; %bb.3727:                             ;   in Loop: Header=BB2_3559 Depth=2
	v_and_b32_e32 v34, 7, v16
	v_lshrrev_b32_e32 v48, 3, v2
	v_cmp_gt_u32_e32 vcc, 8, v2
	v_ffbh_u32_e32 v2, v34
	v_min_u32_e32 v2, 32, v2
	v_subrev_u32_e32 v24, 28, v2
	v_lshlrev_b64 v[24:25], v24, v[16:17]
	v_sub_u32_e32 v2, 29, v2
	v_and_b32_e32 v16, 7, v24
	v_cndmask_b32_e32 v2, v48, v2, vcc
	v_cndmask_b32_e32 v16, v34, v16, vcc
	v_lshlrev_b32_e32 v24, 24, v55
	v_lshlrev_b32_e32 v16, 20, v16
	v_and_b32_e32 v24, 0x80000000, v24
	v_lshl_add_u32 v2, v2, 23, v56
	v_or3_b32 v34, v24, v2, v16
.LBB2_3728:                             ;   in Loop: Header=BB2_3559 Depth=2
	s_or_b64 exec, exec, s[94:95]
.LBB2_3729:                             ;   in Loop: Header=BB2_3559 Depth=2
	s_or_b64 exec, exec, s[92:93]
.LBB2_3730:                             ;   in Loop: Header=BB2_3559 Depth=2
	s_or_b64 exec, exec, s[20:21]
	v_max_f32_e32 v2, v34, v34
	v_max_f32_e32 v16, v17, v17
	v_min_f32_e32 v17, v16, v2
.LBB2_3731:                             ;   in Loop: Header=BB2_3559 Depth=2
	v_and_b32_e32 v34, 0x7f800000, v17
	v_cmp_ne_u64_e32 vcc, s[62:63], v[34:35]
                                        ; implicit-def: $vgpr55
	s_and_saveexec_b64 s[20:21], vcc
	s_xor_b64 s[92:93], exec, s[20:21]
	s_cbranch_execz .LBB2_3749
; %bb.3732:                             ;   in Loop: Header=BB2_3559 Depth=2
	v_and_b32_e32 v34, 0x7fffffff, v17
	v_cmp_gt_u64_e32 vcc, s[72:73], v[34:35]
	v_and_b32_sdwa v40, v17, s52 dst_sel:DWORD dst_unused:UNUSED_PAD src0_sel:BYTE_3 src1_sel:DWORD
                                        ; implicit-def: $vgpr55
	s_and_saveexec_b64 s[20:21], vcc
	s_xor_b64 s[94:95], exec, s[20:21]
	s_cbranch_execz .LBB2_3746
; %bb.3733:                             ;   in Loop: Header=BB2_3559 Depth=2
	v_cmp_ne_u32_e32 vcc, 0, v17
	v_mov_b32_e32 v55, 0
	s_and_saveexec_b64 s[30:31], vcc
	s_cbranch_execz .LBB2_3745
; %bb.3734:                             ;   in Loop: Header=BB2_3559 Depth=2
	v_bfe_u32 v55, v17, 23, 8
	v_cmp_gt_u32_e64 s[20:21], s53, v55
	v_sub_u32_e32 v2, 0x79, v55
	v_and_b32_e32 v16, 0x7fffff, v17
	v_cmp_eq_u32_e32 vcc, 0, v55
	v_cndmask_b32_e64 v2, 0, v2, s[20:21]
	v_or_b32_e32 v17, 0x800000, v16
	v_cndmask_b32_e32 v2, v2, v60, vcc
	v_cndmask_b32_e32 v34, v17, v16, vcc
	v_add_u32_e32 v16, 20, v2
	v_lshlrev_b64 v[16:17], v16, -1
	v_add_u32_e32 v24, 19, v2
	v_lshlrev_b64 v[24:25], v24, 1
	v_bfi_b32 v17, v17, 0, 0
	v_bfi_b32 v16, v16, 0, v34
	v_cmp_eq_u64_e64 s[20:21], v[16:17], v[24:25]
	v_lshrrev_b64 v[16:17], v2, v[34:35]
	v_mov_b32_e32 v49, v17
	v_mov_b32_e32 v48, v16
	s_and_saveexec_b64 s[34:35], s[20:21]
; %bb.3735:                             ;   in Loop: Header=BB2_3559 Depth=2
	v_bfe_u32 v17, v16, 20, 1
	v_add_co_u32_e64 v17, s[20:21], v16, v17
	v_add_co_u32_e64 v48, s[20:21], -1, v17
; %bb.3736:                             ;   in Loop: Header=BB2_3559 Depth=2
	s_or_b64 exec, exec, s[34:35]
	v_add_u32_e32 v17, 0xffffff81, v55
	v_cndmask_b32_e32 v17, v17, v61, vcc
	v_lshrrev_b32_e32 v24, 23, v16
	v_add3_u32 v49, v2, v17, v24
	v_add_u32_e32 v2, 6, v49
	v_and_b32_e32 v17, 0xfffff, v48
	v_add_u32_e32 v34, v17, v16
	v_cmp_ne_u32_e32 vcc, 0, v2
                                        ; implicit-def: $vgpr16_vgpr17
                                        ; implicit-def: $vgpr48
	s_and_saveexec_b64 s[20:21], vcc
	s_xor_b64 s[20:21], exec, s[20:21]
; %bb.3737:                             ;   in Loop: Header=BB2_3559 Depth=2
	v_cmp_lt_u64_e32 vcc, s[74:75], v[34:35]
	v_add_u32_e32 v16, 7, v49
	v_cndmask_b32_e32 v48, v2, v16, vcc
	v_cndmask_b32_e64 v2, 0, 1, vcc
	v_lshrrev_b64 v[16:17], v2, v[34:35]
; %bb.3738:                             ;   in Loop: Header=BB2_3559 Depth=2
	s_andn2_saveexec_b64 s[20:21], s[20:21]
; %bb.3739:                             ;   in Loop: Header=BB2_3559 Depth=2
	v_mov_b32_e32 v16, v34
	v_bfe_u32 v48, v34, 23, 1
	v_mov_b32_e32 v17, v35
; %bb.3740:                             ;   in Loop: Header=BB2_3559 Depth=2
	s_or_b64 exec, exec, s[20:21]
	v_lshrrev_b64 v[16:17], 20, v[16:17]
	v_cmp_gt_i32_e32 vcc, 16, v48
	v_cndmask_b32_e32 v17, 0, v17, vcc
	v_cndmask_b32_e32 v16, 7, v16, vcc
	v_cmp_ne_u64_e32 vcc, 0, v[16:17]
	v_cmp_ne_u32_e64 s[20:21], 0, v48
	s_or_b64 s[20:21], s[20:21], vcc
                                        ; implicit-def: $vgpr55
	s_and_saveexec_b64 vcc, s[20:21]
	s_xor_b64 s[20:21], exec, vcc
; %bb.3741:                             ;   in Loop: Header=BB2_3559 Depth=2
	v_min_i32_e32 v2, 15, v48
	v_lshl_or_b32 v2, v2, 3, v40
	v_and_or_b32 v55, v16, 7, v2
                                        ; implicit-def: $vgpr40
; %bb.3742:                             ;   in Loop: Header=BB2_3559 Depth=2
	s_andn2_saveexec_b64 s[20:21], s[20:21]
; %bb.3743:                             ;   in Loop: Header=BB2_3559 Depth=2
	v_mov_b32_e32 v55, v40
; %bb.3744:                             ;   in Loop: Header=BB2_3559 Depth=2
	s_or_b64 exec, exec, s[20:21]
.LBB2_3745:                             ;   in Loop: Header=BB2_3559 Depth=2
	s_or_b64 exec, exec, s[30:31]
                                        ; implicit-def: $vgpr40
.LBB2_3746:                             ;   in Loop: Header=BB2_3559 Depth=2
	s_andn2_saveexec_b64 s[20:21], s[94:95]
; %bb.3747:                             ;   in Loop: Header=BB2_3559 Depth=2
	v_or_b32_e32 v55, 0x7e, v40
; %bb.3748:                             ;   in Loop: Header=BB2_3559 Depth=2
	s_or_b64 exec, exec, s[20:21]
                                        ; implicit-def: $vgpr17
.LBB2_3749:                             ;   in Loop: Header=BB2_3559 Depth=2
	s_andn2_saveexec_b64 s[20:21], s[92:93]
; %bb.3750:                             ;   in Loop: Header=BB2_3559 Depth=2
	v_or_b32_sdwa v55, v17, s49 dst_sel:DWORD dst_unused:UNUSED_PAD src0_sel:BYTE_3 src1_sel:DWORD
; %bb.3751:                             ;   in Loop: Header=BB2_3559 Depth=2
	s_or_b64 exec, exec, s[20:21]
	v_and_b32_e32 v16, 0xff, v54
	v_cmp_ne_u16_e64 s[20:21], 0, v16
	s_and_b64 vcc, exec, s[18:19]
	s_mov_b64 s[92:93], -1
                                        ; implicit-def: $vgpr17
	s_cbranch_vccnz .LBB2_3765
; %bb.3752:                             ;   in Loop: Header=BB2_3559 Depth=2
	v_mov_b32_e32 v48, 0
	v_mov_b32_e32 v34, 0
	s_and_saveexec_b64 s[92:93], s[20:21]
	s_cbranch_execz .LBB2_3758
; %bb.3753:                             ;   in Loop: Header=BB2_3559 Depth=2
	v_cmp_ne_u16_e32 vcc, s52, v16
	v_bfrev_b32_e32 v34, 1
	s_and_saveexec_b64 s[94:95], vcc
	s_cbranch_execz .LBB2_3757
; %bb.3754:                             ;   in Loop: Header=BB2_3559 Depth=2
	v_and_b32_e32 v2, 0x7f, v54
	v_cmp_ne_u32_e32 vcc, s49, v2
	v_mov_b32_e32 v34, 0x7f800001
	s_and_saveexec_b64 s[30:31], vcc
	s_cbranch_execz .LBB2_3756
; %bb.3755:                             ;   in Loop: Header=BB2_3559 Depth=2
	v_and_b32_e32 v17, 7, v16
	v_lshrrev_b32_e32 v34, 3, v2
	v_cmp_gt_u32_e32 vcc, 8, v2
	v_ffbh_u32_e32 v2, v17
	v_min_u32_e32 v2, 32, v2
	v_subrev_u32_e32 v24, 28, v2
	v_lshlrev_b64 v[24:25], v24, v[16:17]
	v_sub_u32_e32 v2, 29, v2
	v_and_b32_e32 v24, 7, v24
	v_cndmask_b32_e32 v2, v34, v2, vcc
	v_cndmask_b32_e32 v17, v17, v24, vcc
	v_lshlrev_b32_e32 v24, 24, v54
	v_lshlrev_b32_e32 v17, 20, v17
	v_and_b32_e32 v24, 0x80000000, v24
	v_lshl_add_u32 v2, v2, 23, v56
	v_or3_b32 v34, v24, v2, v17
.LBB2_3756:                             ;   in Loop: Header=BB2_3559 Depth=2
	s_or_b64 exec, exec, s[30:31]
.LBB2_3757:                             ;   in Loop: Header=BB2_3559 Depth=2
	s_or_b64 exec, exec, s[94:95]
.LBB2_3758:                             ;   in Loop: Header=BB2_3559 Depth=2
	s_or_b64 exec, exec, s[92:93]
	v_and_b32_e32 v17, 0xff, v53
	v_cmp_ne_u16_e32 vcc, 0, v17
	s_and_saveexec_b64 s[92:93], vcc
	s_cbranch_execz .LBB2_3764
; %bb.3759:                             ;   in Loop: Header=BB2_3559 Depth=2
	v_cmp_ne_u16_e32 vcc, s52, v17
	v_bfrev_b32_e32 v48, 1
	s_and_saveexec_b64 s[94:95], vcc
	s_cbranch_execz .LBB2_3763
; %bb.3760:                             ;   in Loop: Header=BB2_3559 Depth=2
	v_and_b32_e32 v2, 0x7f, v53
	v_cmp_ne_u32_e32 vcc, s49, v2
	v_mov_b32_e32 v48, 0x7f800001
	s_and_saveexec_b64 s[30:31], vcc
	s_cbranch_execz .LBB2_3762
; %bb.3761:                             ;   in Loop: Header=BB2_3559 Depth=2
	v_and_b32_e32 v48, 7, v17
	v_lshrrev_b32_e32 v49, 3, v2
	v_cmp_gt_u32_e32 vcc, 8, v2
	v_ffbh_u32_e32 v2, v48
	v_min_u32_e32 v2, 32, v2
	v_subrev_u32_e32 v24, 28, v2
	v_lshlrev_b64 v[24:25], v24, v[17:18]
	v_sub_u32_e32 v2, 29, v2
	v_and_b32_e32 v17, 7, v24
	v_cndmask_b32_e32 v2, v49, v2, vcc
	v_cndmask_b32_e32 v17, v48, v17, vcc
	v_lshlrev_b32_e32 v24, 24, v53
	v_lshlrev_b32_e32 v17, 20, v17
	v_and_b32_e32 v24, 0x80000000, v24
	v_lshl_add_u32 v2, v2, 23, v56
	v_or3_b32 v48, v24, v2, v17
.LBB2_3762:                             ;   in Loop: Header=BB2_3559 Depth=2
	s_or_b64 exec, exec, s[30:31]
.LBB2_3763:                             ;   in Loop: Header=BB2_3559 Depth=2
	s_or_b64 exec, exec, s[94:95]
.LBB2_3764:                             ;   in Loop: Header=BB2_3559 Depth=2
	s_or_b64 exec, exec, s[92:93]
	v_max_f32_e32 v2, v48, v48
	v_max_f32_e32 v17, v34, v34
	;; [unrolled: 1-line block ×3, first 2 shown]
	s_mov_b64 s[92:93], 0
.LBB2_3765:                             ;   in Loop: Header=BB2_3559 Depth=2
	s_and_b64 vcc, exec, s[92:93]
	s_cbranch_vccz .LBB2_3779
; %bb.3766:                             ;   in Loop: Header=BB2_3559 Depth=2
	v_mov_b32_e32 v34, 0
	v_mov_b32_e32 v17, 0
	s_and_saveexec_b64 s[92:93], s[20:21]
	s_cbranch_execz .LBB2_3772
; %bb.3767:                             ;   in Loop: Header=BB2_3559 Depth=2
	v_cmp_ne_u16_e32 vcc, s52, v16
	v_bfrev_b32_e32 v17, 1
	s_and_saveexec_b64 s[20:21], vcc
	s_cbranch_execz .LBB2_3771
; %bb.3768:                             ;   in Loop: Header=BB2_3559 Depth=2
	v_and_b32_e32 v2, 0x7f, v54
	v_cmp_ne_u32_e32 vcc, s49, v2
	v_mov_b32_e32 v17, 0x7f800001
	s_and_saveexec_b64 s[94:95], vcc
	s_cbranch_execz .LBB2_3770
; %bb.3769:                             ;   in Loop: Header=BB2_3559 Depth=2
	v_and_b32_e32 v24, 7, v16
	v_lshrrev_b32_e32 v25, 3, v2
	v_cmp_gt_u32_e32 vcc, 8, v2
	v_ffbh_u32_e32 v2, v24
	v_min_u32_e32 v2, 32, v2
	v_subrev_u32_e32 v17, 28, v2
	v_lshlrev_b64 v[16:17], v17, v[16:17]
	v_sub_u32_e32 v2, 29, v2
	v_and_b32_e32 v16, 7, v16
	v_cndmask_b32_e32 v2, v25, v2, vcc
	v_cndmask_b32_e32 v16, v24, v16, vcc
	v_lshlrev_b32_e32 v17, 24, v54
	v_lshlrev_b32_e32 v16, 20, v16
	v_and_b32_e32 v17, 0x80000000, v17
	v_lshl_add_u32 v2, v2, 23, v56
	v_or3_b32 v17, v17, v2, v16
.LBB2_3770:                             ;   in Loop: Header=BB2_3559 Depth=2
	s_or_b64 exec, exec, s[94:95]
.LBB2_3771:                             ;   in Loop: Header=BB2_3559 Depth=2
	s_or_b64 exec, exec, s[20:21]
.LBB2_3772:                             ;   in Loop: Header=BB2_3559 Depth=2
	s_or_b64 exec, exec, s[92:93]
	v_and_b32_e32 v16, 0xff, v53
	v_cmp_ne_u16_e32 vcc, 0, v16
	s_and_saveexec_b64 s[20:21], vcc
	s_cbranch_execz .LBB2_3778
; %bb.3773:                             ;   in Loop: Header=BB2_3559 Depth=2
	v_cmp_ne_u16_e32 vcc, s52, v16
	v_bfrev_b32_e32 v34, 1
	s_and_saveexec_b64 s[92:93], vcc
	s_cbranch_execz .LBB2_3777
; %bb.3774:                             ;   in Loop: Header=BB2_3559 Depth=2
	v_and_b32_e32 v2, 0x7f, v53
	v_cmp_ne_u32_e32 vcc, s49, v2
	v_mov_b32_e32 v34, 0x7f800001
	s_and_saveexec_b64 s[94:95], vcc
	s_cbranch_execz .LBB2_3776
; %bb.3775:                             ;   in Loop: Header=BB2_3559 Depth=2
	v_and_b32_e32 v34, 7, v16
	v_lshrrev_b32_e32 v48, 3, v2
	v_cmp_gt_u32_e32 vcc, 8, v2
	v_ffbh_u32_e32 v2, v34
	v_min_u32_e32 v2, 32, v2
	v_subrev_u32_e32 v24, 28, v2
	v_lshlrev_b64 v[24:25], v24, v[16:17]
	v_sub_u32_e32 v2, 29, v2
	v_and_b32_e32 v16, 7, v24
	v_cndmask_b32_e32 v2, v48, v2, vcc
	v_cndmask_b32_e32 v16, v34, v16, vcc
	v_lshlrev_b32_e32 v24, 24, v53
	v_lshlrev_b32_e32 v16, 20, v16
	v_and_b32_e32 v24, 0x80000000, v24
	v_lshl_add_u32 v2, v2, 23, v56
	v_or3_b32 v34, v24, v2, v16
.LBB2_3776:                             ;   in Loop: Header=BB2_3559 Depth=2
	s_or_b64 exec, exec, s[94:95]
.LBB2_3777:                             ;   in Loop: Header=BB2_3559 Depth=2
	s_or_b64 exec, exec, s[92:93]
.LBB2_3778:                             ;   in Loop: Header=BB2_3559 Depth=2
	s_or_b64 exec, exec, s[20:21]
	v_max_f32_e32 v2, v34, v34
	v_max_f32_e32 v16, v17, v17
	v_min_f32_e32 v17, v16, v2
.LBB2_3779:                             ;   in Loop: Header=BB2_3559 Depth=2
	v_and_b32_e32 v34, 0x7f800000, v17
	v_cmp_ne_u64_e32 vcc, s[62:63], v[34:35]
                                        ; implicit-def: $vgpr53
	s_and_saveexec_b64 s[20:21], vcc
	s_xor_b64 s[92:93], exec, s[20:21]
	s_cbranch_execz .LBB2_3797
; %bb.3780:                             ;   in Loop: Header=BB2_3559 Depth=2
	v_and_b32_e32 v34, 0x7fffffff, v17
	v_cmp_gt_u64_e32 vcc, s[72:73], v[34:35]
	v_and_b32_sdwa v54, v17, s52 dst_sel:DWORD dst_unused:UNUSED_PAD src0_sel:BYTE_3 src1_sel:DWORD
                                        ; implicit-def: $vgpr53
	s_and_saveexec_b64 s[20:21], vcc
	s_xor_b64 s[94:95], exec, s[20:21]
	s_cbranch_execz .LBB2_3794
; %bb.3781:                             ;   in Loop: Header=BB2_3559 Depth=2
	v_cmp_ne_u32_e32 vcc, 0, v17
	v_mov_b32_e32 v53, 0
	s_and_saveexec_b64 s[30:31], vcc
	s_cbranch_execz .LBB2_3793
; %bb.3782:                             ;   in Loop: Header=BB2_3559 Depth=2
	v_bfe_u32 v53, v17, 23, 8
	v_cmp_gt_u32_e64 s[20:21], s53, v53
	v_sub_u32_e32 v2, 0x79, v53
	v_and_b32_e32 v16, 0x7fffff, v17
	v_cmp_eq_u32_e32 vcc, 0, v53
	v_cndmask_b32_e64 v2, 0, v2, s[20:21]
	v_or_b32_e32 v17, 0x800000, v16
	v_cndmask_b32_e32 v2, v2, v60, vcc
	v_cndmask_b32_e32 v34, v17, v16, vcc
	v_add_u32_e32 v16, 20, v2
	v_lshlrev_b64 v[16:17], v16, -1
	v_add_u32_e32 v24, 19, v2
	v_lshlrev_b64 v[24:25], v24, 1
	v_bfi_b32 v17, v17, 0, 0
	v_bfi_b32 v16, v16, 0, v34
	v_cmp_eq_u64_e64 s[20:21], v[16:17], v[24:25]
	v_lshrrev_b64 v[16:17], v2, v[34:35]
	v_mov_b32_e32 v49, v17
	v_mov_b32_e32 v48, v16
	s_and_saveexec_b64 s[34:35], s[20:21]
; %bb.3783:                             ;   in Loop: Header=BB2_3559 Depth=2
	v_bfe_u32 v17, v16, 20, 1
	v_add_co_u32_e64 v17, s[20:21], v16, v17
	v_add_co_u32_e64 v48, s[20:21], -1, v17
; %bb.3784:                             ;   in Loop: Header=BB2_3559 Depth=2
	s_or_b64 exec, exec, s[34:35]
	v_add_u32_e32 v17, 0xffffff81, v53
	v_cndmask_b32_e32 v17, v17, v61, vcc
	v_lshrrev_b32_e32 v24, 23, v16
	v_add3_u32 v49, v2, v17, v24
	v_add_u32_e32 v2, 6, v49
	v_and_b32_e32 v17, 0xfffff, v48
	v_add_u32_e32 v34, v17, v16
	v_cmp_ne_u32_e32 vcc, 0, v2
                                        ; implicit-def: $vgpr16_vgpr17
                                        ; implicit-def: $vgpr48
	s_and_saveexec_b64 s[20:21], vcc
	s_xor_b64 s[20:21], exec, s[20:21]
; %bb.3785:                             ;   in Loop: Header=BB2_3559 Depth=2
	v_cmp_lt_u64_e32 vcc, s[74:75], v[34:35]
	v_add_u32_e32 v16, 7, v49
	v_cndmask_b32_e32 v48, v2, v16, vcc
	v_cndmask_b32_e64 v2, 0, 1, vcc
	v_lshrrev_b64 v[16:17], v2, v[34:35]
; %bb.3786:                             ;   in Loop: Header=BB2_3559 Depth=2
	s_andn2_saveexec_b64 s[20:21], s[20:21]
; %bb.3787:                             ;   in Loop: Header=BB2_3559 Depth=2
	v_mov_b32_e32 v16, v34
	v_bfe_u32 v48, v34, 23, 1
	v_mov_b32_e32 v17, v35
; %bb.3788:                             ;   in Loop: Header=BB2_3559 Depth=2
	s_or_b64 exec, exec, s[20:21]
	v_lshrrev_b64 v[16:17], 20, v[16:17]
	v_cmp_gt_i32_e32 vcc, 16, v48
	v_cndmask_b32_e32 v17, 0, v17, vcc
	v_cndmask_b32_e32 v16, 7, v16, vcc
	v_cmp_ne_u64_e32 vcc, 0, v[16:17]
	v_cmp_ne_u32_e64 s[20:21], 0, v48
	s_or_b64 s[20:21], s[20:21], vcc
                                        ; implicit-def: $vgpr53
	s_and_saveexec_b64 vcc, s[20:21]
	s_xor_b64 s[20:21], exec, vcc
; %bb.3789:                             ;   in Loop: Header=BB2_3559 Depth=2
	v_min_i32_e32 v2, 15, v48
	v_lshl_or_b32 v2, v2, 3, v54
	v_and_or_b32 v53, v16, 7, v2
                                        ; implicit-def: $vgpr54
; %bb.3790:                             ;   in Loop: Header=BB2_3559 Depth=2
	s_andn2_saveexec_b64 s[20:21], s[20:21]
; %bb.3791:                             ;   in Loop: Header=BB2_3559 Depth=2
	v_mov_b32_e32 v53, v54
; %bb.3792:                             ;   in Loop: Header=BB2_3559 Depth=2
	s_or_b64 exec, exec, s[20:21]
.LBB2_3793:                             ;   in Loop: Header=BB2_3559 Depth=2
	s_or_b64 exec, exec, s[30:31]
                                        ; implicit-def: $vgpr54
.LBB2_3794:                             ;   in Loop: Header=BB2_3559 Depth=2
	s_andn2_saveexec_b64 s[20:21], s[94:95]
; %bb.3795:                             ;   in Loop: Header=BB2_3559 Depth=2
	v_or_b32_e32 v53, 0x7e, v54
; %bb.3796:                             ;   in Loop: Header=BB2_3559 Depth=2
	s_or_b64 exec, exec, s[20:21]
                                        ; implicit-def: $vgpr17
.LBB2_3797:                             ;   in Loop: Header=BB2_3559 Depth=2
	s_andn2_saveexec_b64 s[20:21], s[92:93]
; %bb.3798:                             ;   in Loop: Header=BB2_3559 Depth=2
	v_or_b32_sdwa v53, v17, s49 dst_sel:DWORD dst_unused:UNUSED_PAD src0_sel:BYTE_3 src1_sel:DWORD
; %bb.3799:                             ;   in Loop: Header=BB2_3559 Depth=2
	s_or_b64 exec, exec, s[20:21]
	v_and_b32_e32 v16, 0xff, v19
	v_cmp_ne_u16_e64 s[20:21], 0, v16
	s_and_b64 vcc, exec, s[18:19]
	s_mov_b64 s[92:93], -1
                                        ; implicit-def: $vgpr17
	s_cbranch_vccnz .LBB2_3813
; %bb.3800:                             ;   in Loop: Header=BB2_3559 Depth=2
	v_mov_b32_e32 v48, 0
	v_mov_b32_e32 v34, 0
	s_and_saveexec_b64 s[92:93], s[20:21]
	s_cbranch_execz .LBB2_3806
; %bb.3801:                             ;   in Loop: Header=BB2_3559 Depth=2
	v_cmp_ne_u16_e32 vcc, s52, v16
	v_bfrev_b32_e32 v34, 1
	s_and_saveexec_b64 s[94:95], vcc
	s_cbranch_execz .LBB2_3805
; %bb.3802:                             ;   in Loop: Header=BB2_3559 Depth=2
	v_and_b32_e32 v2, 0x7f, v19
	v_cmp_ne_u32_e32 vcc, s49, v2
	v_mov_b32_e32 v34, 0x7f800001
	s_and_saveexec_b64 s[30:31], vcc
	s_cbranch_execz .LBB2_3804
; %bb.3803:                             ;   in Loop: Header=BB2_3559 Depth=2
	v_and_b32_e32 v17, 7, v16
	v_lshrrev_b32_e32 v34, 3, v2
	v_cmp_gt_u32_e32 vcc, 8, v2
	v_ffbh_u32_e32 v2, v17
	v_min_u32_e32 v2, 32, v2
	v_subrev_u32_e32 v24, 28, v2
	v_lshlrev_b64 v[24:25], v24, v[16:17]
	v_sub_u32_e32 v2, 29, v2
	v_and_b32_e32 v24, 7, v24
	v_cndmask_b32_e32 v2, v34, v2, vcc
	v_cndmask_b32_e32 v17, v17, v24, vcc
	v_lshlrev_b32_e32 v24, 24, v19
	v_lshlrev_b32_e32 v17, 20, v17
	v_and_b32_e32 v24, 0x80000000, v24
	v_lshl_add_u32 v2, v2, 23, v56
	v_or3_b32 v34, v24, v2, v17
.LBB2_3804:                             ;   in Loop: Header=BB2_3559 Depth=2
	s_or_b64 exec, exec, s[30:31]
.LBB2_3805:                             ;   in Loop: Header=BB2_3559 Depth=2
	s_or_b64 exec, exec, s[94:95]
.LBB2_3806:                             ;   in Loop: Header=BB2_3559 Depth=2
	s_or_b64 exec, exec, s[92:93]
	v_and_b32_e32 v17, 0xff, v18
	v_cmp_ne_u16_e32 vcc, 0, v17
	s_and_saveexec_b64 s[92:93], vcc
	s_cbranch_execz .LBB2_3812
; %bb.3807:                             ;   in Loop: Header=BB2_3559 Depth=2
	v_cmp_ne_u16_e32 vcc, s52, v17
	v_bfrev_b32_e32 v48, 1
	s_and_saveexec_b64 s[94:95], vcc
	s_cbranch_execz .LBB2_3811
; %bb.3808:                             ;   in Loop: Header=BB2_3559 Depth=2
	v_and_b32_e32 v2, 0x7f, v18
	v_cmp_ne_u32_e32 vcc, s49, v2
	v_mov_b32_e32 v48, 0x7f800001
	s_and_saveexec_b64 s[30:31], vcc
	s_cbranch_execz .LBB2_3810
; %bb.3809:                             ;   in Loop: Header=BB2_3559 Depth=2
	v_and_b32_e32 v48, 7, v17
	v_lshrrev_b32_e32 v49, 3, v2
	v_cmp_gt_u32_e32 vcc, 8, v2
	v_ffbh_u32_e32 v2, v48
	v_min_u32_e32 v2, 32, v2
	v_subrev_u32_e32 v24, 28, v2
	v_lshlrev_b64 v[24:25], v24, v[17:18]
	v_sub_u32_e32 v2, 29, v2
	v_and_b32_e32 v17, 7, v24
	v_cndmask_b32_e32 v2, v49, v2, vcc
	v_cndmask_b32_e32 v17, v48, v17, vcc
	v_lshlrev_b32_e32 v24, 24, v18
	v_lshlrev_b32_e32 v17, 20, v17
	v_and_b32_e32 v24, 0x80000000, v24
	v_lshl_add_u32 v2, v2, 23, v56
	v_or3_b32 v48, v24, v2, v17
.LBB2_3810:                             ;   in Loop: Header=BB2_3559 Depth=2
	s_or_b64 exec, exec, s[30:31]
.LBB2_3811:                             ;   in Loop: Header=BB2_3559 Depth=2
	s_or_b64 exec, exec, s[94:95]
.LBB2_3812:                             ;   in Loop: Header=BB2_3559 Depth=2
	s_or_b64 exec, exec, s[92:93]
	v_max_f32_e32 v2, v48, v48
	v_max_f32_e32 v17, v34, v34
	;; [unrolled: 1-line block ×3, first 2 shown]
	s_mov_b64 s[92:93], 0
.LBB2_3813:                             ;   in Loop: Header=BB2_3559 Depth=2
	s_and_b64 vcc, exec, s[92:93]
	s_cbranch_vccz .LBB2_3827
; %bb.3814:                             ;   in Loop: Header=BB2_3559 Depth=2
	v_mov_b32_e32 v34, 0
	v_mov_b32_e32 v17, 0
	s_and_saveexec_b64 s[92:93], s[20:21]
	s_cbranch_execz .LBB2_3820
; %bb.3815:                             ;   in Loop: Header=BB2_3559 Depth=2
	v_cmp_ne_u16_e32 vcc, s52, v16
	v_bfrev_b32_e32 v17, 1
	s_and_saveexec_b64 s[20:21], vcc
	s_cbranch_execz .LBB2_3819
; %bb.3816:                             ;   in Loop: Header=BB2_3559 Depth=2
	v_and_b32_e32 v2, 0x7f, v19
	v_cmp_ne_u32_e32 vcc, s49, v2
	v_mov_b32_e32 v17, 0x7f800001
	s_and_saveexec_b64 s[94:95], vcc
	s_cbranch_execz .LBB2_3818
; %bb.3817:                             ;   in Loop: Header=BB2_3559 Depth=2
	v_and_b32_e32 v24, 7, v16
	v_lshrrev_b32_e32 v25, 3, v2
	v_cmp_gt_u32_e32 vcc, 8, v2
	v_ffbh_u32_e32 v2, v24
	v_min_u32_e32 v2, 32, v2
	v_subrev_u32_e32 v17, 28, v2
	v_lshlrev_b64 v[16:17], v17, v[16:17]
	v_sub_u32_e32 v2, 29, v2
	v_and_b32_e32 v16, 7, v16
	v_cndmask_b32_e32 v2, v25, v2, vcc
	v_cndmask_b32_e32 v16, v24, v16, vcc
	v_lshlrev_b32_e32 v17, 24, v19
	v_lshlrev_b32_e32 v16, 20, v16
	v_and_b32_e32 v17, 0x80000000, v17
	v_lshl_add_u32 v2, v2, 23, v56
	v_or3_b32 v17, v17, v2, v16
.LBB2_3818:                             ;   in Loop: Header=BB2_3559 Depth=2
	s_or_b64 exec, exec, s[94:95]
.LBB2_3819:                             ;   in Loop: Header=BB2_3559 Depth=2
	s_or_b64 exec, exec, s[20:21]
.LBB2_3820:                             ;   in Loop: Header=BB2_3559 Depth=2
	s_or_b64 exec, exec, s[92:93]
	v_and_b32_e32 v16, 0xff, v18
	v_cmp_ne_u16_e32 vcc, 0, v16
	s_and_saveexec_b64 s[20:21], vcc
	s_cbranch_execz .LBB2_3826
; %bb.3821:                             ;   in Loop: Header=BB2_3559 Depth=2
	v_cmp_ne_u16_e32 vcc, s52, v16
	v_bfrev_b32_e32 v34, 1
	s_and_saveexec_b64 s[92:93], vcc
	s_cbranch_execz .LBB2_3825
; %bb.3822:                             ;   in Loop: Header=BB2_3559 Depth=2
	v_and_b32_e32 v2, 0x7f, v18
	v_cmp_ne_u32_e32 vcc, s49, v2
	v_mov_b32_e32 v34, 0x7f800001
	s_and_saveexec_b64 s[94:95], vcc
	s_cbranch_execz .LBB2_3824
; %bb.3823:                             ;   in Loop: Header=BB2_3559 Depth=2
	v_and_b32_e32 v19, 7, v16
	v_lshrrev_b32_e32 v34, 3, v2
	v_cmp_gt_u32_e32 vcc, 8, v2
	v_ffbh_u32_e32 v2, v19
	v_min_u32_e32 v2, 32, v2
	v_subrev_u32_e32 v24, 28, v2
	v_lshlrev_b64 v[24:25], v24, v[16:17]
	v_sub_u32_e32 v2, 29, v2
	v_and_b32_e32 v16, 7, v24
	v_cndmask_b32_e32 v2, v34, v2, vcc
	v_cndmask_b32_e32 v16, v19, v16, vcc
	v_lshlrev_b32_e32 v18, 24, v18
	v_lshlrev_b32_e32 v16, 20, v16
	v_and_b32_e32 v18, 0x80000000, v18
	v_lshl_add_u32 v2, v2, 23, v56
	v_or3_b32 v34, v18, v2, v16
.LBB2_3824:                             ;   in Loop: Header=BB2_3559 Depth=2
	s_or_b64 exec, exec, s[94:95]
.LBB2_3825:                             ;   in Loop: Header=BB2_3559 Depth=2
	s_or_b64 exec, exec, s[92:93]
.LBB2_3826:                             ;   in Loop: Header=BB2_3559 Depth=2
	s_or_b64 exec, exec, s[20:21]
	v_max_f32_e32 v2, v34, v34
	v_max_f32_e32 v16, v17, v17
	v_min_f32_e32 v17, v16, v2
.LBB2_3827:                             ;   in Loop: Header=BB2_3559 Depth=2
	v_and_b32_e32 v34, 0x7f800000, v17
	v_cmp_ne_u64_e32 vcc, s[62:63], v[34:35]
                                        ; implicit-def: $vgpr18
	s_and_saveexec_b64 s[20:21], vcc
	s_xor_b64 s[92:93], exec, s[20:21]
	s_cbranch_execz .LBB2_3845
; %bb.3828:                             ;   in Loop: Header=BB2_3559 Depth=2
	v_and_b32_e32 v34, 0x7fffffff, v17
	v_cmp_gt_u64_e32 vcc, s[72:73], v[34:35]
	v_and_b32_sdwa v19, v17, s52 dst_sel:DWORD dst_unused:UNUSED_PAD src0_sel:BYTE_3 src1_sel:DWORD
                                        ; implicit-def: $vgpr18
	s_and_saveexec_b64 s[20:21], vcc
	s_xor_b64 s[94:95], exec, s[20:21]
	s_cbranch_execz .LBB2_3842
; %bb.3829:                             ;   in Loop: Header=BB2_3559 Depth=2
	v_cmp_ne_u32_e32 vcc, 0, v17
	v_mov_b32_e32 v18, 0
	s_and_saveexec_b64 s[30:31], vcc
	s_cbranch_execz .LBB2_3841
; %bb.3830:                             ;   in Loop: Header=BB2_3559 Depth=2
	v_bfe_u32 v18, v17, 23, 8
	v_cmp_gt_u32_e64 s[20:21], s53, v18
	v_sub_u32_e32 v2, 0x79, v18
	v_and_b32_e32 v16, 0x7fffff, v17
	v_cmp_eq_u32_e32 vcc, 0, v18
	v_cndmask_b32_e64 v2, 0, v2, s[20:21]
	v_or_b32_e32 v17, 0x800000, v16
	v_cndmask_b32_e32 v2, v2, v60, vcc
	v_cndmask_b32_e32 v34, v17, v16, vcc
	v_add_u32_e32 v16, 20, v2
	v_lshlrev_b64 v[16:17], v16, -1
	v_add_u32_e32 v24, 19, v2
	v_lshlrev_b64 v[24:25], v24, 1
	v_bfi_b32 v17, v17, 0, 0
	v_bfi_b32 v16, v16, 0, v34
	v_cmp_eq_u64_e64 s[20:21], v[16:17], v[24:25]
	v_lshrrev_b64 v[16:17], v2, v[34:35]
	v_mov_b32_e32 v49, v17
	v_mov_b32_e32 v48, v16
	s_and_saveexec_b64 s[34:35], s[20:21]
; %bb.3831:                             ;   in Loop: Header=BB2_3559 Depth=2
	v_bfe_u32 v17, v16, 20, 1
	v_add_co_u32_e64 v17, s[20:21], v16, v17
	v_add_co_u32_e64 v48, s[20:21], -1, v17
; %bb.3832:                             ;   in Loop: Header=BB2_3559 Depth=2
	s_or_b64 exec, exec, s[34:35]
	v_add_u32_e32 v17, 0xffffff81, v18
	v_cndmask_b32_e32 v17, v17, v61, vcc
	v_lshrrev_b32_e32 v18, 23, v16
	v_add3_u32 v18, v2, v17, v18
	v_add_u32_e32 v2, 6, v18
	v_and_b32_e32 v17, 0xfffff, v48
	v_add_u32_e32 v34, v17, v16
	v_cmp_ne_u32_e32 vcc, 0, v2
                                        ; implicit-def: $vgpr16_vgpr17
                                        ; implicit-def: $vgpr48
	s_and_saveexec_b64 s[20:21], vcc
	s_xor_b64 s[20:21], exec, s[20:21]
; %bb.3833:                             ;   in Loop: Header=BB2_3559 Depth=2
	v_cmp_lt_u64_e32 vcc, s[74:75], v[34:35]
	v_add_u32_e32 v16, 7, v18
	v_cndmask_b32_e32 v48, v2, v16, vcc
	v_cndmask_b32_e64 v2, 0, 1, vcc
	v_lshrrev_b64 v[16:17], v2, v[34:35]
; %bb.3834:                             ;   in Loop: Header=BB2_3559 Depth=2
	s_andn2_saveexec_b64 s[20:21], s[20:21]
; %bb.3835:                             ;   in Loop: Header=BB2_3559 Depth=2
	v_mov_b32_e32 v16, v34
	v_bfe_u32 v48, v34, 23, 1
	v_mov_b32_e32 v17, v35
; %bb.3836:                             ;   in Loop: Header=BB2_3559 Depth=2
	s_or_b64 exec, exec, s[20:21]
	v_lshrrev_b64 v[16:17], 20, v[16:17]
	v_cmp_gt_i32_e32 vcc, 16, v48
	v_cndmask_b32_e32 v17, 0, v17, vcc
	v_cndmask_b32_e32 v16, 7, v16, vcc
	v_cmp_ne_u64_e32 vcc, 0, v[16:17]
	v_cmp_ne_u32_e64 s[20:21], 0, v48
	s_or_b64 s[20:21], s[20:21], vcc
                                        ; implicit-def: $vgpr18
	s_and_saveexec_b64 vcc, s[20:21]
	s_xor_b64 s[20:21], exec, vcc
; %bb.3837:                             ;   in Loop: Header=BB2_3559 Depth=2
	v_min_i32_e32 v2, 15, v48
	v_lshl_or_b32 v2, v2, 3, v19
	v_and_or_b32 v18, v16, 7, v2
                                        ; implicit-def: $vgpr19
; %bb.3838:                             ;   in Loop: Header=BB2_3559 Depth=2
	s_andn2_saveexec_b64 s[20:21], s[20:21]
; %bb.3839:                             ;   in Loop: Header=BB2_3559 Depth=2
	v_mov_b32_e32 v18, v19
; %bb.3840:                             ;   in Loop: Header=BB2_3559 Depth=2
	s_or_b64 exec, exec, s[20:21]
.LBB2_3841:                             ;   in Loop: Header=BB2_3559 Depth=2
	s_or_b64 exec, exec, s[30:31]
                                        ; implicit-def: $vgpr19
.LBB2_3842:                             ;   in Loop: Header=BB2_3559 Depth=2
	s_andn2_saveexec_b64 s[20:21], s[94:95]
; %bb.3843:                             ;   in Loop: Header=BB2_3559 Depth=2
	v_or_b32_e32 v18, 0x7e, v19
; %bb.3844:                             ;   in Loop: Header=BB2_3559 Depth=2
	s_or_b64 exec, exec, s[20:21]
                                        ; implicit-def: $vgpr17
.LBB2_3845:                             ;   in Loop: Header=BB2_3559 Depth=2
	s_andn2_saveexec_b64 s[20:21], s[92:93]
; %bb.3846:                             ;   in Loop: Header=BB2_3559 Depth=2
	v_or_b32_sdwa v18, v17, s49 dst_sel:DWORD dst_unused:UNUSED_PAD src0_sel:BYTE_3 src1_sel:DWORD
; %bb.3847:                             ;   in Loop: Header=BB2_3559 Depth=2
	s_or_b64 exec, exec, s[20:21]
	v_and_b32_e32 v16, 0xff, v50
	v_cmp_ne_u16_e64 s[20:21], 0, v16
	s_and_b64 vcc, exec, s[18:19]
	s_mov_b64 s[92:93], -1
                                        ; implicit-def: $vgpr17
	s_cbranch_vccnz .LBB2_3861
; %bb.3848:                             ;   in Loop: Header=BB2_3559 Depth=2
	v_mov_b32_e32 v34, 0
	v_mov_b32_e32 v19, 0
	s_and_saveexec_b64 s[92:93], s[20:21]
	s_cbranch_execz .LBB2_3854
; %bb.3849:                             ;   in Loop: Header=BB2_3559 Depth=2
	v_cmp_ne_u16_e32 vcc, s52, v16
	v_bfrev_b32_e32 v19, 1
	s_and_saveexec_b64 s[94:95], vcc
	s_cbranch_execz .LBB2_3853
; %bb.3850:                             ;   in Loop: Header=BB2_3559 Depth=2
	v_and_b32_e32 v2, 0x7f, v50
	v_cmp_ne_u32_e32 vcc, s49, v2
	v_mov_b32_e32 v19, 0x7f800001
	s_and_saveexec_b64 s[30:31], vcc
	s_cbranch_execz .LBB2_3852
; %bb.3851:                             ;   in Loop: Header=BB2_3559 Depth=2
	v_and_b32_e32 v17, 7, v16
	v_lshrrev_b32_e32 v19, 3, v2
	v_cmp_gt_u32_e32 vcc, 8, v2
	v_ffbh_u32_e32 v2, v17
	v_min_u32_e32 v2, 32, v2
	v_subrev_u32_e32 v24, 28, v2
	v_lshlrev_b64 v[24:25], v24, v[16:17]
	v_sub_u32_e32 v2, 29, v2
	v_and_b32_e32 v24, 7, v24
	v_cndmask_b32_e32 v2, v19, v2, vcc
	v_cndmask_b32_e32 v17, v17, v24, vcc
	v_lshlrev_b32_e32 v19, 24, v50
	v_lshlrev_b32_e32 v17, 20, v17
	v_and_b32_e32 v19, 0x80000000, v19
	v_lshl_add_u32 v2, v2, 23, v56
	v_or3_b32 v19, v19, v2, v17
.LBB2_3852:                             ;   in Loop: Header=BB2_3559 Depth=2
	s_or_b64 exec, exec, s[30:31]
.LBB2_3853:                             ;   in Loop: Header=BB2_3559 Depth=2
	s_or_b64 exec, exec, s[94:95]
.LBB2_3854:                             ;   in Loop: Header=BB2_3559 Depth=2
	s_or_b64 exec, exec, s[92:93]
	v_and_b32_e32 v17, 0xff, v0
	v_cmp_ne_u16_e32 vcc, 0, v17
	s_and_saveexec_b64 s[92:93], vcc
	s_cbranch_execz .LBB2_3860
; %bb.3855:                             ;   in Loop: Header=BB2_3559 Depth=2
	v_cmp_ne_u16_e32 vcc, s52, v17
	v_bfrev_b32_e32 v34, 1
	s_and_saveexec_b64 s[94:95], vcc
	s_cbranch_execz .LBB2_3859
; %bb.3856:                             ;   in Loop: Header=BB2_3559 Depth=2
	v_and_b32_e32 v2, 0x7f, v0
	v_cmp_ne_u32_e32 vcc, s49, v2
	v_mov_b32_e32 v34, 0x7f800001
	s_and_saveexec_b64 s[30:31], vcc
	s_cbranch_execz .LBB2_3858
; %bb.3857:                             ;   in Loop: Header=BB2_3559 Depth=2
	v_and_b32_e32 v34, 7, v17
	v_lshrrev_b32_e32 v48, 3, v2
	v_cmp_gt_u32_e32 vcc, 8, v2
	v_ffbh_u32_e32 v2, v34
	v_min_u32_e32 v2, 32, v2
	v_subrev_u32_e32 v24, 28, v2
	v_lshlrev_b64 v[24:25], v24, v[17:18]
	v_sub_u32_e32 v2, 29, v2
	v_and_b32_e32 v17, 7, v24
	v_cndmask_b32_e32 v2, v48, v2, vcc
	v_cndmask_b32_e32 v17, v34, v17, vcc
	v_lshlrev_b32_e32 v24, 24, v0
	v_lshlrev_b32_e32 v17, 20, v17
	v_and_b32_e32 v24, 0x80000000, v24
	v_lshl_add_u32 v2, v2, 23, v56
	v_or3_b32 v34, v24, v2, v17
.LBB2_3858:                             ;   in Loop: Header=BB2_3559 Depth=2
	s_or_b64 exec, exec, s[30:31]
.LBB2_3859:                             ;   in Loop: Header=BB2_3559 Depth=2
	s_or_b64 exec, exec, s[94:95]
.LBB2_3860:                             ;   in Loop: Header=BB2_3559 Depth=2
	s_or_b64 exec, exec, s[92:93]
	v_max_f32_e32 v2, v34, v34
	v_max_f32_e32 v17, v19, v19
	;; [unrolled: 1-line block ×3, first 2 shown]
	s_mov_b64 s[92:93], 0
.LBB2_3861:                             ;   in Loop: Header=BB2_3559 Depth=2
	s_and_b64 vcc, exec, s[92:93]
	s_cbranch_vccz .LBB2_3875
; %bb.3862:                             ;   in Loop: Header=BB2_3559 Depth=2
	v_mov_b32_e32 v19, 0
	v_mov_b32_e32 v17, 0
	s_and_saveexec_b64 s[92:93], s[20:21]
	s_cbranch_execz .LBB2_3868
; %bb.3863:                             ;   in Loop: Header=BB2_3559 Depth=2
	v_cmp_ne_u16_e32 vcc, s52, v16
	v_bfrev_b32_e32 v17, 1
	s_and_saveexec_b64 s[20:21], vcc
	s_cbranch_execz .LBB2_3867
; %bb.3864:                             ;   in Loop: Header=BB2_3559 Depth=2
	v_and_b32_e32 v2, 0x7f, v50
	v_cmp_ne_u32_e32 vcc, s49, v2
	v_mov_b32_e32 v17, 0x7f800001
	s_and_saveexec_b64 s[94:95], vcc
	s_cbranch_execz .LBB2_3866
; %bb.3865:                             ;   in Loop: Header=BB2_3559 Depth=2
	v_and_b32_e32 v24, 7, v16
	v_lshrrev_b32_e32 v25, 3, v2
	v_cmp_gt_u32_e32 vcc, 8, v2
	v_ffbh_u32_e32 v2, v24
	v_min_u32_e32 v2, 32, v2
	v_subrev_u32_e32 v17, 28, v2
	v_lshlrev_b64 v[16:17], v17, v[16:17]
	v_sub_u32_e32 v2, 29, v2
	v_and_b32_e32 v16, 7, v16
	v_cndmask_b32_e32 v2, v25, v2, vcc
	v_cndmask_b32_e32 v16, v24, v16, vcc
	v_lshlrev_b32_e32 v17, 24, v50
	v_lshlrev_b32_e32 v16, 20, v16
	v_and_b32_e32 v17, 0x80000000, v17
	v_lshl_add_u32 v2, v2, 23, v56
	v_or3_b32 v17, v17, v2, v16
.LBB2_3866:                             ;   in Loop: Header=BB2_3559 Depth=2
	s_or_b64 exec, exec, s[94:95]
.LBB2_3867:                             ;   in Loop: Header=BB2_3559 Depth=2
	s_or_b64 exec, exec, s[20:21]
.LBB2_3868:                             ;   in Loop: Header=BB2_3559 Depth=2
	s_or_b64 exec, exec, s[92:93]
	v_and_b32_e32 v16, 0xff, v0
	v_cmp_ne_u16_e32 vcc, 0, v16
	s_and_saveexec_b64 s[20:21], vcc
	s_cbranch_execz .LBB2_3874
; %bb.3869:                             ;   in Loop: Header=BB2_3559 Depth=2
	v_cmp_ne_u16_e32 vcc, s52, v16
	v_bfrev_b32_e32 v19, 1
	s_and_saveexec_b64 s[92:93], vcc
	s_cbranch_execz .LBB2_3873
; %bb.3870:                             ;   in Loop: Header=BB2_3559 Depth=2
	v_and_b32_e32 v2, 0x7f, v0
	v_cmp_ne_u32_e32 vcc, s49, v2
	v_mov_b32_e32 v19, 0x7f800001
	s_and_saveexec_b64 s[94:95], vcc
	s_cbranch_execz .LBB2_3872
; %bb.3871:                             ;   in Loop: Header=BB2_3559 Depth=2
	v_and_b32_e32 v19, 7, v16
	v_lshrrev_b32_e32 v34, 3, v2
	v_cmp_gt_u32_e32 vcc, 8, v2
	v_ffbh_u32_e32 v2, v19
	v_min_u32_e32 v2, 32, v2
	v_subrev_u32_e32 v24, 28, v2
	v_lshlrev_b64 v[24:25], v24, v[16:17]
	v_sub_u32_e32 v2, 29, v2
	v_and_b32_e32 v16, 7, v24
	v_cndmask_b32_e32 v2, v34, v2, vcc
	v_cndmask_b32_e32 v16, v19, v16, vcc
	v_lshlrev_b32_e32 v0, 24, v0
	v_lshlrev_b32_e32 v16, 20, v16
	v_and_b32_e32 v0, 0x80000000, v0
	v_lshl_add_u32 v2, v2, 23, v56
	v_or3_b32 v19, v0, v2, v16
.LBB2_3872:                             ;   in Loop: Header=BB2_3559 Depth=2
	s_or_b64 exec, exec, s[94:95]
.LBB2_3873:                             ;   in Loop: Header=BB2_3559 Depth=2
	s_or_b64 exec, exec, s[92:93]
.LBB2_3874:                             ;   in Loop: Header=BB2_3559 Depth=2
	s_or_b64 exec, exec, s[20:21]
	v_max_f32_e32 v0, v19, v19
	v_max_f32_e32 v2, v17, v17
	v_min_f32_e32 v17, v2, v0
.LBB2_3875:                             ;   in Loop: Header=BB2_3559 Depth=2
	v_and_b32_e32 v34, 0x7f800000, v17
	v_cmp_ne_u64_e32 vcc, s[62:63], v[34:35]
                                        ; implicit-def: $vgpr0
	s_and_saveexec_b64 s[20:21], vcc
	s_xor_b64 s[92:93], exec, s[20:21]
	s_cbranch_execz .LBB2_3893
; %bb.3876:                             ;   in Loop: Header=BB2_3559 Depth=2
	v_and_b32_e32 v34, 0x7fffffff, v17
	v_cmp_gt_u64_e32 vcc, s[72:73], v[34:35]
	v_and_b32_sdwa v19, v17, s52 dst_sel:DWORD dst_unused:UNUSED_PAD src0_sel:BYTE_3 src1_sel:DWORD
                                        ; implicit-def: $vgpr0
	s_and_saveexec_b64 s[20:21], vcc
	s_xor_b64 s[94:95], exec, s[20:21]
	s_cbranch_execz .LBB2_3890
; %bb.3877:                             ;   in Loop: Header=BB2_3559 Depth=2
	v_cmp_ne_u32_e32 vcc, 0, v17
	v_mov_b32_e32 v0, 0
	s_and_saveexec_b64 s[30:31], vcc
	s_cbranch_execz .LBB2_3889
; %bb.3878:                             ;   in Loop: Header=BB2_3559 Depth=2
	v_bfe_u32 v0, v17, 23, 8
	v_cmp_gt_u32_e64 s[20:21], s53, v0
	v_sub_u32_e32 v2, 0x79, v0
	v_and_b32_e32 v16, 0x7fffff, v17
	v_cmp_eq_u32_e32 vcc, 0, v0
	v_cndmask_b32_e64 v2, 0, v2, s[20:21]
	v_or_b32_e32 v17, 0x800000, v16
	v_cndmask_b32_e32 v2, v2, v60, vcc
	v_cndmask_b32_e32 v34, v17, v16, vcc
	v_add_u32_e32 v16, 20, v2
	v_lshlrev_b64 v[16:17], v16, -1
	v_add_u32_e32 v24, 19, v2
	v_lshlrev_b64 v[24:25], v24, 1
	v_bfi_b32 v17, v17, 0, 0
	v_bfi_b32 v16, v16, 0, v34
	v_cmp_eq_u64_e64 s[20:21], v[16:17], v[24:25]
	v_lshrrev_b64 v[16:17], v2, v[34:35]
	v_mov_b32_e32 v49, v17
	v_mov_b32_e32 v48, v16
	s_and_saveexec_b64 s[34:35], s[20:21]
; %bb.3879:                             ;   in Loop: Header=BB2_3559 Depth=2
	v_bfe_u32 v17, v16, 20, 1
	v_add_co_u32_e64 v17, s[20:21], v16, v17
	v_add_co_u32_e64 v48, s[20:21], -1, v17
; %bb.3880:                             ;   in Loop: Header=BB2_3559 Depth=2
	s_or_b64 exec, exec, s[34:35]
	v_add_u32_e32 v0, 0xffffff81, v0
	v_cndmask_b32_e32 v0, v0, v61, vcc
	v_lshrrev_b32_e32 v17, 23, v16
	v_add3_u32 v2, v2, v0, v17
	v_add_u32_e32 v0, 6, v2
	v_and_b32_e32 v17, 0xfffff, v48
	v_add_u32_e32 v34, v17, v16
	v_cmp_ne_u32_e32 vcc, 0, v0
                                        ; implicit-def: $vgpr16_vgpr17
                                        ; implicit-def: $vgpr48
	s_and_saveexec_b64 s[20:21], vcc
	s_xor_b64 s[20:21], exec, s[20:21]
; %bb.3881:                             ;   in Loop: Header=BB2_3559 Depth=2
	v_cmp_lt_u64_e32 vcc, s[74:75], v[34:35]
	v_add_u32_e32 v2, 7, v2
	v_cndmask_b32_e32 v48, v0, v2, vcc
	v_cndmask_b32_e64 v0, 0, 1, vcc
	v_lshrrev_b64 v[16:17], v0, v[34:35]
; %bb.3882:                             ;   in Loop: Header=BB2_3559 Depth=2
	s_andn2_saveexec_b64 s[20:21], s[20:21]
; %bb.3883:                             ;   in Loop: Header=BB2_3559 Depth=2
	v_mov_b32_e32 v16, v34
	v_bfe_u32 v48, v34, 23, 1
	v_mov_b32_e32 v17, v35
; %bb.3884:                             ;   in Loop: Header=BB2_3559 Depth=2
	s_or_b64 exec, exec, s[20:21]
	v_lshrrev_b64 v[16:17], 20, v[16:17]
	v_cmp_gt_i32_e32 vcc, 16, v48
	v_cndmask_b32_e32 v17, 0, v17, vcc
	v_cndmask_b32_e32 v16, 7, v16, vcc
	v_cmp_ne_u64_e32 vcc, 0, v[16:17]
	v_cmp_ne_u32_e64 s[20:21], 0, v48
	s_or_b64 s[20:21], s[20:21], vcc
                                        ; implicit-def: $vgpr0
	s_and_saveexec_b64 vcc, s[20:21]
	s_xor_b64 s[20:21], exec, vcc
; %bb.3885:                             ;   in Loop: Header=BB2_3559 Depth=2
	v_min_i32_e32 v0, 15, v48
	v_lshl_or_b32 v0, v0, 3, v19
	v_and_or_b32 v0, v16, 7, v0
                                        ; implicit-def: $vgpr19
; %bb.3886:                             ;   in Loop: Header=BB2_3559 Depth=2
	s_andn2_saveexec_b64 s[20:21], s[20:21]
; %bb.3887:                             ;   in Loop: Header=BB2_3559 Depth=2
	v_mov_b32_e32 v0, v19
; %bb.3888:                             ;   in Loop: Header=BB2_3559 Depth=2
	s_or_b64 exec, exec, s[20:21]
.LBB2_3889:                             ;   in Loop: Header=BB2_3559 Depth=2
	s_or_b64 exec, exec, s[30:31]
                                        ; implicit-def: $vgpr19
.LBB2_3890:                             ;   in Loop: Header=BB2_3559 Depth=2
	s_andn2_saveexec_b64 s[20:21], s[94:95]
; %bb.3891:                             ;   in Loop: Header=BB2_3559 Depth=2
	v_or_b32_e32 v0, 0x7e, v19
; %bb.3892:                             ;   in Loop: Header=BB2_3559 Depth=2
	s_or_b64 exec, exec, s[20:21]
                                        ; implicit-def: $vgpr17
.LBB2_3893:                             ;   in Loop: Header=BB2_3559 Depth=2
	s_andn2_saveexec_b64 s[20:21], s[92:93]
; %bb.3894:                             ;   in Loop: Header=BB2_3559 Depth=2
	v_or_b32_sdwa v0, v17, s49 dst_sel:DWORD dst_unused:UNUSED_PAD src0_sel:BYTE_3 src1_sel:DWORD
; %bb.3895:                             ;   in Loop: Header=BB2_3559 Depth=2
	s_or_b64 exec, exec, s[20:21]
	v_and_b32_e32 v16, 0xff, v31
	v_cmp_ne_u16_e64 s[20:21], 0, v16
	s_and_b64 vcc, exec, s[18:19]
	s_mov_b64 s[18:19], -1
                                        ; implicit-def: $vgpr48
	s_cbranch_vccnz .LBB2_3909
; %bb.3896:                             ;   in Loop: Header=BB2_3559 Depth=2
	v_mov_b32_e32 v34, 0
	v_mov_b32_e32 v19, 0
	s_and_saveexec_b64 s[18:19], s[20:21]
	s_cbranch_execz .LBB2_3902
; %bb.3897:                             ;   in Loop: Header=BB2_3559 Depth=2
	v_cmp_ne_u16_e32 vcc, s52, v16
	v_bfrev_b32_e32 v19, 1
	s_and_saveexec_b64 s[92:93], vcc
	s_cbranch_execz .LBB2_3901
; %bb.3898:                             ;   in Loop: Header=BB2_3559 Depth=2
	v_and_b32_e32 v2, 0x7f, v31
	v_cmp_ne_u32_e32 vcc, s49, v2
	v_mov_b32_e32 v19, 0x7f800001
	s_and_saveexec_b64 s[94:95], vcc
	s_cbranch_execz .LBB2_3900
; %bb.3899:                             ;   in Loop: Header=BB2_3559 Depth=2
	v_and_b32_e32 v17, 7, v16
	v_lshrrev_b32_e32 v19, 3, v2
	v_cmp_gt_u32_e32 vcc, 8, v2
	v_ffbh_u32_e32 v2, v17
	v_min_u32_e32 v2, 32, v2
	v_subrev_u32_e32 v24, 28, v2
	v_lshlrev_b64 v[24:25], v24, v[16:17]
	v_sub_u32_e32 v2, 29, v2
	v_and_b32_e32 v24, 7, v24
	v_cndmask_b32_e32 v2, v19, v2, vcc
	v_cndmask_b32_e32 v17, v17, v24, vcc
	v_lshlrev_b32_e32 v19, 24, v31
	v_lshlrev_b32_e32 v17, 20, v17
	v_and_b32_e32 v19, 0x80000000, v19
	v_lshl_add_u32 v2, v2, 23, v56
	v_or3_b32 v19, v19, v2, v17
.LBB2_3900:                             ;   in Loop: Header=BB2_3559 Depth=2
	s_or_b64 exec, exec, s[94:95]
.LBB2_3901:                             ;   in Loop: Header=BB2_3559 Depth=2
	s_or_b64 exec, exec, s[92:93]
.LBB2_3902:                             ;   in Loop: Header=BB2_3559 Depth=2
	s_or_b64 exec, exec, s[18:19]
	v_and_b32_e32 v17, 0xff, v30
	v_cmp_ne_u16_e32 vcc, 0, v17
	s_and_saveexec_b64 s[18:19], vcc
	s_cbranch_execz .LBB2_3908
; %bb.3903:                             ;   in Loop: Header=BB2_3559 Depth=2
	v_cmp_ne_u16_e32 vcc, s52, v17
	v_bfrev_b32_e32 v34, 1
	s_and_saveexec_b64 s[92:93], vcc
	s_cbranch_execz .LBB2_3907
; %bb.3904:                             ;   in Loop: Header=BB2_3559 Depth=2
	v_and_b32_e32 v2, 0x7f, v30
	v_cmp_ne_u32_e32 vcc, s49, v2
	v_mov_b32_e32 v34, 0x7f800001
	s_and_saveexec_b64 s[94:95], vcc
	s_cbranch_execz .LBB2_3906
; %bb.3905:                             ;   in Loop: Header=BB2_3559 Depth=2
	v_and_b32_e32 v34, 7, v17
	v_lshrrev_b32_e32 v48, 3, v2
	v_cmp_gt_u32_e32 vcc, 8, v2
	v_ffbh_u32_e32 v2, v34
	v_min_u32_e32 v2, 32, v2
	v_subrev_u32_e32 v24, 28, v2
	v_lshlrev_b64 v[24:25], v24, v[17:18]
	v_sub_u32_e32 v2, 29, v2
	v_and_b32_e32 v17, 7, v24
	v_cndmask_b32_e32 v2, v48, v2, vcc
	v_cndmask_b32_e32 v17, v34, v17, vcc
	v_lshlrev_b32_e32 v24, 24, v30
	v_lshlrev_b32_e32 v17, 20, v17
	v_and_b32_e32 v24, 0x80000000, v24
	v_lshl_add_u32 v2, v2, 23, v56
	v_or3_b32 v34, v24, v2, v17
.LBB2_3906:                             ;   in Loop: Header=BB2_3559 Depth=2
	s_or_b64 exec, exec, s[94:95]
.LBB2_3907:                             ;   in Loop: Header=BB2_3559 Depth=2
	s_or_b64 exec, exec, s[92:93]
.LBB2_3908:                             ;   in Loop: Header=BB2_3559 Depth=2
	s_or_b64 exec, exec, s[18:19]
	v_max_f32_e32 v2, v34, v34
	v_max_f32_e32 v17, v19, v19
	v_max_f32_e32 v48, v17, v2
	s_mov_b64 s[18:19], 0
.LBB2_3909:                             ;   in Loop: Header=BB2_3559 Depth=2
	s_and_b64 vcc, exec, s[18:19]
	s_cbranch_vccz .LBB2_3923
; %bb.3910:                             ;   in Loop: Header=BB2_3559 Depth=2
	v_mov_b32_e32 v19, 0
	v_mov_b32_e32 v17, 0
	s_and_saveexec_b64 s[18:19], s[20:21]
	s_cbranch_execz .LBB2_3916
; %bb.3911:                             ;   in Loop: Header=BB2_3559 Depth=2
	v_cmp_ne_u16_e32 vcc, s52, v16
	v_bfrev_b32_e32 v17, 1
	s_and_saveexec_b64 s[20:21], vcc
	s_cbranch_execz .LBB2_3915
; %bb.3912:                             ;   in Loop: Header=BB2_3559 Depth=2
	v_and_b32_e32 v2, 0x7f, v31
	v_cmp_ne_u32_e32 vcc, s49, v2
	v_mov_b32_e32 v17, 0x7f800001
	s_and_saveexec_b64 s[92:93], vcc
	s_cbranch_execz .LBB2_3914
; %bb.3913:                             ;   in Loop: Header=BB2_3559 Depth=2
	v_and_b32_e32 v24, 7, v16
	v_lshrrev_b32_e32 v25, 3, v2
	v_cmp_gt_u32_e32 vcc, 8, v2
	v_ffbh_u32_e32 v2, v24
	v_min_u32_e32 v2, 32, v2
	v_subrev_u32_e32 v17, 28, v2
	v_lshlrev_b64 v[16:17], v17, v[16:17]
	v_sub_u32_e32 v2, 29, v2
	v_and_b32_e32 v16, 7, v16
	v_cndmask_b32_e32 v2, v25, v2, vcc
	v_cndmask_b32_e32 v16, v24, v16, vcc
	v_lshlrev_b32_e32 v17, 24, v31
	v_lshlrev_b32_e32 v16, 20, v16
	v_and_b32_e32 v17, 0x80000000, v17
	v_lshl_add_u32 v2, v2, 23, v56
	v_or3_b32 v17, v17, v2, v16
.LBB2_3914:                             ;   in Loop: Header=BB2_3559 Depth=2
	s_or_b64 exec, exec, s[92:93]
.LBB2_3915:                             ;   in Loop: Header=BB2_3559 Depth=2
	s_or_b64 exec, exec, s[20:21]
.LBB2_3916:                             ;   in Loop: Header=BB2_3559 Depth=2
	s_or_b64 exec, exec, s[18:19]
	v_and_b32_e32 v16, 0xff, v30
	v_cmp_ne_u16_e32 vcc, 0, v16
	s_and_saveexec_b64 s[18:19], vcc
	s_cbranch_execz .LBB2_3922
; %bb.3917:                             ;   in Loop: Header=BB2_3559 Depth=2
	v_cmp_ne_u16_e32 vcc, s52, v16
	v_bfrev_b32_e32 v19, 1
	s_and_saveexec_b64 s[20:21], vcc
	s_cbranch_execz .LBB2_3921
; %bb.3918:                             ;   in Loop: Header=BB2_3559 Depth=2
	v_and_b32_e32 v2, 0x7f, v30
	v_cmp_ne_u32_e32 vcc, s49, v2
	v_mov_b32_e32 v19, 0x7f800001
	s_and_saveexec_b64 s[92:93], vcc
	s_cbranch_execz .LBB2_3920
; %bb.3919:                             ;   in Loop: Header=BB2_3559 Depth=2
	v_and_b32_e32 v19, 7, v16
	v_lshrrev_b32_e32 v31, 3, v2
	v_cmp_gt_u32_e32 vcc, 8, v2
	v_ffbh_u32_e32 v2, v19
	v_min_u32_e32 v2, 32, v2
	v_subrev_u32_e32 v24, 28, v2
	v_lshlrev_b64 v[24:25], v24, v[16:17]
	v_sub_u32_e32 v2, 29, v2
	v_and_b32_e32 v16, 7, v24
	v_cndmask_b32_e32 v2, v31, v2, vcc
	v_cndmask_b32_e32 v16, v19, v16, vcc
	v_lshlrev_b32_e32 v19, 24, v30
	v_lshlrev_b32_e32 v16, 20, v16
	v_and_b32_e32 v19, 0x80000000, v19
	v_lshl_add_u32 v2, v2, 23, v56
	v_or3_b32 v19, v19, v2, v16
.LBB2_3920:                             ;   in Loop: Header=BB2_3559 Depth=2
	s_or_b64 exec, exec, s[92:93]
.LBB2_3921:                             ;   in Loop: Header=BB2_3559 Depth=2
	s_or_b64 exec, exec, s[20:21]
.LBB2_3922:                             ;   in Loop: Header=BB2_3559 Depth=2
	s_or_b64 exec, exec, s[18:19]
	v_max_f32_e32 v2, v19, v19
	v_max_f32_e32 v16, v17, v17
	v_min_f32_e32 v48, v16, v2
.LBB2_3923:                             ;   in Loop: Header=BB2_3559 Depth=2
	v_and_b32_e32 v34, 0x7f800000, v48
	v_cmp_ne_u64_e32 vcc, s[62:63], v[34:35]
                                        ; implicit-def: $vgpr17
	s_and_saveexec_b64 s[18:19], vcc
	s_xor_b64 s[20:21], exec, s[18:19]
	s_cbranch_execz .LBB2_3941
; %bb.3924:                             ;   in Loop: Header=BB2_3559 Depth=2
	v_and_b32_e32 v34, 0x7fffffff, v48
	v_cmp_gt_u64_e32 vcc, s[72:73], v[34:35]
	v_and_b32_sdwa v19, v48, s52 dst_sel:DWORD dst_unused:UNUSED_PAD src0_sel:BYTE_3 src1_sel:DWORD
                                        ; implicit-def: $vgpr17
	s_and_saveexec_b64 s[18:19], vcc
	s_xor_b64 s[92:93], exec, s[18:19]
	s_cbranch_execz .LBB2_3938
; %bb.3925:                             ;   in Loop: Header=BB2_3559 Depth=2
	v_cmp_ne_u32_e32 vcc, 0, v48
	v_mov_b32_e32 v17, 0
	s_and_saveexec_b64 s[94:95], vcc
	s_cbranch_execz .LBB2_3937
; %bb.3926:                             ;   in Loop: Header=BB2_3559 Depth=2
	v_bfe_u32 v30, v48, 23, 8
	v_cmp_gt_u32_e64 s[18:19], s53, v30
	v_sub_u32_e32 v2, 0x79, v30
	v_and_b32_e32 v16, 0x7fffff, v48
	v_cmp_eq_u32_e32 vcc, 0, v30
	v_cndmask_b32_e64 v2, 0, v2, s[18:19]
	v_or_b32_e32 v17, 0x800000, v16
	v_cndmask_b32_e32 v2, v2, v60, vcc
	v_cndmask_b32_e32 v34, v17, v16, vcc
	v_add_u32_e32 v16, 20, v2
	v_lshlrev_b64 v[16:17], v16, -1
	v_add_u32_e32 v24, 19, v2
	v_lshlrev_b64 v[24:25], v24, 1
	v_bfi_b32 v17, v17, 0, 0
	v_bfi_b32 v16, v16, 0, v34
	v_cmp_eq_u64_e64 s[18:19], v[16:17], v[24:25]
	v_lshrrev_b64 v[16:17], v2, v[34:35]
	v_mov_b32_e32 v49, v17
	v_mov_b32_e32 v48, v16
	s_and_saveexec_b64 s[30:31], s[18:19]
; %bb.3927:                             ;   in Loop: Header=BB2_3559 Depth=2
	v_bfe_u32 v17, v16, 20, 1
	v_add_co_u32_e64 v17, s[18:19], v16, v17
	v_add_co_u32_e64 v48, s[18:19], -1, v17
; %bb.3928:                             ;   in Loop: Header=BB2_3559 Depth=2
	s_or_b64 exec, exec, s[30:31]
	v_add_u32_e32 v17, 0xffffff81, v30
	v_cndmask_b32_e32 v17, v17, v61, vcc
	v_lshrrev_b32_e32 v24, 23, v16
	v_add3_u32 v31, v2, v17, v24
	v_add_u32_e32 v2, 6, v31
	v_and_b32_e32 v17, 0xfffff, v48
	v_add_u32_e32 v34, v17, v16
	v_cmp_ne_u32_e32 vcc, 0, v2
                                        ; implicit-def: $vgpr16_vgpr17
                                        ; implicit-def: $vgpr30
	s_and_saveexec_b64 s[18:19], vcc
	s_xor_b64 s[18:19], exec, s[18:19]
; %bb.3929:                             ;   in Loop: Header=BB2_3559 Depth=2
	v_cmp_lt_u64_e32 vcc, s[74:75], v[34:35]
	v_add_u32_e32 v16, 7, v31
	v_cndmask_b32_e32 v30, v2, v16, vcc
	v_cndmask_b32_e64 v2, 0, 1, vcc
	v_lshrrev_b64 v[16:17], v2, v[34:35]
; %bb.3930:                             ;   in Loop: Header=BB2_3559 Depth=2
	s_andn2_saveexec_b64 s[18:19], s[18:19]
; %bb.3931:                             ;   in Loop: Header=BB2_3559 Depth=2
	v_mov_b32_e32 v16, v34
	v_bfe_u32 v30, v34, 23, 1
	v_mov_b32_e32 v17, v35
; %bb.3932:                             ;   in Loop: Header=BB2_3559 Depth=2
	s_or_b64 exec, exec, s[18:19]
	v_lshrrev_b64 v[16:17], 20, v[16:17]
	v_cmp_gt_i32_e32 vcc, 16, v30
	v_cndmask_b32_e32 v17, 0, v17, vcc
	v_cndmask_b32_e32 v16, 7, v16, vcc
	v_cmp_ne_u64_e32 vcc, 0, v[16:17]
	v_cmp_ne_u32_e64 s[18:19], 0, v30
	s_or_b64 s[18:19], s[18:19], vcc
                                        ; implicit-def: $vgpr17
	s_and_saveexec_b64 vcc, s[18:19]
	s_xor_b64 s[18:19], exec, vcc
; %bb.3933:                             ;   in Loop: Header=BB2_3559 Depth=2
	v_min_i32_e32 v2, 15, v30
	v_lshl_or_b32 v2, v2, 3, v19
	v_and_or_b32 v17, v16, 7, v2
                                        ; implicit-def: $vgpr19
; %bb.3934:                             ;   in Loop: Header=BB2_3559 Depth=2
	s_andn2_saveexec_b64 s[18:19], s[18:19]
; %bb.3935:                             ;   in Loop: Header=BB2_3559 Depth=2
	v_mov_b32_e32 v17, v19
; %bb.3936:                             ;   in Loop: Header=BB2_3559 Depth=2
	s_or_b64 exec, exec, s[18:19]
.LBB2_3937:                             ;   in Loop: Header=BB2_3559 Depth=2
	s_or_b64 exec, exec, s[94:95]
                                        ; implicit-def: $vgpr19
.LBB2_3938:                             ;   in Loop: Header=BB2_3559 Depth=2
	s_andn2_saveexec_b64 s[18:19], s[92:93]
; %bb.3939:                             ;   in Loop: Header=BB2_3559 Depth=2
	v_or_b32_e32 v17, 0x7e, v19
; %bb.3940:                             ;   in Loop: Header=BB2_3559 Depth=2
	s_or_b64 exec, exec, s[18:19]
                                        ; implicit-def: $vgpr48
.LBB2_3941:                             ;   in Loop: Header=BB2_3559 Depth=2
	s_andn2_saveexec_b64 s[18:19], s[20:21]
	s_cbranch_execz .LBB2_3558
; %bb.3942:                             ;   in Loop: Header=BB2_3559 Depth=2
	v_or_b32_sdwa v17, v48, s49 dst_sel:DWORD dst_unused:UNUSED_PAD src0_sel:BYTE_3 src1_sel:DWORD
	s_branch .LBB2_3558
.LBB2_3943:                             ;   in Loop: Header=BB2_2065 Depth=1
	s_or_b64 exec, exec, s[90:91]
	buffer_load_dword v30, off, s[0:3], s33 offset:100 ; 4-byte Folded Reload
	v_mov_b32_e32 v10, v58
.LBB2_3944:                             ;   in Loop: Header=BB2_2065 Depth=1
	s_or_b64 exec, exec, s[22:23]
	buffer_load_dword v0, off, s[0:3], s33 offset:72 ; 4-byte Folded Reload
	s_waitcnt vmcnt(0)
	v_and_b32_e32 v2, 0x7ffffe00, v0
	v_cmp_ne_u32_e32 vcc, v0, v2
	s_and_b64 exec, exec, vcc
	s_cbranch_execz .LBB2_3996
; %bb.3945:                             ;   in Loop: Header=BB2_2065 Depth=1
	v_lshlrev_b32_e32 v0, 6, v3
	v_sub_u32_e32 v0, v1, v0
	v_lshlrev_b32_e32 v1, 6, v20
	v_sub_u32_e32 v1, v0, v1
	buffer_load_dword v0, off, s[0:3], s33 offset:72 ; 4-byte Folded Reload
	s_waitcnt vmcnt(0)
	v_and_b32_e32 v0, 0x1ff, v0
	v_sub_u32_e32 v0, v0, v1
	v_cmp_lt_i32_e32 vcc, 0, v0
	s_and_b64 exec, exec, vcc
	s_cbranch_execz .LBB2_3996
; %bb.3946:                             ;   in Loop: Header=BB2_2065 Depth=1
	s_trap 2
	v_mov_b32_e32 v3, v10
	ds_read_b128 v[10:13], v0
	v_add3_u32 v3, v2, v3, v1
	ds_read_b64 v[1:2], v0
	v_ashrrev_i32_e32 v15, 31, v3
	s_bitcmp1_b32 s38, 0
	s_waitcnt lgkmcnt(0)
	v_add_co_u32_e32 v10, vcc, v10, v3
	v_addc_co_u32_e32 v11, vcc, v11, v15, vcc
	v_add_co_u32_e32 v12, vcc, v12, v3
	v_addc_co_u32_e32 v13, vcc, v13, v15, vcc
	v_add_co_u32_e32 v14, vcc, v1, v3
	v_addc_co_u32_e32 v15, vcc, v2, v15, vcc
	s_mov_b64 s[26:27], 0
	s_cselect_b64 s[90:91], -1, 0
	s_branch .LBB2_3948
.LBB2_3947:                             ;   in Loop: Header=BB2_3948 Depth=2
	s_or_b64 exec, exec, s[18:19]
	v_add_co_u32_e32 v10, vcc, v10, v30
	v_addc_co_u32_e32 v11, vcc, 0, v11, vcc
	v_add_co_u32_e32 v12, vcc, v12, v30
	v_addc_co_u32_e32 v13, vcc, 0, v13, vcc
	v_sub_u32_e32 v0, v0, v30
	v_cmp_gt_i32_e32 vcc, 1, v0
	flat_store_byte v[14:15], v3 glc slc
	s_or_b64 s[26:27], vcc, s[26:27]
	v_add_co_u32_e32 v14, vcc, v14, v30
	v_addc_co_u32_e32 v15, vcc, 0, v15, vcc
	s_andn2_b64 exec, exec, s[26:27]
	s_cbranch_execz .LBB2_3996
.LBB2_3948:                             ;   Parent Loop BB2_2065 Depth=1
                                        ; =>  This Inner Loop Header: Depth=2
	flat_load_ubyte v3, v[12:13] glc slc
	flat_load_ubyte v17, v[10:11] glc slc
	s_mov_b64 s[92:93], -1
	s_and_b64 vcc, exec, s[90:91]
                                        ; implicit-def: $vgpr16
	s_waitcnt vmcnt(0) lgkmcnt(0)
	v_cmp_ne_u16_e64 s[20:21], 0, v3
	v_cmp_ne_u16_e64 s[18:19], s52, v3
	v_and_b32_sdwa v1, sext(v3), s51 dst_sel:DWORD dst_unused:UNUSED_PAD src0_sel:BYTE_0 src1_sel:DWORD
	v_cmp_ne_u16_e64 s[22:23], 0, v17
	s_cbranch_vccz .LBB2_3962
; %bb.3949:                             ;   in Loop: Header=BB2_3948 Depth=2
	v_mov_b32_e32 v18, 0
	v_mov_b32_e32 v19, 0
	s_and_saveexec_b64 s[92:93], s[22:23]
	s_cbranch_execz .LBB2_3955
; %bb.3950:                             ;   in Loop: Header=BB2_3948 Depth=2
	v_cmp_ne_u16_e32 vcc, s52, v17
	v_bfrev_b32_e32 v19, 1
	s_and_saveexec_b64 s[94:95], vcc
	s_cbranch_execz .LBB2_3954
; %bb.3951:                             ;   in Loop: Header=BB2_3948 Depth=2
	v_and_b32_e32 v16, 0xffff, v17
	v_and_b32_e32 v2, 0x7f, v16
	v_cmp_ne_u32_e32 vcc, s49, v2
	v_mov_b32_e32 v19, 0x7f800001
	s_and_saveexec_b64 s[30:31], vcc
	s_cbranch_execz .LBB2_3953
; %bb.3952:                             ;   in Loop: Header=BB2_3948 Depth=2
	v_and_b32_e32 v24, 7, v16
	v_lshrrev_b32_e32 v25, 3, v2
	v_cmp_gt_u32_e32 vcc, 8, v2
	v_ffbh_u32_e32 v2, v24
	v_min_u32_e32 v2, 32, v2
	v_subrev_u32_e32 v19, 28, v2
	v_lshlrev_b64 v[19:20], v19, v[16:17]
	v_sub_u32_e32 v2, 29, v2
	v_and_b32_e32 v16, 7, v19
	v_cndmask_b32_e32 v2, v25, v2, vcc
	v_cndmask_b32_e32 v16, v24, v16, vcc
	v_lshlrev_b32_e32 v19, 24, v17
	v_lshlrev_b32_e32 v16, 20, v16
	v_and_b32_e32 v19, 0x80000000, v19
	v_lshl_add_u32 v2, v2, 23, v56
	v_or3_b32 v19, v19, v2, v16
.LBB2_3953:                             ;   in Loop: Header=BB2_3948 Depth=2
	s_or_b64 exec, exec, s[30:31]
.LBB2_3954:                             ;   in Loop: Header=BB2_3948 Depth=2
	s_or_b64 exec, exec, s[94:95]
.LBB2_3955:                             ;   in Loop: Header=BB2_3948 Depth=2
	s_or_b64 exec, exec, s[92:93]
	s_and_saveexec_b64 s[92:93], s[20:21]
	s_cbranch_execz .LBB2_3961
; %bb.3956:                             ;   in Loop: Header=BB2_3948 Depth=2
	v_bfrev_b32_e32 v18, 1
	s_and_saveexec_b64 s[94:95], s[18:19]
	s_cbranch_execz .LBB2_3960
; %bb.3957:                             ;   in Loop: Header=BB2_3948 Depth=2
	v_and_b32_e32 v16, 0xffff, v3
	v_and_b32_e32 v2, 0x7f, v16
	v_cmp_ne_u32_e32 vcc, s49, v2
	v_mov_b32_e32 v18, 0x7f800001
	s_and_saveexec_b64 s[30:31], vcc
	s_cbranch_execz .LBB2_3959
; %bb.3958:                             ;   in Loop: Header=BB2_3948 Depth=2
	v_and_b32_e32 v18, 7, v16
	v_lshrrev_b32_e32 v20, 3, v2
	v_cmp_gt_u32_e32 vcc, 8, v2
	v_ffbh_u32_e32 v2, v18
	v_min_u32_e32 v2, 32, v2
	v_subrev_u32_e32 v24, 28, v2
	v_lshlrev_b64 v[24:25], v24, v[16:17]
	v_sub_u32_e32 v2, 29, v2
	v_and_b32_e32 v16, 7, v24
	v_cndmask_b32_e32 v16, v18, v16, vcc
	v_cndmask_b32_e32 v2, v20, v2, vcc
	v_lshlrev_b32_e32 v16, 20, v16
	v_lshl_or_b32 v2, v2, 23, v16
	v_add_u32_e32 v2, 0x3c000000, v2
	v_or_b32_e32 v18, v2, v1
.LBB2_3959:                             ;   in Loop: Header=BB2_3948 Depth=2
	s_or_b64 exec, exec, s[30:31]
.LBB2_3960:                             ;   in Loop: Header=BB2_3948 Depth=2
	s_or_b64 exec, exec, s[94:95]
.LBB2_3961:                             ;   in Loop: Header=BB2_3948 Depth=2
	s_or_b64 exec, exec, s[92:93]
	v_max_f32_e32 v2, v18, v18
	v_max_f32_e32 v16, v19, v19
	v_max_f32_e32 v16, v16, v2
	s_mov_b64 s[92:93], 0
.LBB2_3962:                             ;   in Loop: Header=BB2_3948 Depth=2
	s_and_b64 vcc, exec, s[92:93]
	s_cbranch_vccz .LBB2_3976
; %bb.3963:                             ;   in Loop: Header=BB2_3948 Depth=2
	v_mov_b32_e32 v18, 0
	v_mov_b32_e32 v19, 0
	s_and_saveexec_b64 s[92:93], s[22:23]
	s_cbranch_execz .LBB2_3969
; %bb.3964:                             ;   in Loop: Header=BB2_3948 Depth=2
	v_cmp_ne_u16_e32 vcc, s52, v17
	v_bfrev_b32_e32 v19, 1
	s_and_saveexec_b64 s[22:23], vcc
	s_cbranch_execz .LBB2_3968
; %bb.3965:                             ;   in Loop: Header=BB2_3948 Depth=2
	v_and_b32_e32 v16, 0xffff, v17
	v_and_b32_e32 v2, 0x7f, v16
	v_cmp_ne_u32_e32 vcc, s49, v2
	v_mov_b32_e32 v19, 0x7f800001
	s_and_saveexec_b64 s[94:95], vcc
	s_cbranch_execz .LBB2_3967
; %bb.3966:                             ;   in Loop: Header=BB2_3948 Depth=2
	v_and_b32_e32 v24, 7, v16
	v_lshrrev_b32_e32 v25, 3, v2
	v_cmp_gt_u32_e32 vcc, 8, v2
	v_ffbh_u32_e32 v2, v24
	v_min_u32_e32 v2, 32, v2
	v_subrev_u32_e32 v19, 28, v2
	v_lshlrev_b64 v[19:20], v19, v[16:17]
	v_sub_u32_e32 v2, 29, v2
	v_and_b32_e32 v16, 7, v19
	v_cndmask_b32_e32 v2, v25, v2, vcc
	v_cndmask_b32_e32 v16, v24, v16, vcc
	v_lshlrev_b32_e32 v17, 24, v17
	v_lshlrev_b32_e32 v16, 20, v16
	v_and_b32_e32 v17, 0x80000000, v17
	v_lshl_add_u32 v2, v2, 23, v56
	v_or3_b32 v19, v17, v2, v16
.LBB2_3967:                             ;   in Loop: Header=BB2_3948 Depth=2
	s_or_b64 exec, exec, s[94:95]
.LBB2_3968:                             ;   in Loop: Header=BB2_3948 Depth=2
	s_or_b64 exec, exec, s[22:23]
.LBB2_3969:                             ;   in Loop: Header=BB2_3948 Depth=2
	s_or_b64 exec, exec, s[92:93]
	s_and_saveexec_b64 s[22:23], s[20:21]
	s_cbranch_execz .LBB2_3975
; %bb.3970:                             ;   in Loop: Header=BB2_3948 Depth=2
	v_bfrev_b32_e32 v18, 1
	s_and_saveexec_b64 s[20:21], s[18:19]
	s_cbranch_execz .LBB2_3974
; %bb.3971:                             ;   in Loop: Header=BB2_3948 Depth=2
	v_and_b32_e32 v16, 0xffff, v3
	v_and_b32_e32 v2, 0x7f, v16
	v_cmp_ne_u32_e32 vcc, s49, v2
	v_mov_b32_e32 v18, 0x7f800001
	s_and_saveexec_b64 s[18:19], vcc
	s_cbranch_execz .LBB2_3973
; %bb.3972:                             ;   in Loop: Header=BB2_3948 Depth=2
	v_and_b32_e32 v3, 7, v16
	v_ffbh_u32_e32 v17, v3
	v_min_u32_e32 v20, 32, v17
	v_subrev_u32_e32 v17, 28, v20
	v_lshlrev_b64 v[16:17], v17, v[16:17]
	v_cmp_gt_u32_e32 vcc, 8, v2
	v_and_b32_e32 v16, 7, v16
	v_lshrrev_b32_e32 v18, 3, v2
	v_sub_u32_e32 v17, 29, v20
	v_cndmask_b32_e32 v3, v3, v16, vcc
	v_cndmask_b32_e32 v2, v18, v17, vcc
	v_lshlrev_b32_e32 v3, 20, v3
	v_lshl_or_b32 v2, v2, 23, v3
	v_add_u32_e32 v2, 0x3c000000, v2
	v_or_b32_e32 v18, v2, v1
.LBB2_3973:                             ;   in Loop: Header=BB2_3948 Depth=2
	s_or_b64 exec, exec, s[18:19]
.LBB2_3974:                             ;   in Loop: Header=BB2_3948 Depth=2
	s_or_b64 exec, exec, s[20:21]
.LBB2_3975:                             ;   in Loop: Header=BB2_3948 Depth=2
	s_or_b64 exec, exec, s[22:23]
	v_max_f32_e32 v1, v18, v18
	v_max_f32_e32 v2, v19, v19
	v_min_f32_e32 v16, v2, v1
.LBB2_3976:                             ;   in Loop: Header=BB2_3948 Depth=2
	v_and_b32_e32 v34, 0x7f800000, v16
	v_cmp_ne_u64_e32 vcc, s[62:63], v[34:35]
                                        ; implicit-def: $vgpr3
	s_and_saveexec_b64 s[18:19], vcc
	s_xor_b64 s[20:21], exec, s[18:19]
	s_cbranch_execz .LBB2_3994
; %bb.3977:                             ;   in Loop: Header=BB2_3948 Depth=2
	v_and_b32_e32 v34, 0x7fffffff, v16
	v_cmp_gt_u64_e32 vcc, s[72:73], v[34:35]
	v_and_b32_sdwa v1, v16, s52 dst_sel:DWORD dst_unused:UNUSED_PAD src0_sel:BYTE_3 src1_sel:DWORD
                                        ; implicit-def: $vgpr3
	s_and_saveexec_b64 s[18:19], vcc
	s_xor_b64 s[22:23], exec, s[18:19]
	s_cbranch_execz .LBB2_3991
; %bb.3978:                             ;   in Loop: Header=BB2_3948 Depth=2
	v_cmp_ne_u32_e32 vcc, 0, v16
	v_mov_b32_e32 v3, 0
	s_and_saveexec_b64 s[92:93], vcc
	s_cbranch_execz .LBB2_3990
; %bb.3979:                             ;   in Loop: Header=BB2_3948 Depth=2
	v_bfe_u32 v2, v16, 23, 8
	v_sub_u32_e32 v3, 0x79, v2
	v_cmp_gt_u32_e32 vcc, s53, v2
	v_cndmask_b32_e32 v3, 0, v3, vcc
	v_cmp_eq_u32_e32 vcc, 0, v2
	v_cndmask_b32_e32 v3, v3, v60, vcc
	v_and_b32_e32 v18, 0x7fffff, v16
	v_add_u32_e32 v16, 20, v3
	v_or_b32_e32 v19, 0x800000, v18
	v_lshlrev_b64 v[16:17], v16, -1
	v_cndmask_b32_e32 v34, v19, v18, vcc
	v_bfi_b32 v18, v16, 0, v34
	v_add_u32_e32 v16, 19, v3
	v_bfi_b32 v19, v17, 0, 0
	v_lshlrev_b64 v[24:25], v16, 1
	v_lshrrev_b64 v[16:17], v3, v[34:35]
	v_cmp_eq_u64_e64 s[18:19], v[18:19], v[24:25]
	v_mov_b32_e32 v49, v17
	v_mov_b32_e32 v48, v16
	s_and_saveexec_b64 s[94:95], s[18:19]
; %bb.3980:                             ;   in Loop: Header=BB2_3948 Depth=2
	v_bfe_u32 v17, v16, 20, 1
	v_add_co_u32_e64 v17, s[18:19], v16, v17
	v_add_co_u32_e64 v48, s[18:19], -1, v17
; %bb.3981:                             ;   in Loop: Header=BB2_3948 Depth=2
	s_or_b64 exec, exec, s[94:95]
	v_add_u32_e32 v2, 0xffffff81, v2
	v_cndmask_b32_e32 v2, v2, v61, vcc
	v_lshrrev_b32_e32 v17, 23, v16
	v_add3_u32 v3, v3, v2, v17
	v_add_u32_e32 v2, 6, v3
	v_and_b32_e32 v17, 0xfffff, v48
	v_add_u32_e32 v34, v17, v16
	v_cmp_ne_u32_e32 vcc, 0, v2
                                        ; implicit-def: $vgpr16_vgpr17
                                        ; implicit-def: $vgpr18
	s_and_saveexec_b64 s[18:19], vcc
	s_xor_b64 s[18:19], exec, s[18:19]
; %bb.3982:                             ;   in Loop: Header=BB2_3948 Depth=2
	v_cmp_lt_u64_e32 vcc, s[74:75], v[34:35]
	v_add_u32_e32 v3, 7, v3
	v_cndmask_b32_e32 v18, v2, v3, vcc
	v_cndmask_b32_e64 v2, 0, 1, vcc
	v_lshrrev_b64 v[16:17], v2, v[34:35]
; %bb.3983:                             ;   in Loop: Header=BB2_3948 Depth=2
	s_andn2_saveexec_b64 s[18:19], s[18:19]
; %bb.3984:                             ;   in Loop: Header=BB2_3948 Depth=2
	v_mov_b32_e32 v16, v34
	v_bfe_u32 v18, v34, 23, 1
	v_mov_b32_e32 v17, v35
; %bb.3985:                             ;   in Loop: Header=BB2_3948 Depth=2
	s_or_b64 exec, exec, s[18:19]
	v_lshrrev_b64 v[2:3], 20, v[16:17]
	v_cmp_gt_i32_e32 vcc, 16, v18
	v_cndmask_b32_e32 v17, 0, v3, vcc
	v_cndmask_b32_e32 v16, 7, v2, vcc
	v_cmp_ne_u64_e32 vcc, 0, v[16:17]
	v_cmp_ne_u32_e64 s[18:19], 0, v18
	s_or_b64 s[18:19], s[18:19], vcc
                                        ; implicit-def: $vgpr3
	s_and_saveexec_b64 s[94:95], s[18:19]
	s_xor_b64 s[18:19], exec, s[94:95]
; %bb.3986:                             ;   in Loop: Header=BB2_3948 Depth=2
	v_min_i32_e32 v2, 15, v18
	v_lshl_or_b32 v1, v2, 3, v1
	v_and_or_b32 v3, v16, 7, v1
                                        ; implicit-def: $vgpr1
; %bb.3987:                             ;   in Loop: Header=BB2_3948 Depth=2
	s_andn2_saveexec_b64 s[18:19], s[18:19]
; %bb.3988:                             ;   in Loop: Header=BB2_3948 Depth=2
	v_mov_b32_e32 v3, v1
; %bb.3989:                             ;   in Loop: Header=BB2_3948 Depth=2
	s_or_b64 exec, exec, s[18:19]
.LBB2_3990:                             ;   in Loop: Header=BB2_3948 Depth=2
	s_or_b64 exec, exec, s[92:93]
                                        ; implicit-def: $vgpr1
.LBB2_3991:                             ;   in Loop: Header=BB2_3948 Depth=2
	s_andn2_saveexec_b64 s[18:19], s[22:23]
; %bb.3992:                             ;   in Loop: Header=BB2_3948 Depth=2
	v_or_b32_e32 v3, 0x7e, v1
; %bb.3993:                             ;   in Loop: Header=BB2_3948 Depth=2
	s_or_b64 exec, exec, s[18:19]
                                        ; implicit-def: $vgpr16
.LBB2_3994:                             ;   in Loop: Header=BB2_3948 Depth=2
	s_andn2_saveexec_b64 s[18:19], s[20:21]
	s_cbranch_execz .LBB2_3947
; %bb.3995:                             ;   in Loop: Header=BB2_3948 Depth=2
	v_or_b32_sdwa v3, v16, s49 dst_sel:DWORD dst_unused:UNUSED_PAD src0_sel:BYTE_3 src1_sel:DWORD
	s_branch .LBB2_3947
.LBB2_3996:                             ;   in Loop: Header=BB2_2065 Depth=1
	s_or_b64 exec, exec, s[24:25]
	v_cmp_ne_u32_e64 s[18:19], 0, v44
	s_and_saveexec_b64 s[20:21], s[10:11]
	s_cbranch_execz .LBB2_4015
.LBB2_3997:                             ;   in Loop: Header=BB2_2065 Depth=1
	s_and_saveexec_b64 s[22:23], s[46:47]
	s_xor_b64 s[22:23], exec, s[22:23]
	s_cbranch_execz .LBB2_4012
; %bb.3998:                             ;   in Loop: Header=BB2_2065 Depth=1
	s_and_saveexec_b64 s[24:25], s[12:13]
	s_cbranch_execz .LBB2_4011
; %bb.3999:                             ;   in Loop: Header=BB2_2065 Depth=1
	s_mov_b64 s[90:91], exec
	v_mbcnt_lo_u32_b32 v0, s90, 0
	v_mbcnt_hi_u32_b32 v0, s91, v0
	v_cmp_eq_u32_e32 vcc, 0, v0
	s_waitcnt vmcnt(0) lgkmcnt(0)
	buffer_wbinvl1_vol
	s_and_saveexec_b64 s[26:27], vcc
	s_cbranch_execz .LBB2_4001
; %bb.4000:                             ;   in Loop: Header=BB2_2065 Depth=1
	s_bcnt1_i32_b64 s90, s[90:91]
	v_mov_b32_e32 v34, s90
	ds_add_u64 v0, v[34:35]
	s_trap 2
.LBB2_4001:                             ;   in Loop: Header=BB2_2065 Depth=1
	s_or_b64 exec, exec, s[26:27]
	s_trap 2
	ds_read_b64 v[0:1], v0
	s_waitcnt lgkmcnt(0)
	v_add_co_u32_e32 v26, vcc, v26, v46
	v_addc_co_u32_e32 v27, vcc, 0, v27, vcc
	v_cmp_lt_u64_e32 vcc, v[0:1], v[26:27]
	s_and_saveexec_b64 s[26:27], vcc
	s_cbranch_execz .LBB2_4010
; %bb.4002:                             ;   in Loop: Header=BB2_2065 Depth=1
	s_mov_b32 s36, 0
	s_mov_b64 s[90:91], 0
                                        ; implicit-def: $sgpr92_sgpr93
                                        ; implicit-def: $sgpr94_sgpr95
	s_branch .LBB2_4004
.LBB2_4003:                             ;   in Loop: Header=BB2_4004 Depth=2
	s_or_b64 exec, exec, s[34:35]
	s_and_b64 vcc, exec, vcc
	s_or_b64 s[90:91], vcc, s[90:91]
	s_andn2_b64 s[92:93], s[92:93], exec
	s_and_b64 vcc, s[94:95], exec
	s_or_b64 s[92:93], s[92:93], vcc
	s_andn2_b64 exec, exec, s[90:91]
	s_cbranch_execz .LBB2_4008
.LBB2_4004:                             ;   Parent Loop BB2_2065 Depth=1
                                        ; =>  This Inner Loop Header: Depth=2
	s_add_i32 s36, s36, 1
	s_cmpk_lg_i32 s36, 0x2710
	s_cselect_b64 s[30:31], -1, 0
	s_and_b64 vcc, exec, s[30:31]
	s_cbranch_vccz .LBB2_4006
; %bb.4005:                             ;   in Loop: Header=BB2_4004 Depth=2
	s_mov_b64 vcc, -1
	s_or_b64 s[94:95], s[94:95], exec
	s_and_saveexec_b64 s[34:35], s[30:31]
	s_cbranch_execz .LBB2_4003
	s_branch .LBB2_4007
.LBB2_4006:                             ;   in Loop: Header=BB2_4004 Depth=2
	s_trap 2
	ds_read_b64 v[0:1], v0
	s_andn2_b64 s[30:31], s[30:31], exec
	s_mov_b32 s36, 0
	s_waitcnt lgkmcnt(0)
	flat_load_dword v0, v[0:1] glc
	s_waitcnt vmcnt(0) lgkmcnt(0)
	buffer_wbinvl1_vol
	v_cmp_eq_u32_e32 vcc, 0, v0
	s_and_b64 vcc, vcc, exec
	s_or_b64 s[30:31], s[30:31], vcc
	s_mov_b64 vcc, -1
	s_or_b64 s[94:95], s[94:95], exec
	s_and_saveexec_b64 s[34:35], s[30:31]
	s_cbranch_execz .LBB2_4003
.LBB2_4007:                             ;   in Loop: Header=BB2_4004 Depth=2
	s_sleep 1
	s_trap 2
	ds_read_b64 v[0:1], v0
	s_waitcnt lgkmcnt(0)
	s_andn2_b64 s[94:95], s[94:95], exec
	v_cmp_ge_u64_e32 vcc, v[0:1], v[26:27]
	s_orn2_b64 vcc, vcc, exec
	s_branch .LBB2_4003
.LBB2_4008:                             ;   in Loop: Header=BB2_2065 Depth=1
	s_or_b64 exec, exec, s[90:91]
	s_and_saveexec_b64 s[90:91], s[92:93]
	s_xor_b64 s[90:91], exec, s[90:91]
	s_cbranch_execz .LBB2_4010
; %bb.4009:                             ;   in Loop: Header=BB2_2065 Depth=1
	v_mov_b32_e32 v0, 1
	ds_write_b32 v0, v0
	s_trap 2
.LBB2_4010:                             ;   in Loop: Header=BB2_2065 Depth=1
	s_or_b64 exec, exec, s[26:27]
	;;#ASMSTART
	s_wakeup
	;;#ASMEND
.LBB2_4011:                             ;   in Loop: Header=BB2_2065 Depth=1
	s_or_b64 exec, exec, s[24:25]
.LBB2_4012:                             ;   in Loop: Header=BB2_2065 Depth=1
	s_andn2_saveexec_b64 s[22:23], s[22:23]
	s_cbranch_execz .LBB2_4014
; %bb.4013:                             ;   in Loop: Header=BB2_2065 Depth=1
	s_waitcnt vmcnt(0) lgkmcnt(0)
	buffer_wbinvl1_vol
	s_barrier
.LBB2_4014:                             ;   in Loop: Header=BB2_2065 Depth=1
	s_or_b64 exec, exec, s[22:23]
.LBB2_4015:                             ;   in Loop: Header=BB2_2065 Depth=1
	s_or_b64 exec, exec, s[20:21]
	v_and_b32_e32 v0, 16, v57
	v_cmp_ne_u32_e32 vcc, 0, v0
	s_and_b64 s[20:21], vcc, s[18:19]
	s_and_saveexec_b64 s[18:19], s[20:21]
	s_cbranch_execz .LBB2_4017
; %bb.4016:                             ;   in Loop: Header=BB2_2065 Depth=1
	s_waitcnt vmcnt(0) lgkmcnt(0)
	buffer_wbinvl1_vol
.LBB2_4017:                             ;   in Loop: Header=BB2_2065 Depth=1
	s_or_b64 exec, exec, s[18:19]
	v_and_b32_e32 v0, 32, v57
	v_cmp_ne_u32_e32 vcc, 0, v0
	s_and_saveexec_b64 s[18:19], vcc
	s_cbranch_execz .LBB2_4019
; %bb.4018:                             ;   in Loop: Header=BB2_2065 Depth=1
	v_add_co_u32_e32 v8, vcc, 1, v8
	v_addc_co_u32_e32 v9, vcc, 0, v9, vcc
	flat_store_dwordx2 v[22:23], v[8:9]
.LBB2_4019:                             ;   in Loop: Header=BB2_2065 Depth=1
	s_or_b64 exec, exec, s[18:19]
	v_mov_b32_e32 v0, v47
.LBB2_4020:                             ;   in Loop: Header=BB2_2065 Depth=1
	s_or_b64 exec, exec, s[88:89]
	s_and_saveexec_b64 s[20:21], s[78:79]
	s_cbranch_execz .LBB2_2064
; %bb.4021:                             ;   in Loop: Header=BB2_2065 Depth=1
	s_waitcnt vmcnt(0)
	v_and_b32_e32 v1, 4, v57
	v_cmp_ne_u32_e32 vcc, 0, v1
	s_and_saveexec_b64 s[22:23], vcc
	s_cbranch_execz .LBB2_4043
; %bb.4022:                             ;   in Loop: Header=BB2_2065 Depth=1
	s_waitcnt lgkmcnt(0)
	v_add_co_u32_e32 v10, vcc, 1, v8
	v_addc_co_u32_e32 v11, vcc, 0, v9, vcc
	v_cmp_lt_u64_e32 vcc, v[28:29], v[10:11]
	s_and_saveexec_b64 s[24:25], vcc
	s_cbranch_execz .LBB2_4034
; %bb.4023:                             ;   in Loop: Header=BB2_2065 Depth=1
	v_and_b32_e32 v1, 64, v57
	s_mov_b32 s38, 0
	v_cmp_eq_u32_e32 vcc, 0, v1
	s_mov_b64 s[26:27], 0
                                        ; implicit-def: $sgpr78_sgpr79
                                        ; implicit-def: $sgpr88_sgpr89
                                        ; implicit-def: $sgpr90_sgpr91
	s_branch .LBB2_4027
.LBB2_4024:                             ;   in Loop: Header=BB2_4027 Depth=2
	s_waitcnt vmcnt(0) lgkmcnt(0)
	v_cmp_ge_u64_e64 s[18:19], v[28:29], v[10:11]
	s_or_b64 s[30:31], s[30:31], exec
	s_orn2_b64 s[94:95], s[18:19], exec
.LBB2_4025:                             ;   in Loop: Header=BB2_4027 Depth=2
	s_or_b64 exec, exec, s[36:37]
	s_andn2_b64 s[18:19], s[90:91], exec
	s_and_b64 s[90:91], s[30:31], exec
	s_or_b64 s[90:91], s[18:19], s[90:91]
	s_andn2_b64 s[18:19], s[88:89], exec
	s_and_b64 s[88:89], s[94:95], exec
	s_or_b64 s[88:89], s[18:19], s[88:89]
.LBB2_4026:                             ;   in Loop: Header=BB2_4027 Depth=2
	s_or_b64 exec, exec, s[92:93]
	s_and_b64 s[18:19], exec, s[88:89]
	s_or_b64 s[26:27], s[18:19], s[26:27]
	s_andn2_b64 s[18:19], s[78:79], exec
	s_and_b64 s[78:79], s[90:91], exec
	s_or_b64 s[78:79], s[18:19], s[78:79]
	s_andn2_b64 exec, exec, s[26:27]
	s_cbranch_execz .LBB2_4031
.LBB2_4027:                             ;   Parent Loop BB2_2065 Depth=1
                                        ; =>  This Inner Loop Header: Depth=2
	s_sleep 1
	s_waitcnt vmcnt(0) lgkmcnt(0)
	flat_load_dwordx2 v[28:29], v[22:23] glc
	s_or_b64 s[90:91], s[90:91], exec
	s_or_b64 s[88:89], s[88:89], exec
                                        ; implicit-def: $vgpr1
	s_and_saveexec_b64 s[92:93], vcc
	s_cbranch_execz .LBB2_4026
; %bb.4028:                             ;   in Loop: Header=BB2_4027 Depth=2
	s_cmpk_lt_i32 s38, 0x270f
	s_cselect_b64 s[34:35], -1, 0
	s_cmpk_gt_i32 s38, 0x270e
	s_mov_b64 s[94:95], -1
	s_cbranch_scc0 .LBB2_4030
; %bb.4029:                             ;   in Loop: Header=BB2_4027 Depth=2
	s_trap 2
	ds_read_b64 v[1:2], v0
	s_andn2_b64 s[34:35], s[34:35], exec
	s_mov_b32 s38, 0
	s_mov_b64 s[30:31], 0
	s_waitcnt vmcnt(0) lgkmcnt(0)
	flat_load_dword v1, v[1:2] glc
	s_waitcnt vmcnt(0) lgkmcnt(0)
	buffer_wbinvl1_vol
	v_cmp_eq_u32_e64 s[18:19], 0, v1
	s_and_b64 s[18:19], s[18:19], exec
	s_or_b64 s[34:35], s[34:35], s[18:19]
	s_and_saveexec_b64 s[36:37], s[34:35]
	s_cbranch_execz .LBB2_4025
	s_branch .LBB2_4024
.LBB2_4030:                             ;   in Loop: Header=BB2_4027 Depth=2
	s_add_i32 s38, s38, 1
	s_mov_b64 s[30:31], -1
                                        ; implicit-def: $vgpr1
	s_and_saveexec_b64 s[36:37], s[34:35]
	s_cbranch_execz .LBB2_4025
	s_branch .LBB2_4024
.LBB2_4031:                             ;   in Loop: Header=BB2_2065 Depth=1
	s_or_b64 exec, exec, s[26:27]
	s_xor_b64 s[18:19], s[78:79], -1
	s_and_saveexec_b64 s[26:27], s[18:19]
	s_xor_b64 s[18:19], exec, s[26:27]
	s_cbranch_execz .LBB2_4033
; %bb.4032:                             ;   in Loop: Header=BB2_2065 Depth=1
	v_or_b32_e32 v57, 64, v57
	s_waitcnt lgkmcnt(0)
	ds_write_b32 v0, v1
	s_trap 2
.LBB2_4033:                             ;   in Loop: Header=BB2_2065 Depth=1
	s_or_b64 exec, exec, s[18:19]
.LBB2_4034:                             ;   in Loop: Header=BB2_2065 Depth=1
	s_or_b64 exec, exec, s[24:25]
	v_and_b32_e32 v1, 0x100, v57
	v_cmp_ne_u32_e32 vcc, 0, v1
	v_and_b32_e32 v1, 7, v8
	s_mov_b64 s[18:19], -1
	;;#ASMSTART
	s_wakeup
	;;#ASMEND
                                        ; implicit-def: $vgpr8_vgpr9
	s_and_saveexec_b64 s[24:25], vcc
	s_cbranch_execz .LBB2_4038
; %bb.4035:                             ;   in Loop: Header=BB2_2065 Depth=1
	v_mad_u64_u32 v[12:13], s[18:19], v1, 24, v[6:7]
                                        ; implicit-def: $vgpr8_vgpr9
	flat_load_dword v2, v[12:13]
	s_waitcnt vmcnt(0) lgkmcnt(0)
	v_cmp_ne_u32_e32 vcc, 1, v2
	v_cmp_eq_u32_e64 s[18:19], 1, v2
	s_and_saveexec_b64 s[26:27], s[18:19]
	s_cbranch_execz .LBB2_4037
; %bb.4036:                             ;   in Loop: Header=BB2_2065 Depth=1
	flat_load_dword v8, v[12:13] offset:4 glc
	s_waitcnt vmcnt(0) lgkmcnt(0)
	v_ashrrev_i32_e32 v9, 31, v8
.LBB2_4037:                             ;   in Loop: Header=BB2_2065 Depth=1
	s_or_b64 exec, exec, s[26:27]
	s_orn2_b64 s[18:19], vcc, exec
.LBB2_4038:                             ;   in Loop: Header=BB2_2065 Depth=1
	s_or_b64 exec, exec, s[24:25]
	s_and_saveexec_b64 s[24:25], s[18:19]
	s_cbranch_execz .LBB2_4040
; %bb.4039:                             ;   in Loop: Header=BB2_2065 Depth=1
	buffer_load_dword v2, off, s[0:3], s33 offset:92 ; 4-byte Folded Reload
	s_waitcnt vmcnt(0)
	v_mad_i64_i32 v[8:9], s[18:19], v1, v2, 0
.LBB2_4040:                             ;   in Loop: Header=BB2_2065 Depth=1
	s_or_b64 exec, exec, s[24:25]
	buffer_load_dword v1, off, s[0:3], s33 offset:60 ; 4-byte Folded Reload
	buffer_load_dword v2, off, s[0:3], s33 offset:64 ; 4-byte Folded Reload
	s_waitcnt vmcnt(0)
	v_add_co_u32_e32 v1, vcc, v1, v8
	v_addc_co_u32_e32 v2, vcc, v2, v9, vcc
	ds_write_b64 v0, v[1:2] offset:728
	v_and_b32_e32 v1, 0x2000, v57
	v_cmp_ne_u32_e32 vcc, 0, v1
	s_and_saveexec_b64 s[18:19], vcc
	s_cbranch_execz .LBB2_4042
; %bb.4041:                             ;   in Loop: Header=BB2_2065 Depth=1
	ds_read_b64 v[1:2], v0 offset:872
	s_waitcnt lgkmcnt(0)
	v_add_co_u32_e32 v1, vcc, 1, v1
	v_addc_co_u32_e32 v2, vcc, 0, v2, vcc
	ds_write_b64 v0, v[1:2] offset:872
.LBB2_4042:                             ;   in Loop: Header=BB2_2065 Depth=1
	s_or_b64 exec, exec, s[18:19]
	v_mov_b32_e32 v8, v10
	v_mov_b32_e32 v9, v11
.LBB2_4043:                             ;   in Loop: Header=BB2_2065 Depth=1
	s_or_b64 exec, exec, s[22:23]
	s_and_saveexec_b64 s[18:19], s[10:11]
	s_cbranch_execz .LBB2_4062
; %bb.4044:                             ;   in Loop: Header=BB2_2065 Depth=1
	s_and_saveexec_b64 s[22:23], s[46:47]
	s_xor_b64 s[22:23], exec, s[22:23]
	s_cbranch_execz .LBB2_4059
; %bb.4045:                             ;   in Loop: Header=BB2_2065 Depth=1
	s_and_saveexec_b64 s[24:25], s[12:13]
	s_cbranch_execz .LBB2_4058
; %bb.4046:                             ;   in Loop: Header=BB2_2065 Depth=1
	s_mov_b64 s[78:79], exec
	v_mbcnt_lo_u32_b32 v1, s78, 0
	v_mbcnt_hi_u32_b32 v1, s79, v1
	v_cmp_eq_u32_e32 vcc, 0, v1
	s_waitcnt lgkmcnt(0)
	buffer_wbinvl1_vol
	s_and_saveexec_b64 s[26:27], vcc
	s_cbranch_execz .LBB2_4048
; %bb.4047:                             ;   in Loop: Header=BB2_2065 Depth=1
	s_bcnt1_i32_b64 s78, s[78:79]
	v_mov_b32_e32 v34, s78
	ds_add_u64 v0, v[34:35]
	s_trap 2
.LBB2_4048:                             ;   in Loop: Header=BB2_2065 Depth=1
	s_or_b64 exec, exec, s[26:27]
	s_trap 2
	ds_read_b64 v[1:2], v0
	s_waitcnt lgkmcnt(0)
	v_add_co_u32_e32 v26, vcc, v26, v46
	v_addc_co_u32_e32 v27, vcc, 0, v27, vcc
	v_cmp_lt_u64_e32 vcc, v[1:2], v[26:27]
	s_and_saveexec_b64 s[26:27], vcc
	s_cbranch_execz .LBB2_4057
; %bb.4049:                             ;   in Loop: Header=BB2_2065 Depth=1
	s_mov_b32 s30, 0
	s_mov_b64 s[78:79], 0
                                        ; implicit-def: $sgpr88_sgpr89
                                        ; implicit-def: $sgpr90_sgpr91
	s_branch .LBB2_4051
.LBB2_4050:                             ;   in Loop: Header=BB2_4051 Depth=2
	s_or_b64 exec, exec, s[94:95]
	s_and_b64 s[92:93], exec, vcc
	s_or_b64 s[78:79], s[92:93], s[78:79]
	s_andn2_b64 s[88:89], s[88:89], exec
	s_and_b64 s[92:93], s[90:91], exec
	s_or_b64 s[88:89], s[88:89], s[92:93]
	s_andn2_b64 exec, exec, s[78:79]
	s_cbranch_execz .LBB2_4055
.LBB2_4051:                             ;   Parent Loop BB2_2065 Depth=1
                                        ; =>  This Inner Loop Header: Depth=2
	s_add_i32 s30, s30, 1
	s_cmpk_lg_i32 s30, 0x2710
	s_cselect_b64 s[92:93], -1, 0
	s_and_b64 vcc, exec, s[92:93]
	s_cbranch_vccz .LBB2_4053
; %bb.4052:                             ;   in Loop: Header=BB2_4051 Depth=2
	s_mov_b64 vcc, -1
	s_or_b64 s[90:91], s[90:91], exec
	s_and_saveexec_b64 s[94:95], s[92:93]
	s_cbranch_execz .LBB2_4050
	s_branch .LBB2_4054
.LBB2_4053:                             ;   in Loop: Header=BB2_4051 Depth=2
	s_trap 2
	ds_read_b64 v[1:2], v0
	s_andn2_b64 s[92:93], s[92:93], exec
	s_mov_b32 s30, 0
	s_waitcnt lgkmcnt(0)
	flat_load_dword v1, v[1:2] glc
	s_waitcnt vmcnt(0) lgkmcnt(0)
	buffer_wbinvl1_vol
	v_cmp_eq_u32_e32 vcc, 0, v1
	s_and_b64 s[94:95], vcc, exec
	s_or_b64 s[92:93], s[92:93], s[94:95]
	s_mov_b64 vcc, -1
	s_or_b64 s[90:91], s[90:91], exec
	s_and_saveexec_b64 s[94:95], s[92:93]
	s_cbranch_execz .LBB2_4050
.LBB2_4054:                             ;   in Loop: Header=BB2_4051 Depth=2
	s_sleep 1
	s_trap 2
	ds_read_b64 v[1:2], v0
	s_waitcnt lgkmcnt(0)
	s_andn2_b64 s[90:91], s[90:91], exec
	v_cmp_ge_u64_e32 vcc, v[1:2], v[26:27]
	s_orn2_b64 vcc, vcc, exec
	s_branch .LBB2_4050
.LBB2_4055:                             ;   in Loop: Header=BB2_2065 Depth=1
	s_or_b64 exec, exec, s[78:79]
	s_and_saveexec_b64 s[78:79], s[88:89]
	s_xor_b64 s[78:79], exec, s[78:79]
	s_cbranch_execz .LBB2_4057
; %bb.4056:                             ;   in Loop: Header=BB2_2065 Depth=1
	v_mov_b32_e32 v1, 1
	ds_write_b32 v0, v1
	s_trap 2
.LBB2_4057:                             ;   in Loop: Header=BB2_2065 Depth=1
	s_or_b64 exec, exec, s[26:27]
	;;#ASMSTART
	s_wakeup
	;;#ASMEND
.LBB2_4058:                             ;   in Loop: Header=BB2_2065 Depth=1
	s_or_b64 exec, exec, s[24:25]
.LBB2_4059:                             ;   in Loop: Header=BB2_2065 Depth=1
	s_andn2_saveexec_b64 s[22:23], s[22:23]
	s_cbranch_execz .LBB2_4061
; %bb.4060:                             ;   in Loop: Header=BB2_2065 Depth=1
	s_waitcnt lgkmcnt(0)
	buffer_wbinvl1_vol
	s_barrier
.LBB2_4061:                             ;   in Loop: Header=BB2_2065 Depth=1
	s_or_b64 exec, exec, s[22:23]
.LBB2_4062:                             ;   in Loop: Header=BB2_2065 Depth=1
	s_or_b64 exec, exec, s[18:19]
	s_trap 2
	ds_read_b32 v1, v0
	v_sub_u32_e32 v0, v38, v0
	v_min_i32_e32 v0, v47, v0
	v_cmp_lt_i32_e32 vcc, 0, v0
	v_and_b32_e32 v0, 16, v57
	s_waitcnt lgkmcnt(0)
	v_readfirstlane_b32 s18, v1
	s_cmp_eq_u32 s18, 0
	s_cselect_b64 s[18:19], -1, 0
	s_and_b64 s[18:19], vcc, s[18:19]
	v_cmp_ne_u32_e32 vcc, 0, v0
	s_and_b64 s[22:23], vcc, s[18:19]
	s_and_saveexec_b64 s[18:19], s[22:23]
	s_cbranch_execz .LBB2_4064
; %bb.4063:                             ;   in Loop: Header=BB2_2065 Depth=1
	buffer_wbinvl1_vol
.LBB2_4064:                             ;   in Loop: Header=BB2_2065 Depth=1
	s_or_b64 exec, exec, s[18:19]
	v_and_b32_e32 v0, 32, v57
	v_cmp_ne_u32_e32 vcc, 0, v0
	s_and_saveexec_b64 s[18:19], vcc
	s_cbranch_execz .LBB2_2063
; %bb.4065:                             ;   in Loop: Header=BB2_2065 Depth=1
	v_add_co_u32_e32 v8, vcc, 1, v8
	v_addc_co_u32_e32 v9, vcc, 0, v9, vcc
	flat_store_dwordx2 v[22:23], v[8:9]
	s_branch .LBB2_2063
.LBB2_4066:
	s_or_b64 exec, exec, s[58:59]
	buffer_load_dword v44, off, s[0:3], s33 offset:116 ; 4-byte Folded Reload
	buffer_load_dword v45, off, s[0:3], s33 offset:120 ; 4-byte Folded Reload
	;; [unrolled: 1-line block ×5, first 2 shown]
.LBB2_4067:
	s_or_b64 exec, exec, s[44:45]
.LBB2_4068:
	s_or_b64 exec, exec, s[28:29]
                                        ; implicit-def: $vgpr0_vgpr1
                                        ; kill: killed $vgpr0_vgpr1
                                        ; implicit-def: $vgpr58_vgpr59
                                        ; implicit-def: $vgpr4_vgpr5
                                        ; implicit-def: $vgpr56
                                        ; implicit-def: $vgpr28_vgpr29
                                        ; implicit-def: $vgpr22_vgpr23
                                        ; implicit-def: $vgpr18
                                        ; implicit-def: $vgpr32
                                        ; implicit-def: $vgpr0_vgpr1
                                        ; kill: killed $vgpr0_vgpr1
                                        ; implicit-def: $vgpr0
.LBB2_4069:
	s_andn2_saveexec_b64 s[22:23], s[42:43]
	s_cbranch_execz .LBB2_4241
; %bb.4070:
	v_mov_b32_e32 v26, 0
	v_cmp_ne_u64_e32 vcc, 0, v[4:5]
	v_mov_b32_e32 v27, 0
	s_and_saveexec_b64 s[24:25], vcc
	s_cbranch_execz .LBB2_4240
; %bb.4071:
	s_trap 2
	buffer_load_dword v12, off, s[0:3], s33 offset:72 ; 4-byte Folded Reload
	buffer_load_dword v13, off, s[0:3], s33 offset:76 ; 4-byte Folded Reload
	s_waitcnt vmcnt(0)
	v_and_b32_e32 v1, 63, v45
	s_ashr_i32 s6, s50, 31
	v_cmp_eq_u32_e64 s[12:13], 0, v1
	v_and_b32_e32 v1, 63, v0
	s_lshr_b32 s6, s6, 24
	v_mov_b32_e32 v11, 0
	v_lshrrev_b32_e32 v2, 6, v0
	v_lshlrev_b32_e32 v3, 4, v1
	s_add_i32 s50, s50, s6
	v_cmp_eq_u32_e32 vcc, 64, v44
	v_lshrrev_b32_e32 v47, 6, v44
	v_lshl_or_b32 v10, v2, 11, v3
	v_mov_b32_e32 v14, 0
	v_mov_b32_e32 v26, 0
	s_ashr_i32 s94, s50, 8
	v_cmp_ge_u32_e64 s[6:7], v0, v44
	v_cmp_ne_u32_e64 s[10:11], 64, v44
	v_cmp_ne_u32_sdwa s[26:27], v44, v46 src0_sel:DWORD src1_sel:WORD_0
	v_cmp_eq_u32_e64 s[14:15], 0, v1
	v_cmp_lt_u32_e64 s[16:17], v1, v18
	v_lshlrev_b32_e32 v18, 10, v47
	v_lshlrev_b32_e32 v19, 9, v47
	v_and_b32_e32 v20, 0x3fc0, v44
	s_mov_b64 s[28:29], 0
	v_mov_b32_e32 v15, 0
	v_mov_b32_e32 v27, 0
	;; [unrolled: 1-line block ×3, first 2 shown]
	s_xor_b64 s[42:43], vcc, -1
	s_mov_b32 s95, 0x3ffffc00
	v_cmp_ne_u64_e64 s[18:19], 0, v[12:13]
	v_mov_b32_e32 v13, v11
	v_mov_b32_e32 v12, v10
	s_branch .LBB2_4075
.LBB2_4072:                             ;   in Loop: Header=BB2_4075 Depth=1
	s_or_b64 exec, exec, s[44:45]
	v_add_co_u32_e32 v8, vcc, 1, v8
	v_addc_co_u32_e32 v9, vcc, 0, v9, vcc
	flat_store_dwordx2 v[22:23], v[8:9]
.LBB2_4073:                             ;   in Loop: Header=BB2_4075 Depth=1
	s_or_b64 exec, exec, s[20:21]
.LBB2_4074:                             ;   in Loop: Header=BB2_4075 Depth=1
	s_or_b64 exec, exec, s[46:47]
	v_add_co_u32_e32 v14, vcc, v14, v32
	v_addc_co_u32_e32 v15, vcc, 0, v15, vcc
	v_cmp_ge_u64_e32 vcc, v[14:15], v[4:5]
	s_or_b64 s[28:29], vcc, s[28:29]
	s_andn2_b64 exec, exec, s[28:29]
	s_cbranch_execz .LBB2_4239
.LBB2_4075:                             ; =>This Loop Header: Depth=1
                                        ;     Child Loop BB2_4084 Depth 2
                                        ;     Child Loop BB2_4108 Depth 2
	;; [unrolled: 1-line block ×10, first 2 shown]
	v_sub_co_u32_e32 v16, vcc, v4, v14
	v_subb_co_u32_e32 v17, vcc, v5, v15, vcc
	v_cmp_lt_u64_e32 vcc, v[32:33], v[16:17]
	v_cndmask_b32_e64 v17, v17, 0, vcc
	v_cndmask_b32_e32 v16, v16, v32, vcc
	v_cmp_eq_u64_e32 vcc, 0, v[16:17]
	v_add_u32_e32 v10, 15, v16
	v_and_b32_e32 v10, 0x7ffffff0, v10
	s_or_b64 s[44:45], s[6:7], vcc
	v_max_i32_e32 v10, s94, v10
	s_xor_b64 s[20:21], s[44:45], -1
	v_mov_b32_e32 v17, 0
	s_and_saveexec_b64 s[46:47], s[20:21]
	s_cbranch_execz .LBB2_4192
; %bb.4076:                             ;   in Loop: Header=BB2_4075 Depth=1
	s_and_saveexec_b64 s[20:21], s[4:5]
	s_cbranch_execz .LBB2_4078
; %bb.4077:                             ;   in Loop: Header=BB2_4075 Depth=1
	s_trap 2
	ds_read_b64 v[30:31], v0
	s_waitcnt lgkmcnt(0)
	v_add_co_u32_e32 v17, vcc, v30, v58
	v_addc_co_u32_e32 v24, vcc, v31, v59, vcc
	v_add_co_u32_e32 v30, vcc, v17, v14
	v_addc_co_u32_e32 v31, vcc, v24, v15, vcc
	ds_write_b64 v0, v[30:31]
	v_mov_b32_e32 v30, v11
	v_mov_b32_e32 v31, v11
	ds_write_b64 v0, v[30:31]
.LBB2_4078:                             ;   in Loop: Header=BB2_4075 Depth=1
	s_or_b64 exec, exec, s[20:21]
	v_and_b32_e32 v17, 8, v57
	v_min_u32_e32 v10, v10, v16
	v_cmp_ne_u32_e32 vcc, 0, v17
	s_and_saveexec_b64 s[56:57], vcc
	s_cbranch_execz .LBB2_4100
; %bb.4079:                             ;   in Loop: Header=BB2_4075 Depth=1
	v_add_co_u32_e32 v30, vcc, 8, v28
	v_addc_co_u32_e32 v31, vcc, 0, v29, vcc
	s_waitcnt lgkmcnt(0)
	v_add_co_u32_e32 v36, vcc, 1, v8
	v_addc_co_u32_e32 v37, vcc, 0, v9, vcc
	v_cmp_lt_u64_e32 vcc, v[30:31], v[36:37]
	s_and_saveexec_b64 s[58:59], vcc
	s_cbranch_execz .LBB2_4091
; %bb.4080:                             ;   in Loop: Header=BB2_4075 Depth=1
	v_and_b32_e32 v9, 64, v57
	s_mov_b32 s30, 0
	v_cmp_eq_u32_e32 vcc, 0, v9
	s_mov_b64 s[60:61], 0
                                        ; implicit-def: $sgpr62_sgpr63
                                        ; implicit-def: $sgpr72_sgpr73
                                        ; implicit-def: $sgpr74_sgpr75
	s_branch .LBB2_4084
.LBB2_4081:                             ;   in Loop: Header=BB2_4084 Depth=2
	s_waitcnt vmcnt(0) lgkmcnt(0)
	v_add_co_u32_e64 v30, s[20:21], 8, v28
	v_addc_co_u32_e64 v31, s[20:21], 0, v29, s[20:21]
	v_cmp_ge_u64_e64 s[20:21], v[30:31], v[36:37]
	s_or_b64 s[88:89], s[88:89], exec
	s_orn2_b64 s[78:79], s[20:21], exec
.LBB2_4082:                             ;   in Loop: Header=BB2_4084 Depth=2
	s_or_b64 exec, exec, s[92:93]
	s_andn2_b64 s[20:21], s[74:75], exec
	s_and_b64 s[74:75], s[88:89], exec
	s_or_b64 s[74:75], s[20:21], s[74:75]
	s_andn2_b64 s[20:21], s[72:73], exec
	s_and_b64 s[72:73], s[78:79], exec
	s_or_b64 s[72:73], s[20:21], s[72:73]
.LBB2_4083:                             ;   in Loop: Header=BB2_4084 Depth=2
	s_or_b64 exec, exec, s[76:77]
	s_and_b64 s[20:21], exec, s[72:73]
	s_or_b64 s[60:61], s[20:21], s[60:61]
	s_andn2_b64 s[20:21], s[62:63], exec
	s_and_b64 s[62:63], s[74:75], exec
	s_or_b64 s[62:63], s[20:21], s[62:63]
	s_andn2_b64 exec, exec, s[60:61]
	s_cbranch_execz .LBB2_4088
.LBB2_4084:                             ;   Parent Loop BB2_4075 Depth=1
                                        ; =>  This Inner Loop Header: Depth=2
	s_sleep 1
	s_waitcnt vmcnt(0) lgkmcnt(0)
	flat_load_dwordx2 v[28:29], v[22:23] glc
	s_or_b64 s[74:75], s[74:75], exec
	s_or_b64 s[72:73], s[72:73], exec
                                        ; implicit-def: $vgpr9
	s_and_saveexec_b64 s[76:77], vcc
	s_cbranch_execz .LBB2_4083
; %bb.4085:                             ;   in Loop: Header=BB2_4084 Depth=2
	s_cmpk_lt_i32 s30, 0x270f
	s_cselect_b64 s[90:91], -1, 0
	s_cmpk_gt_i32 s30, 0x270e
	s_mov_b64 s[78:79], -1
	s_cbranch_scc0 .LBB2_4087
; %bb.4086:                             ;   in Loop: Header=BB2_4084 Depth=2
	s_trap 2
	ds_read_b64 v[30:31], v0
	s_andn2_b64 s[90:91], s[90:91], exec
	s_mov_b32 s30, 0
	s_mov_b64 s[88:89], 0
	s_waitcnt vmcnt(0) lgkmcnt(0)
	flat_load_dword v9, v[30:31] glc
	s_waitcnt vmcnt(0) lgkmcnt(0)
	buffer_wbinvl1_vol
	v_cmp_eq_u32_e64 s[20:21], 0, v9
	s_and_b64 s[20:21], s[20:21], exec
	s_or_b64 s[90:91], s[90:91], s[20:21]
	s_and_saveexec_b64 s[92:93], s[90:91]
	s_cbranch_execz .LBB2_4082
	s_branch .LBB2_4081
.LBB2_4087:                             ;   in Loop: Header=BB2_4084 Depth=2
	s_add_i32 s30, s30, 1
	s_mov_b64 s[88:89], -1
                                        ; implicit-def: $vgpr9
	s_and_saveexec_b64 s[92:93], s[90:91]
	s_cbranch_execz .LBB2_4082
	s_branch .LBB2_4081
.LBB2_4088:                             ;   in Loop: Header=BB2_4075 Depth=1
	s_or_b64 exec, exec, s[60:61]
	s_xor_b64 s[20:21], s[62:63], -1
	s_and_saveexec_b64 s[60:61], s[20:21]
	s_xor_b64 s[20:21], exec, s[60:61]
	s_cbranch_execz .LBB2_4090
; %bb.4089:                             ;   in Loop: Header=BB2_4075 Depth=1
	v_or_b32_e32 v57, 64, v57
	s_waitcnt lgkmcnt(0)
	ds_write_b32 v0, v9
	s_trap 2
.LBB2_4090:                             ;   in Loop: Header=BB2_4075 Depth=1
	s_or_b64 exec, exec, s[20:21]
.LBB2_4091:                             ;   in Loop: Header=BB2_4075 Depth=1
	s_or_b64 exec, exec, s[58:59]
	v_and_b32_e32 v9, 0x100, v57
	v_cmp_ne_u32_e32 vcc, 0, v9
	v_and_b32_e32 v17, 7, v8
	s_mov_b64 s[20:21], -1
	;;#ASMSTART
	s_wakeup
	;;#ASMEND
                                        ; implicit-def: $vgpr8_vgpr9
	s_and_saveexec_b64 s[58:59], vcc
	s_cbranch_execz .LBB2_4095
; %bb.4092:                             ;   in Loop: Header=BB2_4075 Depth=1
	v_mad_u64_u32 v[38:39], s[20:21], v17, 24, v[6:7]
	flat_load_dword v8, v[38:39]
	s_nop 0
	flat_store_dwordx2 v[38:39], v[10:11] offset:8
	s_waitcnt vmcnt(0) lgkmcnt(0)
	v_cmp_ne_u32_e32 vcc, 1, v8
	v_cmp_eq_u32_e64 s[20:21], 1, v8
                                        ; implicit-def: $vgpr8_vgpr9
	s_and_saveexec_b64 s[60:61], s[20:21]
	s_cbranch_execz .LBB2_4094
; %bb.4093:                             ;   in Loop: Header=BB2_4075 Depth=1
	flat_load_dword v8, v[38:39] offset:4 glc
	s_waitcnt vmcnt(0) lgkmcnt(0)
	v_ashrrev_i32_e32 v9, 31, v8
.LBB2_4094:                             ;   in Loop: Header=BB2_4075 Depth=1
	s_or_b64 exec, exec, s[60:61]
	s_orn2_b64 s[20:21], vcc, exec
.LBB2_4095:                             ;   in Loop: Header=BB2_4075 Depth=1
	s_or_b64 exec, exec, s[58:59]
	s_and_saveexec_b64 s[58:59], s[20:21]
; %bb.4096:                             ;   in Loop: Header=BB2_4075 Depth=1
	v_mad_i64_i32 v[8:9], s[20:21], v17, v56, 0
; %bb.4097:                             ;   in Loop: Header=BB2_4075 Depth=1
	s_or_b64 exec, exec, s[58:59]
	buffer_load_dword v24, off, s[0:3], s33 offset:60 ; 4-byte Folded Reload
	buffer_load_dword v25, off, s[0:3], s33 offset:64 ; 4-byte Folded Reload
	s_waitcnt vmcnt(0)
	v_add_co_u32_e32 v8, vcc, v24, v8
	v_addc_co_u32_e32 v9, vcc, v25, v9, vcc
	ds_write_b64 v0, v[8:9] offset:784
	v_and_b32_e32 v8, 0x2000, v57
	v_cmp_ne_u32_e32 vcc, 0, v8
	s_and_saveexec_b64 s[20:21], vcc
	s_cbranch_execz .LBB2_4099
; %bb.4098:                             ;   in Loop: Header=BB2_4075 Depth=1
	ds_read_b64 v[8:9], v0 offset:872
	s_waitcnt lgkmcnt(0)
	v_add_co_u32_e32 v8, vcc, 1, v8
	v_addc_co_u32_e32 v9, vcc, 0, v9, vcc
	ds_write_b64 v0, v[8:9] offset:872
.LBB2_4099:                             ;   in Loop: Header=BB2_4075 Depth=1
	s_or_b64 exec, exec, s[20:21]
	v_mov_b32_e32 v8, v36
	v_mov_b32_e32 v9, v37
.LBB2_4100:                             ;   in Loop: Header=BB2_4075 Depth=1
	s_or_b64 exec, exec, s[56:57]
	s_and_saveexec_b64 s[20:21], s[10:11]
	s_cbranch_execz .LBB2_4119
; %bb.4101:                             ;   in Loop: Header=BB2_4075 Depth=1
	s_and_saveexec_b64 s[56:57], s[26:27]
	s_xor_b64 s[56:57], exec, s[56:57]
	s_cbranch_execz .LBB2_4116
; %bb.4102:                             ;   in Loop: Header=BB2_4075 Depth=1
	s_and_saveexec_b64 s[58:59], s[12:13]
	s_cbranch_execz .LBB2_4115
; %bb.4103:                             ;   in Loop: Header=BB2_4075 Depth=1
	s_mov_b64 s[62:63], exec
	v_mbcnt_lo_u32_b32 v17, s62, 0
	v_mbcnt_hi_u32_b32 v17, s63, v17
	v_cmp_eq_u32_e32 vcc, 0, v17
	s_waitcnt vmcnt(0) lgkmcnt(0)
	buffer_wbinvl1_vol
	s_and_saveexec_b64 s[60:61], vcc
	s_cbranch_execz .LBB2_4105
; %bb.4104:                             ;   in Loop: Header=BB2_4075 Depth=1
	s_bcnt1_i32_b64 s62, s[62:63]
	v_mov_b32_e32 v30, s62
	v_mov_b32_e32 v31, v11
	ds_add_u64 v0, v[30:31]
	s_trap 2
.LBB2_4105:                             ;   in Loop: Header=BB2_4075 Depth=1
	s_or_b64 exec, exec, s[60:61]
	s_trap 2
	ds_read_b64 v[30:31], v0
	s_waitcnt lgkmcnt(0)
	v_add_co_u32_e32 v26, vcc, v26, v47
	v_addc_co_u32_e32 v27, vcc, 0, v27, vcc
	v_cmp_lt_u64_e32 vcc, v[30:31], v[26:27]
	s_and_saveexec_b64 s[60:61], vcc
	s_cbranch_execz .LBB2_4114
; %bb.4106:                             ;   in Loop: Header=BB2_4075 Depth=1
	s_mov_b32 s90, 0
	s_mov_b64 s[62:63], 0
                                        ; implicit-def: $sgpr72_sgpr73
                                        ; implicit-def: $sgpr74_sgpr75
	s_branch .LBB2_4108
.LBB2_4107:                             ;   in Loop: Header=BB2_4108 Depth=2
	s_or_b64 exec, exec, s[78:79]
	s_and_b64 s[76:77], exec, s[88:89]
	s_or_b64 s[62:63], s[76:77], s[62:63]
	s_andn2_b64 s[72:73], s[72:73], exec
	s_and_b64 s[76:77], s[74:75], exec
	s_or_b64 s[72:73], s[72:73], s[76:77]
	s_andn2_b64 exec, exec, s[62:63]
	s_cbranch_execz .LBB2_4112
.LBB2_4108:                             ;   Parent Loop BB2_4075 Depth=1
                                        ; =>  This Inner Loop Header: Depth=2
	s_add_i32 s90, s90, 1
	s_cmpk_lg_i32 s90, 0x2710
	s_cselect_b64 s[76:77], -1, 0
	s_and_b64 vcc, exec, s[76:77]
	s_cbranch_vccz .LBB2_4110
; %bb.4109:                             ;   in Loop: Header=BB2_4108 Depth=2
	s_mov_b64 s[88:89], -1
	s_or_b64 s[74:75], s[74:75], exec
	s_and_saveexec_b64 s[78:79], s[76:77]
	s_cbranch_execz .LBB2_4107
	s_branch .LBB2_4111
.LBB2_4110:                             ;   in Loop: Header=BB2_4108 Depth=2
	s_trap 2
	ds_read_b64 v[30:31], v0
	s_andn2_b64 s[76:77], s[76:77], exec
	s_mov_b32 s90, 0
	s_waitcnt lgkmcnt(0)
	flat_load_dword v17, v[30:31] glc
	s_waitcnt vmcnt(0) lgkmcnt(0)
	buffer_wbinvl1_vol
	v_cmp_eq_u32_e32 vcc, 0, v17
	s_and_b64 s[78:79], vcc, exec
	s_or_b64 s[76:77], s[76:77], s[78:79]
	s_mov_b64 s[88:89], -1
	s_or_b64 s[74:75], s[74:75], exec
	s_and_saveexec_b64 s[78:79], s[76:77]
	s_cbranch_execz .LBB2_4107
.LBB2_4111:                             ;   in Loop: Header=BB2_4108 Depth=2
	s_sleep 1
	s_trap 2
	ds_read_b64 v[30:31], v0
	s_waitcnt lgkmcnt(0)
	s_andn2_b64 s[74:75], s[74:75], exec
	v_cmp_ge_u64_e32 vcc, v[30:31], v[26:27]
	s_orn2_b64 s[88:89], vcc, exec
	s_branch .LBB2_4107
.LBB2_4112:                             ;   in Loop: Header=BB2_4075 Depth=1
	s_or_b64 exec, exec, s[62:63]
	s_and_saveexec_b64 s[62:63], s[72:73]
	s_xor_b64 s[62:63], exec, s[62:63]
	s_cbranch_execz .LBB2_4114
; %bb.4113:                             ;   in Loop: Header=BB2_4075 Depth=1
	ds_write_b32 v0, v21
	s_trap 2
.LBB2_4114:                             ;   in Loop: Header=BB2_4075 Depth=1
	s_or_b64 exec, exec, s[60:61]
	;;#ASMSTART
	s_wakeup
	;;#ASMEND
.LBB2_4115:                             ;   in Loop: Header=BB2_4075 Depth=1
	s_or_b64 exec, exec, s[58:59]
.LBB2_4116:                             ;   in Loop: Header=BB2_4075 Depth=1
	s_andn2_saveexec_b64 s[56:57], s[56:57]
	s_cbranch_execz .LBB2_4118
; %bb.4117:                             ;   in Loop: Header=BB2_4075 Depth=1
	s_waitcnt vmcnt(0) lgkmcnt(0)
	buffer_wbinvl1_vol
	s_barrier
.LBB2_4118:                             ;   in Loop: Header=BB2_4075 Depth=1
	s_or_b64 exec, exec, s[56:57]
.LBB2_4119:                             ;   in Loop: Header=BB2_4075 Depth=1
	s_or_b64 exec, exec, s[20:21]
	s_trap 2
	ds_read_b32 v17, v0
	v_and_b32_e32 v24, 0x4000, v57
	v_cmp_ne_u32_e32 vcc, 0, v24
	s_and_b64 s[56:57], s[42:43], vcc
	s_and_saveexec_b64 s[20:21], s[56:57]
	s_cbranch_execz .LBB2_4138
; %bb.4120:                             ;   in Loop: Header=BB2_4075 Depth=1
	s_and_saveexec_b64 s[56:57], s[26:27]
	s_xor_b64 s[56:57], exec, s[56:57]
	s_cbranch_execz .LBB2_4135
; %bb.4121:                             ;   in Loop: Header=BB2_4075 Depth=1
	s_and_saveexec_b64 s[58:59], s[12:13]
	s_cbranch_execz .LBB2_4134
; %bb.4122:                             ;   in Loop: Header=BB2_4075 Depth=1
	s_mov_b64 s[62:63], exec
	v_mbcnt_lo_u32_b32 v24, s62, 0
	v_mbcnt_hi_u32_b32 v24, s63, v24
	v_cmp_eq_u32_e32 vcc, 0, v24
	s_waitcnt vmcnt(0) lgkmcnt(0)
	buffer_wbinvl1_vol
	s_and_saveexec_b64 s[60:61], vcc
	s_cbranch_execz .LBB2_4124
; %bb.4123:                             ;   in Loop: Header=BB2_4075 Depth=1
	s_bcnt1_i32_b64 s62, s[62:63]
	v_mov_b32_e32 v30, s62
	v_mov_b32_e32 v31, v11
	ds_add_u64 v0, v[30:31]
	s_trap 2
.LBB2_4124:                             ;   in Loop: Header=BB2_4075 Depth=1
	s_or_b64 exec, exec, s[60:61]
	s_trap 2
	ds_read_b64 v[30:31], v0
	s_waitcnt lgkmcnt(0)
	v_add_co_u32_e32 v26, vcc, v26, v47
	v_addc_co_u32_e32 v27, vcc, 0, v27, vcc
	v_cmp_lt_u64_e32 vcc, v[30:31], v[26:27]
	s_and_saveexec_b64 s[60:61], vcc
	s_cbranch_execz .LBB2_4133
; %bb.4125:                             ;   in Loop: Header=BB2_4075 Depth=1
	s_mov_b32 s90, 0
	s_mov_b64 s[62:63], 0
                                        ; implicit-def: $sgpr72_sgpr73
                                        ; implicit-def: $sgpr74_sgpr75
	s_branch .LBB2_4127
.LBB2_4126:                             ;   in Loop: Header=BB2_4127 Depth=2
	s_or_b64 exec, exec, s[78:79]
	s_and_b64 s[76:77], exec, s[88:89]
	s_or_b64 s[62:63], s[76:77], s[62:63]
	s_andn2_b64 s[72:73], s[72:73], exec
	s_and_b64 s[76:77], s[74:75], exec
	s_or_b64 s[72:73], s[72:73], s[76:77]
	s_andn2_b64 exec, exec, s[62:63]
	s_cbranch_execz .LBB2_4131
.LBB2_4127:                             ;   Parent Loop BB2_4075 Depth=1
                                        ; =>  This Inner Loop Header: Depth=2
	s_add_i32 s90, s90, 1
	s_cmpk_lg_i32 s90, 0x2710
	s_cselect_b64 s[76:77], -1, 0
	s_and_b64 vcc, exec, s[76:77]
	s_cbranch_vccz .LBB2_4129
; %bb.4128:                             ;   in Loop: Header=BB2_4127 Depth=2
	s_mov_b64 s[88:89], -1
	s_or_b64 s[74:75], s[74:75], exec
	s_and_saveexec_b64 s[78:79], s[76:77]
	s_cbranch_execz .LBB2_4126
	s_branch .LBB2_4130
.LBB2_4129:                             ;   in Loop: Header=BB2_4127 Depth=2
	s_trap 2
	ds_read_b64 v[30:31], v0
	s_andn2_b64 s[76:77], s[76:77], exec
	s_mov_b32 s90, 0
	s_waitcnt lgkmcnt(0)
	flat_load_dword v24, v[30:31] glc
	s_waitcnt vmcnt(0) lgkmcnt(0)
	buffer_wbinvl1_vol
	v_cmp_eq_u32_e32 vcc, 0, v24
	s_and_b64 s[78:79], vcc, exec
	s_or_b64 s[76:77], s[76:77], s[78:79]
	s_mov_b64 s[88:89], -1
	s_or_b64 s[74:75], s[74:75], exec
	s_and_saveexec_b64 s[78:79], s[76:77]
	s_cbranch_execz .LBB2_4126
.LBB2_4130:                             ;   in Loop: Header=BB2_4127 Depth=2
	s_sleep 1
	s_trap 2
	ds_read_b64 v[30:31], v0
	s_waitcnt lgkmcnt(0)
	s_andn2_b64 s[74:75], s[74:75], exec
	v_cmp_ge_u64_e32 vcc, v[30:31], v[26:27]
	s_orn2_b64 s[88:89], vcc, exec
	s_branch .LBB2_4126
.LBB2_4131:                             ;   in Loop: Header=BB2_4075 Depth=1
	s_or_b64 exec, exec, s[62:63]
	s_and_saveexec_b64 s[62:63], s[72:73]
	s_xor_b64 s[62:63], exec, s[62:63]
	s_cbranch_execz .LBB2_4133
; %bb.4132:                             ;   in Loop: Header=BB2_4075 Depth=1
	ds_write_b32 v0, v21
	s_trap 2
.LBB2_4133:                             ;   in Loop: Header=BB2_4075 Depth=1
	s_or_b64 exec, exec, s[60:61]
	;;#ASMSTART
	s_wakeup
	;;#ASMEND
.LBB2_4134:                             ;   in Loop: Header=BB2_4075 Depth=1
	s_or_b64 exec, exec, s[58:59]
.LBB2_4135:                             ;   in Loop: Header=BB2_4075 Depth=1
	s_andn2_saveexec_b64 s[56:57], s[56:57]
	s_cbranch_execz .LBB2_4137
; %bb.4136:                             ;   in Loop: Header=BB2_4075 Depth=1
	s_waitcnt vmcnt(0) lgkmcnt(0)
	buffer_wbinvl1_vol
	s_barrier
.LBB2_4137:                             ;   in Loop: Header=BB2_4075 Depth=1
	s_or_b64 exec, exec, s[56:57]
.LBB2_4138:                             ;   in Loop: Header=BB2_4075 Depth=1
	s_or_b64 exec, exec, s[20:21]
	s_trap 2
	ds_read_b64 v[36:37], v0
	s_waitcnt lgkmcnt(0)
	v_cmp_eq_u64_e32 vcc, 0, v[36:37]
	s_cbranch_vccnz .LBB2_4146
; %bb.4139:                             ;   in Loop: Header=BB2_4075 Depth=1
	s_trap 2
	ds_read_b64 v[38:39], v0
	s_waitcnt lgkmcnt(0)
	v_cmp_eq_u64_e32 vcc, 0, v[38:39]
	s_cbranch_vccnz .LBB2_4146
; %bb.4140:                             ;   in Loop: Header=BB2_4075 Depth=1
	s_mov_b64 s[20:21], -1
	s_and_saveexec_b64 s[56:57], s[14:15]
	s_cbranch_execz .LBB2_4142
; %bb.4141:                             ;   in Loop: Header=BB2_4075 Depth=1
	ds_read_b32 v24, v0 offset:720
	s_waitcnt lgkmcnt(0)
	v_and_b32_e32 v24, 15, v24
	v_cmp_eq_u32_e32 vcc, 0, v24
	s_orn2_b64 s[20:21], vcc, exec
.LBB2_4142:                             ;   in Loop: Header=BB2_4075 Depth=1
	s_or_b64 exec, exec, s[56:57]
	s_and_saveexec_b64 s[56:57], s[16:17]
	s_cbranch_execz .LBB2_4144
; %bb.4143:                             ;   in Loop: Header=BB2_4075 Depth=1
	ds_read_b32 v24, v0 offset:784
	s_waitcnt lgkmcnt(0)
	v_and_b32_e32 v24, 15, v24
	v_cmp_eq_u32_e32 vcc, 0, v24
	s_and_b64 s[58:59], s[20:21], vcc
	s_andn2_b64 s[20:21], s[20:21], exec
	s_and_b64 s[58:59], s[58:59], exec
	s_or_b64 s[20:21], s[20:21], s[58:59]
.LBB2_4144:                             ;   in Loop: Header=BB2_4075 Depth=1
	s_or_b64 exec, exec, s[56:57]
	v_cmp_eq_u32_e32 vcc, 0, v17
	s_xor_b64 s[20:21], s[20:21], -1
	v_cndmask_b32_e32 v17, 0, v10, vcc
	v_cndmask_b32_e64 v24, 0, 1, s[20:21]
	s_mov_b64 s[58:59], -1
	v_cmp_ne_u32_e32 vcc, 0, v24
	v_mov_b32_e32 v30, 0
	v_mov_b32_e32 v31, v17
	;; [unrolled: 1-line block ×3, first 2 shown]
	s_cbranch_vccz .LBB2_4147
; %bb.4145:                             ;   in Loop: Header=BB2_4075 Depth=1
	s_and_saveexec_b64 s[20:21], s[58:59]
	s_cbranch_execnz .LBB2_4158
	s_branch .LBB2_4166
.LBB2_4146:                             ;   in Loop: Header=BB2_4075 Depth=1
	s_mov_b64 s[20:21], 0
	s_and_saveexec_b64 s[56:57], s[10:11]
	s_cbranch_execnz .LBB2_4167
	s_branch .LBB2_4185
.LBB2_4147:                             ;   in Loop: Header=BB2_4075 Depth=1
	v_lshrrev_b32_e32 v24, 11, v17
	v_sub_u32_e32 v35, v24, v2
	v_cmp_lt_i32_e32 vcc, 0, v35
	s_and_saveexec_b64 s[20:21], vcc
	s_cbranch_execz .LBB2_4151
; %bb.4148:                             ;   in Loop: Header=BB2_4075 Depth=1
	v_mov_b32_e32 v49, v13
	s_mov_b64 s[56:57], 0
	v_mov_b32_e32 v48, v12
.LBB2_4149:                             ;   Parent Loop BB2_4075 Depth=1
                                        ; =>  This Inner Loop Header: Depth=2
	v_add_co_u32_e32 v30, vcc, v36, v48
	v_addc_co_u32_e32 v31, vcc, v37, v49, vcc
	global_load_dwordx4 v[50:53], v[30:31], off glc slc
	global_load_dwordx4 v[40:43], v[30:31], off offset:1024 glc slc
	v_add_co_u32_e32 v30, vcc, v38, v48
	v_addc_co_u32_e32 v31, vcc, v39, v49, vcc
	v_lshlrev_b32_e32 v24, 11, v47
	v_add_co_u32_e32 v48, vcc, v48, v24
	v_sub_u32_e32 v35, v35, v47
	v_addc_co_u32_e32 v49, vcc, 0, v49, vcc
	v_cmp_gt_i32_e32 vcc, 1, v35
	s_or_b64 s[56:57], vcc, s[56:57]
	s_waitcnt vmcnt(0)
	global_store_dwordx4 v[30:31], v[50:53], off glc slc
	s_waitcnt vmcnt(1)
	global_store_dwordx4 v[30:31], v[40:43], off offset:1024 glc slc
	s_andn2_b64 exec, exec, s[56:57]
	s_cbranch_execnz .LBB2_4149
; %bb.4150:                             ;   in Loop: Header=BB2_4075 Depth=1
	s_or_b64 exec, exec, s[56:57]
.LBB2_4151:                             ;   in Loop: Header=BB2_4075 Depth=1
	s_or_b64 exec, exec, s[20:21]
	v_and_b32_e32 v48, 0x3ffff800, v17
	v_cmp_ne_u32_e32 vcc, v17, v48
	s_mov_b64 s[58:59], 0
	v_mov_b32_e32 v30, 0
                                        ; implicit-def: $vgpr31
                                        ; implicit-def: $vgpr34
	s_and_saveexec_b64 s[56:57], vcc
	s_cbranch_execz .LBB2_4157
; %bb.4152:                             ;   in Loop: Header=BB2_4075 Depth=1
	v_lshlrev_b32_e32 v30, 10, v35
	v_and_b32_e32 v24, 0x7ff, v17
	v_sub_u32_e32 v25, 0, v35
	v_sub_u32_e32 v35, v3, v30
	v_and_b32_e32 v31, 0x3ff, v17
	v_sub_u32_e32 v30, v24, v35
	v_bfe_u32 v24, v17, 10, 1
	v_cmp_lt_u32_e32 vcc, 15, v31
	v_and_b32_e32 v25, 0x3ffffff, v25
	v_addc_co_u32_e64 v24, s[20:21], 0, v24, vcc
	v_sub_u32_e32 v34, v24, v25
	v_cmp_lt_i32_e64 s[20:21], 15, v30
	s_and_saveexec_b64 s[58:59], s[20:21]
	s_cbranch_execz .LBB2_4156
; %bb.4153:                             ;   in Loop: Header=BB2_4075 Depth=1
	v_add_u32_e32 v35, v35, v48
	v_mov_b32_e32 v48, v11
	s_mov_b64 s[60:61], 0
.LBB2_4154:                             ;   Parent Loop BB2_4075 Depth=1
                                        ; =>  This Inner Loop Header: Depth=2
	v_add_co_u32_e64 v49, s[20:21], v36, v35
	v_addc_co_u32_e64 v50, s[20:21], v37, v48, s[20:21]
	global_load_dwordx4 v[49:52], v[49:50], off glc slc
	v_add_co_u32_e64 v53, s[20:21], v38, v35
	v_addc_co_u32_e64 v54, s[20:21], v39, v48, s[20:21]
	v_add_co_u32_e64 v35, s[20:21], v35, v18
	v_sub_u32_e32 v30, v30, v18
	v_addc_co_u32_e64 v48, s[20:21], 0, v48, s[20:21]
	v_cmp_gt_i32_e64 s[20:21], 16, v30
	v_sub_u32_e32 v34, v34, v47
	s_or_b64 s[60:61], s[20:21], s[60:61]
	s_waitcnt vmcnt(0)
	global_store_dwordx4 v[53:54], v[49:52], off glc slc
	s_andn2_b64 exec, exec, s[60:61]
	s_cbranch_execnz .LBB2_4154
; %bb.4155:                             ;   in Loop: Header=BB2_4075 Depth=1
	s_or_b64 exec, exec, s[60:61]
.LBB2_4156:                             ;   in Loop: Header=BB2_4075 Depth=1
	s_or_b64 exec, exec, s[58:59]
	v_and_b32_e32 v24, 15, v17
	v_and_b32_e32 v25, 0x3f0, v17
	v_cndmask_b32_e32 v25, 0, v25, vcc
	v_cndmask_b32_e32 v31, v31, v24, vcc
	v_cmp_lt_i32_e32 vcc, 0, v34
	v_cndmask_b32_e32 v24, 0, v47, vcc
	v_sub_u32_e32 v24, v24, v34
	v_cmp_ne_u32_e32 vcc, 0, v31
	v_and_or_b32 v30, v17, s95, v25
	v_lshl_or_b32 v34, v24, 6, v1
	s_and_b64 s[58:59], vcc, exec
.LBB2_4157:                             ;   in Loop: Header=BB2_4075 Depth=1
	s_or_b64 exec, exec, s[56:57]
	s_and_saveexec_b64 s[20:21], s[58:59]
	s_cbranch_execz .LBB2_4166
.LBB2_4158:                             ;   in Loop: Header=BB2_4075 Depth=1
	v_ashrrev_i32_e32 v24, 31, v34
	v_lshrrev_b32_e32 v24, 26, v24
	v_add_u32_e32 v49, v34, v24
	v_ashrrev_i32_e32 v35, 6, v49
	v_lshrrev_b32_e32 v24, 9, v31
	v_sub_u32_e32 v48, v24, v35
	v_cmp_lt_i32_e32 vcc, 0, v48
	s_and_saveexec_b64 s[56:57], vcc
	s_cbranch_execz .LBB2_4162
; %bb.4159:                             ;   in Loop: Header=BB2_4075 Depth=1
	v_and_b32_e32 v24, 0xffffffc0, v49
	v_sub_u32_e32 v24, v34, v24
	v_lshlrev_b32_e32 v25, 9, v35
	v_add3_u32 v49, v30, v24, v25
	v_ashrrev_i32_e32 v50, 31, v49
	s_mov_b64 s[58:59], 0
.LBB2_4160:                             ;   Parent Loop BB2_4075 Depth=1
                                        ; =>  This Inner Loop Header: Depth=2
	v_add_co_u32_e32 v51, vcc, v49, v36
	v_addc_co_u32_e32 v52, vcc, v50, v37, vcc
	flat_load_ubyte v24, v[51:52] glc slc
	flat_load_ubyte v25, v[51:52] offset:64 glc slc
	flat_load_ubyte v53, v[51:52] offset:128 glc slc
	;; [unrolled: 1-line block ×7, first 2 shown]
	v_add_co_u32_e32 v51, vcc, v49, v38
	v_addc_co_u32_e32 v52, vcc, v50, v39, vcc
	v_add_co_u32_e32 v36, vcc, v36, v19
	v_addc_co_u32_e32 v37, vcc, 0, v37, vcc
	v_add_co_u32_e32 v38, vcc, v38, v19
	v_sub_u32_e32 v48, v48, v47
	v_addc_co_u32_e32 v39, vcc, 0, v39, vcc
	v_cmp_gt_i32_e32 vcc, 1, v48
	s_or_b64 s[58:59], vcc, s[58:59]
	s_waitcnt vmcnt(0) lgkmcnt(0)
	flat_store_byte v[51:52], v24 glc slc
	flat_store_byte v[51:52], v25 offset:64 glc slc
	flat_store_byte v[51:52], v53 offset:128 glc slc
	;; [unrolled: 1-line block ×7, first 2 shown]
	s_andn2_b64 exec, exec, s[58:59]
	s_cbranch_execnz .LBB2_4160
; %bb.4161:                             ;   in Loop: Header=BB2_4075 Depth=1
	s_or_b64 exec, exec, s[58:59]
.LBB2_4162:                             ;   in Loop: Header=BB2_4075 Depth=1
	s_or_b64 exec, exec, s[56:57]
	v_and_b32_e32 v38, 0xfffffe00, v31
	v_cmp_ne_u32_e32 vcc, v31, v38
	s_and_b64 exec, exec, vcc
	s_cbranch_execz .LBB2_4166
; %bb.4163:                             ;   in Loop: Header=BB2_4075 Depth=1
	v_lshlrev_b32_e32 v24, 6, v35
	v_sub_u32_e32 v24, v34, v24
	v_lshlrev_b32_e32 v25, 6, v48
	v_sub_u32_e32 v34, v24, v25
	v_and_b32_e32 v24, 0x1ff, v31
	v_sub_u32_e32 v31, v24, v34
	v_cmp_lt_i32_e32 vcc, 0, v31
	s_and_b64 exec, exec, vcc
	s_cbranch_execz .LBB2_4166
; %bb.4164:                             ;   in Loop: Header=BB2_4075 Depth=1
	s_trap 2
	ds_read_b64 v[36:37], v0
	v_add3_u32 v30, v38, v30, v34
	v_ashrrev_i32_e32 v34, 31, v30
	s_mov_b64 s[56:57], 0
.LBB2_4165:                             ;   Parent Loop BB2_4075 Depth=1
                                        ; =>  This Inner Loop Header: Depth=2
	s_waitcnt lgkmcnt(0)
	v_add_co_u32_e32 v38, vcc, v36, v30
	v_addc_co_u32_e32 v39, vcc, v37, v34, vcc
	flat_load_ubyte v24, v[38:39] glc slc
	v_add_co_u32_e32 v30, vcc, v30, v20
	v_sub_u32_e32 v31, v31, v20
	v_addc_co_u32_e32 v34, vcc, 0, v34, vcc
	v_cmp_gt_i32_e32 vcc, 1, v31
	s_or_b64 s[56:57], vcc, s[56:57]
	s_waitcnt vmcnt(0) lgkmcnt(0)
	flat_store_byte v[38:39], v24 glc slc
	s_andn2_b64 exec, exec, s[56:57]
	s_cbranch_execnz .LBB2_4165
.LBB2_4166:                             ;   in Loop: Header=BB2_4075 Depth=1
	s_or_b64 exec, exec, s[20:21]
	v_cmp_ne_u32_e64 s[20:21], 0, v17
	s_and_saveexec_b64 s[56:57], s[10:11]
	s_cbranch_execz .LBB2_4185
.LBB2_4167:                             ;   in Loop: Header=BB2_4075 Depth=1
	s_and_saveexec_b64 s[58:59], s[26:27]
	s_xor_b64 s[58:59], exec, s[58:59]
	s_cbranch_execz .LBB2_4182
; %bb.4168:                             ;   in Loop: Header=BB2_4075 Depth=1
	s_and_saveexec_b64 s[60:61], s[12:13]
	s_cbranch_execz .LBB2_4181
; %bb.4169:                             ;   in Loop: Header=BB2_4075 Depth=1
	s_mov_b64 s[72:73], exec
	v_mbcnt_lo_u32_b32 v17, s72, 0
	v_mbcnt_hi_u32_b32 v17, s73, v17
	v_cmp_eq_u32_e32 vcc, 0, v17
	s_waitcnt vmcnt(0) lgkmcnt(0)
	buffer_wbinvl1_vol
	s_and_saveexec_b64 s[62:63], vcc
	s_cbranch_execz .LBB2_4171
; %bb.4170:                             ;   in Loop: Header=BB2_4075 Depth=1
	s_bcnt1_i32_b64 s72, s[72:73]
	v_mov_b32_e32 v30, s72
	v_mov_b32_e32 v31, v11
	ds_add_u64 v0, v[30:31]
	s_trap 2
.LBB2_4171:                             ;   in Loop: Header=BB2_4075 Depth=1
	s_or_b64 exec, exec, s[62:63]
	s_trap 2
	ds_read_b64 v[30:31], v0
	s_waitcnt lgkmcnt(0)
	v_add_co_u32_e32 v26, vcc, v26, v47
	v_addc_co_u32_e32 v27, vcc, 0, v27, vcc
	v_cmp_lt_u64_e32 vcc, v[30:31], v[26:27]
	s_and_saveexec_b64 s[62:63], vcc
	s_cbranch_execz .LBB2_4180
; %bb.4172:                             ;   in Loop: Header=BB2_4075 Depth=1
	s_mov_b32 s92, 0
	s_mov_b64 s[72:73], 0
                                        ; implicit-def: $sgpr74_sgpr75
                                        ; implicit-def: $sgpr76_sgpr77
	s_branch .LBB2_4174
.LBB2_4173:                             ;   in Loop: Header=BB2_4174 Depth=2
	s_or_b64 exec, exec, s[88:89]
	s_and_b64 s[78:79], exec, s[90:91]
	s_or_b64 s[72:73], s[78:79], s[72:73]
	s_andn2_b64 s[74:75], s[74:75], exec
	s_and_b64 s[78:79], s[76:77], exec
	s_or_b64 s[74:75], s[74:75], s[78:79]
	s_andn2_b64 exec, exec, s[72:73]
	s_cbranch_execz .LBB2_4178
.LBB2_4174:                             ;   Parent Loop BB2_4075 Depth=1
                                        ; =>  This Inner Loop Header: Depth=2
	s_add_i32 s92, s92, 1
	s_cmpk_lg_i32 s92, 0x2710
	s_cselect_b64 s[78:79], -1, 0
	s_and_b64 vcc, exec, s[78:79]
	s_cbranch_vccz .LBB2_4176
; %bb.4175:                             ;   in Loop: Header=BB2_4174 Depth=2
	s_mov_b64 s[90:91], -1
	s_or_b64 s[76:77], s[76:77], exec
	s_and_saveexec_b64 s[88:89], s[78:79]
	s_cbranch_execz .LBB2_4173
	s_branch .LBB2_4177
.LBB2_4176:                             ;   in Loop: Header=BB2_4174 Depth=2
	s_trap 2
	ds_read_b64 v[30:31], v0
	s_andn2_b64 s[78:79], s[78:79], exec
	s_mov_b32 s92, 0
	s_waitcnt lgkmcnt(0)
	flat_load_dword v17, v[30:31] glc
	s_waitcnt vmcnt(0) lgkmcnt(0)
	buffer_wbinvl1_vol
	v_cmp_eq_u32_e32 vcc, 0, v17
	s_and_b64 s[88:89], vcc, exec
	s_or_b64 s[78:79], s[78:79], s[88:89]
	s_mov_b64 s[90:91], -1
	s_or_b64 s[76:77], s[76:77], exec
	s_and_saveexec_b64 s[88:89], s[78:79]
	s_cbranch_execz .LBB2_4173
.LBB2_4177:                             ;   in Loop: Header=BB2_4174 Depth=2
	s_sleep 1
	s_trap 2
	ds_read_b64 v[30:31], v0
	s_waitcnt lgkmcnt(0)
	s_andn2_b64 s[76:77], s[76:77], exec
	v_cmp_ge_u64_e32 vcc, v[30:31], v[26:27]
	s_orn2_b64 s[90:91], vcc, exec
	s_branch .LBB2_4173
.LBB2_4178:                             ;   in Loop: Header=BB2_4075 Depth=1
	s_or_b64 exec, exec, s[72:73]
	s_and_saveexec_b64 s[72:73], s[74:75]
	s_xor_b64 s[72:73], exec, s[72:73]
	s_cbranch_execz .LBB2_4180
; %bb.4179:                             ;   in Loop: Header=BB2_4075 Depth=1
	ds_write_b32 v0, v21
	s_trap 2
.LBB2_4180:                             ;   in Loop: Header=BB2_4075 Depth=1
	s_or_b64 exec, exec, s[62:63]
	;;#ASMSTART
	s_wakeup
	;;#ASMEND
.LBB2_4181:                             ;   in Loop: Header=BB2_4075 Depth=1
	s_or_b64 exec, exec, s[60:61]
.LBB2_4182:                             ;   in Loop: Header=BB2_4075 Depth=1
	s_andn2_saveexec_b64 s[58:59], s[58:59]
	s_cbranch_execz .LBB2_4184
; %bb.4183:                             ;   in Loop: Header=BB2_4075 Depth=1
	s_waitcnt vmcnt(0) lgkmcnt(0)
	buffer_wbinvl1_vol
	s_barrier
.LBB2_4184:                             ;   in Loop: Header=BB2_4075 Depth=1
	s_or_b64 exec, exec, s[58:59]
.LBB2_4185:                             ;   in Loop: Header=BB2_4075 Depth=1
	s_or_b64 exec, exec, s[56:57]
	v_and_b32_e32 v17, 16, v57
	v_cmp_ne_u32_e32 vcc, 0, v17
	s_and_b64 s[56:57], vcc, s[20:21]
	s_and_saveexec_b64 s[20:21], s[56:57]
	s_cbranch_execz .LBB2_4187
; %bb.4186:                             ;   in Loop: Header=BB2_4075 Depth=1
	s_waitcnt vmcnt(0) lgkmcnt(0)
	buffer_wbinvl1_vol
.LBB2_4187:                             ;   in Loop: Header=BB2_4075 Depth=1
	s_or_b64 exec, exec, s[20:21]
	v_cmp_ne_u32_e32 vcc, 0, v17
	s_and_saveexec_b64 s[20:21], vcc
	s_cbranch_execz .LBB2_4191
; %bb.4188:                             ;   in Loop: Header=BB2_4075 Depth=1
	s_and_saveexec_b64 s[56:57], s[18:19]
	s_cbranch_execz .LBB2_4190
; %bb.4189:                             ;   in Loop: Header=BB2_4075 Depth=1
	buffer_load_dword v24, off, s[0:3], s33 offset:72 ; 4-byte Folded Reload
	buffer_load_dword v25, off, s[0:3], s33 offset:76 ; 4-byte Folded Reload
	s_waitcnt vmcnt(0)
	flat_store_dword v[24:25], v21
.LBB2_4190:                             ;   in Loop: Header=BB2_4075 Depth=1
	s_or_b64 exec, exec, s[56:57]
	v_add_co_u32_e32 v8, vcc, 1, v8
	v_addc_co_u32_e32 v9, vcc, 0, v9, vcc
	flat_store_dwordx2 v[22:23], v[8:9]
.LBB2_4191:                             ;   in Loop: Header=BB2_4075 Depth=1
	s_or_b64 exec, exec, s[20:21]
	v_mov_b32_e32 v17, v10
.LBB2_4192:                             ;   in Loop: Header=BB2_4075 Depth=1
	s_or_b64 exec, exec, s[46:47]
	s_and_saveexec_b64 s[46:47], s[44:45]
	s_cbranch_execz .LBB2_4074
; %bb.4193:                             ;   in Loop: Header=BB2_4075 Depth=1
	v_sub_u32_e32 v16, v16, v17
	v_min_i32_e32 v16, v10, v16
	v_and_b32_e32 v10, 8, v57
	v_cmp_ne_u32_e32 vcc, 0, v10
	s_and_saveexec_b64 s[44:45], vcc
	s_cbranch_execz .LBB2_4215
; %bb.4194:                             ;   in Loop: Header=BB2_4075 Depth=1
	v_add_co_u32_e32 v30, vcc, 8, v28
	v_addc_co_u32_e32 v31, vcc, 0, v29, vcc
	s_waitcnt lgkmcnt(0)
	v_add_co_u32_e32 v36, vcc, 1, v8
	v_addc_co_u32_e32 v37, vcc, 0, v9, vcc
	v_cmp_lt_u64_e32 vcc, v[30:31], v[36:37]
	s_and_saveexec_b64 s[56:57], vcc
	s_cbranch_execz .LBB2_4206
; %bb.4195:                             ;   in Loop: Header=BB2_4075 Depth=1
	v_and_b32_e32 v9, 64, v57
	s_mov_b32 s92, 0
	v_cmp_eq_u32_e32 vcc, 0, v9
	s_mov_b64 s[58:59], 0
                                        ; implicit-def: $sgpr60_sgpr61
                                        ; implicit-def: $sgpr62_sgpr63
                                        ; implicit-def: $sgpr72_sgpr73
	s_branch .LBB2_4199
.LBB2_4196:                             ;   in Loop: Header=BB2_4199 Depth=2
	s_waitcnt vmcnt(0) lgkmcnt(0)
	v_add_co_u32_e64 v30, s[20:21], 8, v28
	v_addc_co_u32_e64 v31, s[20:21], 0, v29, s[20:21]
	v_cmp_ge_u64_e64 s[20:21], v[30:31], v[36:37]
	s_or_b64 s[78:79], s[78:79], exec
	s_orn2_b64 s[76:77], s[20:21], exec
.LBB2_4197:                             ;   in Loop: Header=BB2_4199 Depth=2
	s_or_b64 exec, exec, s[90:91]
	s_andn2_b64 s[20:21], s[72:73], exec
	s_and_b64 s[72:73], s[78:79], exec
	s_or_b64 s[72:73], s[20:21], s[72:73]
	s_andn2_b64 s[20:21], s[62:63], exec
	s_and_b64 s[62:63], s[76:77], exec
	s_or_b64 s[62:63], s[20:21], s[62:63]
.LBB2_4198:                             ;   in Loop: Header=BB2_4199 Depth=2
	s_or_b64 exec, exec, s[74:75]
	s_and_b64 s[20:21], exec, s[62:63]
	s_or_b64 s[58:59], s[20:21], s[58:59]
	s_andn2_b64 s[20:21], s[60:61], exec
	s_and_b64 s[60:61], s[72:73], exec
	s_or_b64 s[60:61], s[20:21], s[60:61]
	s_andn2_b64 exec, exec, s[58:59]
	s_cbranch_execz .LBB2_4203
.LBB2_4199:                             ;   Parent Loop BB2_4075 Depth=1
                                        ; =>  This Inner Loop Header: Depth=2
	s_sleep 1
	s_waitcnt vmcnt(0) lgkmcnt(0)
	flat_load_dwordx2 v[28:29], v[22:23] glc
	s_or_b64 s[72:73], s[72:73], exec
	s_or_b64 s[62:63], s[62:63], exec
                                        ; implicit-def: $vgpr9
	s_and_saveexec_b64 s[74:75], vcc
	s_cbranch_execz .LBB2_4198
; %bb.4200:                             ;   in Loop: Header=BB2_4199 Depth=2
	s_cmpk_lt_i32 s92, 0x270f
	s_cselect_b64 s[88:89], -1, 0
	s_cmpk_gt_i32 s92, 0x270e
	s_mov_b64 s[76:77], -1
	s_cbranch_scc0 .LBB2_4202
; %bb.4201:                             ;   in Loop: Header=BB2_4199 Depth=2
	s_trap 2
	ds_read_b64 v[9:10], v0
	s_andn2_b64 s[88:89], s[88:89], exec
	s_mov_b32 s92, 0
	s_mov_b64 s[78:79], 0
	s_waitcnt vmcnt(0) lgkmcnt(0)
	flat_load_dword v9, v[9:10] glc
	s_waitcnt vmcnt(0) lgkmcnt(0)
	buffer_wbinvl1_vol
	v_cmp_eq_u32_e64 s[20:21], 0, v9
	s_and_b64 s[20:21], s[20:21], exec
	s_or_b64 s[88:89], s[88:89], s[20:21]
	s_and_saveexec_b64 s[90:91], s[88:89]
	s_cbranch_execz .LBB2_4197
	s_branch .LBB2_4196
.LBB2_4202:                             ;   in Loop: Header=BB2_4199 Depth=2
	s_add_i32 s92, s92, 1
	s_mov_b64 s[78:79], -1
                                        ; implicit-def: $vgpr9
	s_and_saveexec_b64 s[90:91], s[88:89]
	s_cbranch_execz .LBB2_4197
	s_branch .LBB2_4196
.LBB2_4203:                             ;   in Loop: Header=BB2_4075 Depth=1
	s_or_b64 exec, exec, s[58:59]
	s_xor_b64 s[20:21], s[60:61], -1
	s_and_saveexec_b64 s[58:59], s[20:21]
	s_xor_b64 s[20:21], exec, s[58:59]
	s_cbranch_execz .LBB2_4205
; %bb.4204:                             ;   in Loop: Header=BB2_4075 Depth=1
	v_or_b32_e32 v57, 64, v57
	s_waitcnt lgkmcnt(0)
	ds_write_b32 v0, v9
	s_trap 2
.LBB2_4205:                             ;   in Loop: Header=BB2_4075 Depth=1
	s_or_b64 exec, exec, s[20:21]
.LBB2_4206:                             ;   in Loop: Header=BB2_4075 Depth=1
	s_or_b64 exec, exec, s[56:57]
	v_and_b32_e32 v9, 0x100, v57
	v_cmp_ne_u32_e32 vcc, 0, v9
	v_and_b32_e32 v10, 7, v8
	s_mov_b64 s[20:21], -1
	;;#ASMSTART
	s_wakeup
	;;#ASMEND
                                        ; implicit-def: $vgpr8_vgpr9
	s_and_saveexec_b64 s[56:57], vcc
	s_cbranch_execz .LBB2_4210
; %bb.4207:                             ;   in Loop: Header=BB2_4075 Depth=1
	v_mad_u64_u32 v[38:39], s[20:21], v10, 24, v[6:7]
	v_ashrrev_i32_e32 v17, 31, v16
	flat_load_dword v8, v[38:39]
	s_nop 0
	flat_store_dwordx2 v[38:39], v[16:17] offset:8
	s_waitcnt vmcnt(0) lgkmcnt(0)
	v_cmp_ne_u32_e32 vcc, 1, v8
	v_cmp_eq_u32_e64 s[20:21], 1, v8
                                        ; implicit-def: $vgpr8_vgpr9
	s_and_saveexec_b64 s[58:59], s[20:21]
	s_cbranch_execz .LBB2_4209
; %bb.4208:                             ;   in Loop: Header=BB2_4075 Depth=1
	flat_load_dword v8, v[38:39] offset:4 glc
	s_waitcnt vmcnt(0) lgkmcnt(0)
	v_ashrrev_i32_e32 v9, 31, v8
.LBB2_4209:                             ;   in Loop: Header=BB2_4075 Depth=1
	s_or_b64 exec, exec, s[58:59]
	s_orn2_b64 s[20:21], vcc, exec
.LBB2_4210:                             ;   in Loop: Header=BB2_4075 Depth=1
	s_or_b64 exec, exec, s[56:57]
	s_and_saveexec_b64 s[56:57], s[20:21]
; %bb.4211:                             ;   in Loop: Header=BB2_4075 Depth=1
	v_mad_i64_i32 v[8:9], s[20:21], v10, v56, 0
; %bb.4212:                             ;   in Loop: Header=BB2_4075 Depth=1
	s_or_b64 exec, exec, s[56:57]
	buffer_load_dword v24, off, s[0:3], s33 offset:60 ; 4-byte Folded Reload
	buffer_load_dword v25, off, s[0:3], s33 offset:64 ; 4-byte Folded Reload
	s_waitcnt vmcnt(0)
	v_add_co_u32_e32 v8, vcc, v24, v8
	v_addc_co_u32_e32 v9, vcc, v25, v9, vcc
	ds_write_b64 v0, v[8:9] offset:784
	v_and_b32_e32 v8, 0x2000, v57
	v_cmp_ne_u32_e32 vcc, 0, v8
	s_and_saveexec_b64 s[20:21], vcc
	s_cbranch_execz .LBB2_4214
; %bb.4213:                             ;   in Loop: Header=BB2_4075 Depth=1
	ds_read_b64 v[8:9], v0 offset:872
	s_waitcnt lgkmcnt(0)
	v_add_co_u32_e32 v8, vcc, 1, v8
	v_addc_co_u32_e32 v9, vcc, 0, v9, vcc
	ds_write_b64 v0, v[8:9] offset:872
.LBB2_4214:                             ;   in Loop: Header=BB2_4075 Depth=1
	s_or_b64 exec, exec, s[20:21]
	v_mov_b32_e32 v8, v36
	v_mov_b32_e32 v9, v37
.LBB2_4215:                             ;   in Loop: Header=BB2_4075 Depth=1
	s_or_b64 exec, exec, s[44:45]
	s_and_saveexec_b64 s[20:21], s[10:11]
	s_cbranch_execz .LBB2_4234
; %bb.4216:                             ;   in Loop: Header=BB2_4075 Depth=1
	s_and_saveexec_b64 s[44:45], s[26:27]
	s_xor_b64 s[44:45], exec, s[44:45]
	s_cbranch_execz .LBB2_4231
; %bb.4217:                             ;   in Loop: Header=BB2_4075 Depth=1
	s_and_saveexec_b64 s[56:57], s[12:13]
	s_cbranch_execz .LBB2_4230
; %bb.4218:                             ;   in Loop: Header=BB2_4075 Depth=1
	s_mov_b64 s[60:61], exec
	v_mbcnt_lo_u32_b32 v10, s60, 0
	v_mbcnt_hi_u32_b32 v10, s61, v10
	v_cmp_eq_u32_e32 vcc, 0, v10
	s_waitcnt vmcnt(0) lgkmcnt(0)
	buffer_wbinvl1_vol
	s_and_saveexec_b64 s[58:59], vcc
	s_cbranch_execz .LBB2_4220
; %bb.4219:                             ;   in Loop: Header=BB2_4075 Depth=1
	s_bcnt1_i32_b64 s60, s[60:61]
	v_mov_b32_e32 v10, s60
	ds_add_u64 v0, v[10:11]
	s_trap 2
.LBB2_4220:                             ;   in Loop: Header=BB2_4075 Depth=1
	s_or_b64 exec, exec, s[58:59]
	s_trap 2
	ds_read_b64 v[30:31], v0
	s_waitcnt lgkmcnt(0)
	v_add_co_u32_e32 v26, vcc, v26, v47
	v_addc_co_u32_e32 v27, vcc, 0, v27, vcc
	v_cmp_lt_u64_e32 vcc, v[30:31], v[26:27]
	s_and_saveexec_b64 s[58:59], vcc
	s_cbranch_execz .LBB2_4229
; %bb.4221:                             ;   in Loop: Header=BB2_4075 Depth=1
	s_mov_b32 s88, 0
	s_mov_b64 s[60:61], 0
                                        ; implicit-def: $sgpr62_sgpr63
                                        ; implicit-def: $sgpr72_sgpr73
	s_branch .LBB2_4223
.LBB2_4222:                             ;   in Loop: Header=BB2_4223 Depth=2
	s_or_b64 exec, exec, s[76:77]
	s_and_b64 s[74:75], exec, s[78:79]
	s_or_b64 s[60:61], s[74:75], s[60:61]
	s_andn2_b64 s[62:63], s[62:63], exec
	s_and_b64 s[74:75], s[72:73], exec
	s_or_b64 s[62:63], s[62:63], s[74:75]
	s_andn2_b64 exec, exec, s[60:61]
	s_cbranch_execz .LBB2_4227
.LBB2_4223:                             ;   Parent Loop BB2_4075 Depth=1
                                        ; =>  This Inner Loop Header: Depth=2
	s_add_i32 s88, s88, 1
	s_cmpk_lg_i32 s88, 0x2710
	s_cselect_b64 s[74:75], -1, 0
	s_and_b64 vcc, exec, s[74:75]
	s_cbranch_vccz .LBB2_4225
; %bb.4224:                             ;   in Loop: Header=BB2_4223 Depth=2
	s_mov_b64 s[78:79], -1
	s_or_b64 s[72:73], s[72:73], exec
	s_and_saveexec_b64 s[76:77], s[74:75]
	s_cbranch_execz .LBB2_4222
	s_branch .LBB2_4226
.LBB2_4225:                             ;   in Loop: Header=BB2_4223 Depth=2
	s_trap 2
	ds_read_b64 v[30:31], v0
	s_andn2_b64 s[74:75], s[74:75], exec
	s_mov_b32 s88, 0
	s_waitcnt lgkmcnt(0)
	flat_load_dword v10, v[30:31] glc
	s_waitcnt vmcnt(0) lgkmcnt(0)
	buffer_wbinvl1_vol
	v_cmp_eq_u32_e32 vcc, 0, v10
	s_and_b64 s[76:77], vcc, exec
	s_or_b64 s[74:75], s[74:75], s[76:77]
	s_mov_b64 s[78:79], -1
	s_or_b64 s[72:73], s[72:73], exec
	s_and_saveexec_b64 s[76:77], s[74:75]
	s_cbranch_execz .LBB2_4222
.LBB2_4226:                             ;   in Loop: Header=BB2_4223 Depth=2
	s_sleep 1
	s_trap 2
	ds_read_b64 v[30:31], v0
	s_waitcnt lgkmcnt(0)
	s_andn2_b64 s[72:73], s[72:73], exec
	v_cmp_ge_u64_e32 vcc, v[30:31], v[26:27]
	s_orn2_b64 s[78:79], vcc, exec
	s_branch .LBB2_4222
.LBB2_4227:                             ;   in Loop: Header=BB2_4075 Depth=1
	s_or_b64 exec, exec, s[60:61]
	s_and_saveexec_b64 s[60:61], s[62:63]
	s_xor_b64 s[60:61], exec, s[60:61]
	s_cbranch_execz .LBB2_4229
; %bb.4228:                             ;   in Loop: Header=BB2_4075 Depth=1
	ds_write_b32 v0, v21
	s_trap 2
.LBB2_4229:                             ;   in Loop: Header=BB2_4075 Depth=1
	s_or_b64 exec, exec, s[58:59]
	;;#ASMSTART
	s_wakeup
	;;#ASMEND
.LBB2_4230:                             ;   in Loop: Header=BB2_4075 Depth=1
	s_or_b64 exec, exec, s[56:57]
.LBB2_4231:                             ;   in Loop: Header=BB2_4075 Depth=1
	s_andn2_saveexec_b64 s[44:45], s[44:45]
	s_cbranch_execz .LBB2_4233
; %bb.4232:                             ;   in Loop: Header=BB2_4075 Depth=1
	s_waitcnt vmcnt(0) lgkmcnt(0)
	buffer_wbinvl1_vol
	s_barrier
.LBB2_4233:                             ;   in Loop: Header=BB2_4075 Depth=1
	s_or_b64 exec, exec, s[44:45]
.LBB2_4234:                             ;   in Loop: Header=BB2_4075 Depth=1
	s_or_b64 exec, exec, s[20:21]
	s_trap 2
	ds_read_b32 v17, v0
	v_cmp_lt_i32_e32 vcc, 0, v16
	v_and_b32_e32 v10, 16, v57
	s_waitcnt lgkmcnt(0)
	v_readfirstlane_b32 s20, v17
	s_cmp_eq_u32 s20, 0
	s_cselect_b64 s[20:21], -1, 0
	s_and_b64 s[20:21], vcc, s[20:21]
	v_cmp_ne_u32_e32 vcc, 0, v10
	s_and_b64 s[44:45], vcc, s[20:21]
	s_and_saveexec_b64 s[20:21], s[44:45]
	s_cbranch_execz .LBB2_4236
; %bb.4235:                             ;   in Loop: Header=BB2_4075 Depth=1
	s_waitcnt vmcnt(0)
	buffer_wbinvl1_vol
.LBB2_4236:                             ;   in Loop: Header=BB2_4075 Depth=1
	s_or_b64 exec, exec, s[20:21]
	v_cmp_ne_u32_e32 vcc, 0, v10
	s_and_saveexec_b64 s[20:21], vcc
	s_cbranch_execz .LBB2_4073
; %bb.4237:                             ;   in Loop: Header=BB2_4075 Depth=1
	s_and_saveexec_b64 s[44:45], s[18:19]
	s_cbranch_execz .LBB2_4072
; %bb.4238:                             ;   in Loop: Header=BB2_4075 Depth=1
	buffer_load_dword v16, off, s[0:3], s33 offset:72 ; 4-byte Folded Reload
	buffer_load_dword v17, off, s[0:3], s33 offset:76 ; 4-byte Folded Reload
	s_waitcnt vmcnt(0)
	flat_store_dword v[16:17], v21
	s_branch .LBB2_4072
.LBB2_4239:
	s_or_b64 exec, exec, s[28:29]
.LBB2_4240:
	s_or_b64 exec, exec, s[24:25]
.LBB2_4241:
	s_or_b64 exec, exec, s[22:23]
	v_and_b32_e32 v0, 0x800, v57
	v_cmp_eq_u32_e32 vcc, 0, v0
	s_and_saveexec_b64 s[6:7], vcc
	s_cbranch_execz .LBB2_4274
; %bb.4242:
	v_and_b32_e32 v0, 48, v57
	v_cmp_ne_u32_e32 vcc, 0, v0
	s_and_saveexec_b64 s[4:5], vcc
	s_cbranch_execz .LBB2_4244
; %bb.4243:
	s_waitcnt vmcnt(0) lgkmcnt(0)
	flat_store_dwordx2 v[60:61], v[8:9] offset:104
.LBB2_4244:
	s_or_b64 exec, exec, s[4:5]
	s_movk_i32 s4, 0x88
	v_and_b32_e32 v0, 0x88, v57
	v_cmp_eq_u32_e32 vcc, s4, v0
	s_and_saveexec_b64 s[10:11], vcc
	s_cbranch_execz .LBB2_4254
; %bb.4245:
	s_waitcnt lgkmcnt(0)
	v_add_u32_e32 v0, -1, v8
	v_and_b32_e32 v0, 7, v0
	v_mad_u64_u32 v[4:5], s[4:5], v0, 24, v[6:7]
	v_and_b32_e32 v2, 64, v57
	v_cmp_eq_u32_e64 s[4:5], 0, v2
	s_waitcnt vmcnt(0)
	flat_load_dwordx2 v[0:1], v[4:5] offset:8 glc
	s_waitcnt vmcnt(0)
	s_mov_b32 s22, 0
	s_waitcnt lgkmcnt(0)
	v_cmp_ne_u64_e32 vcc, -1, v[0:1]
	s_and_b64 s[4:5], vcc, s[4:5]
	s_and_b64 exec, exec, s[4:5]
	s_cbranch_execz .LBB2_4254
; %bb.4246:
	s_mov_b64 s[4:5], 0
                                        ; implicit-def: $sgpr12_sgpr13
                                        ; implicit-def: $sgpr14_sgpr15
	s_branch .LBB2_4249
.LBB2_4247:                             ;   in Loop: Header=BB2_4249 Depth=1
	flat_load_dwordx2 v[1:2], v[4:5] offset:8 glc
	s_waitcnt vmcnt(0)
	s_andn2_b64 s[14:15], s[14:15], exec
	s_waitcnt lgkmcnt(0)
	v_cmp_eq_u64_e32 vcc, -1, v[1:2]
	s_orn2_b64 s[18:19], vcc, exec
.LBB2_4248:                             ;   in Loop: Header=BB2_4249 Depth=1
	s_or_b64 exec, exec, s[20:21]
	s_and_b64 s[16:17], exec, s[18:19]
	s_or_b64 s[4:5], s[16:17], s[4:5]
	s_andn2_b64 s[12:13], s[12:13], exec
	s_and_b64 s[16:17], s[14:15], exec
	s_or_b64 s[12:13], s[12:13], s[16:17]
	s_andn2_b64 exec, exec, s[4:5]
	s_cbranch_execz .LBB2_4252
.LBB2_4249:                             ; =>This Inner Loop Header: Depth=1
	s_cmpk_lt_i32 s22, 0x270f
	s_cselect_b64 s[16:17], -1, 0
	s_and_b64 vcc, exec, s[16:17]
	s_cbranch_vccnz .LBB2_4251
; %bb.4250:                             ;   in Loop: Header=BB2_4249 Depth=1
	s_trap 2
	ds_read_b64 v[0:1], v0
	s_andn2_b64 s[16:17], s[16:17], exec
	s_mov_b32 s22, 0
	s_waitcnt lgkmcnt(0)
	flat_load_dword v0, v[0:1] glc
	s_waitcnt vmcnt(0) lgkmcnt(0)
	buffer_wbinvl1_vol
	v_cmp_eq_u32_e32 vcc, 0, v0
	s_and_b64 s[18:19], vcc, exec
	s_or_b64 s[16:17], s[16:17], s[18:19]
	s_mov_b64 s[18:19], -1
	s_or_b64 s[14:15], s[14:15], exec
	s_and_saveexec_b64 s[20:21], s[16:17]
	s_cbranch_execz .LBB2_4248
	s_branch .LBB2_4247
.LBB2_4251:                             ;   in Loop: Header=BB2_4249 Depth=1
	s_add_i32 s22, s22, 1
                                        ; implicit-def: $vgpr0
	s_mov_b64 s[18:19], -1
	s_or_b64 s[14:15], s[14:15], exec
	s_and_saveexec_b64 s[20:21], s[16:17]
	s_cbranch_execz .LBB2_4248
	s_branch .LBB2_4247
.LBB2_4252:
	s_or_b64 exec, exec, s[4:5]
	s_and_saveexec_b64 s[4:5], s[12:13]
	s_xor_b64 s[4:5], exec, s[4:5]
	s_cbranch_execz .LBB2_4254
; %bb.4253:
	ds_write_b32 v0, v0
	s_trap 2
.LBB2_4254:
	s_or_b64 exec, exec, s[10:11]
	v_and_b32_e32 v0, 0x2000, v57
	v_cmp_ne_u32_e32 vcc, 0, v0
	s_and_saveexec_b64 s[4:5], vcc
	s_cbranch_execz .LBB2_4256
; %bb.4255:
	s_trap 2
	s_waitcnt vmcnt(0)
	ds_read_b64 v[0:1], v0
	buffer_load_dword v2, off, s[0:3], s33 offset:128 ; 4-byte Folded Reload
	buffer_load_dword v3, off, s[0:3], s33 offset:132 ; 4-byte Folded Reload
	s_waitcnt vmcnt(0) lgkmcnt(0)
	flat_store_dwordx2 v[2:3], v[0:1] offset:16
.LBB2_4256:
	s_or_b64 exec, exec, s[4:5]
	s_waitcnt vmcnt(0)
	v_cmp_ne_u32_e32 vcc, 64, v44
	s_and_b64 exec, exec, vcc
	s_cbranch_execz .LBB2_4274
; %bb.4257:
	v_cmp_ne_u32_sdwa s[4:5], v44, v46 src0_sel:DWORD src1_sel:WORD_0
	s_and_saveexec_b64 s[10:11], s[4:5]
	s_xor_b64 s[4:5], exec, s[10:11]
	s_cbranch_execz .LBB2_4272
; %bb.4258:
	v_and_b32_e32 v0, 63, v45
	v_cmp_eq_u32_e32 vcc, 0, v0
	s_and_saveexec_b64 s[10:11], vcc
	s_cbranch_execz .LBB2_4271
; %bb.4259:
	s_mov_b64 s[14:15], exec
	v_mbcnt_lo_u32_b32 v0, s14, 0
	v_mbcnt_hi_u32_b32 v0, s15, v0
	v_cmp_eq_u32_e32 vcc, 0, v0
	s_waitcnt lgkmcnt(0)
	buffer_wbinvl1_vol
	s_and_saveexec_b64 s[12:13], vcc
	s_cbranch_execz .LBB2_4261
; %bb.4260:
	s_bcnt1_i32_b64 s14, s[14:15]
	v_mov_b32_e32 v0, s14
	v_mov_b32_e32 v1, 0
	ds_add_u64 v0, v[0:1]
	s_trap 2
.LBB2_4261:
	s_or_b64 exec, exec, s[12:13]
	v_lshrrev_b32_e32 v0, 6, v44
	s_trap 2
	ds_read_b64 v[2:3], v0
	s_waitcnt lgkmcnt(0)
	v_add_co_u32_e32 v0, vcc, v26, v0
	v_addc_co_u32_e32 v1, vcc, 0, v27, vcc
	v_cmp_lt_u64_e32 vcc, v[2:3], v[0:1]
	s_and_saveexec_b64 s[12:13], vcc
	s_cbranch_execz .LBB2_4270
; %bb.4262:
	s_mov_b32 s26, 0
	s_mov_b64 s[14:15], 0
                                        ; implicit-def: $sgpr16_sgpr17
                                        ; implicit-def: $sgpr18_sgpr19
	s_branch .LBB2_4264
.LBB2_4263:                             ;   in Loop: Header=BB2_4264 Depth=1
	s_or_b64 exec, exec, s[22:23]
	s_and_b64 s[20:21], exec, s[24:25]
	s_or_b64 s[14:15], s[20:21], s[14:15]
	s_andn2_b64 s[16:17], s[16:17], exec
	s_and_b64 s[20:21], s[18:19], exec
	s_or_b64 s[16:17], s[16:17], s[20:21]
	s_andn2_b64 exec, exec, s[14:15]
	s_cbranch_execz .LBB2_4268
.LBB2_4264:                             ; =>This Inner Loop Header: Depth=1
	s_add_i32 s26, s26, 1
	s_cmpk_lg_i32 s26, 0x2710
	s_cselect_b64 s[20:21], -1, 0
	s_and_b64 vcc, exec, s[20:21]
	s_cbranch_vccz .LBB2_4266
; %bb.4265:                             ;   in Loop: Header=BB2_4264 Depth=1
	s_mov_b64 s[24:25], -1
	s_or_b64 s[18:19], s[18:19], exec
	s_and_saveexec_b64 s[22:23], s[20:21]
	s_cbranch_execz .LBB2_4263
	s_branch .LBB2_4267
.LBB2_4266:                             ;   in Loop: Header=BB2_4264 Depth=1
	s_trap 2
	ds_read_b64 v[2:3], v0
	s_andn2_b64 s[20:21], s[20:21], exec
	s_mov_b32 s26, 0
	s_waitcnt lgkmcnt(0)
	flat_load_dword v2, v[2:3] glc
	s_waitcnt vmcnt(0) lgkmcnt(0)
	buffer_wbinvl1_vol
	v_cmp_eq_u32_e32 vcc, 0, v2
	s_and_b64 s[22:23], vcc, exec
	s_or_b64 s[20:21], s[20:21], s[22:23]
	s_mov_b64 s[24:25], -1
	s_or_b64 s[18:19], s[18:19], exec
	s_and_saveexec_b64 s[22:23], s[20:21]
	s_cbranch_execz .LBB2_4263
.LBB2_4267:                             ;   in Loop: Header=BB2_4264 Depth=1
	s_sleep 1
	s_trap 2
	ds_read_b64 v[2:3], v0
	s_waitcnt lgkmcnt(0)
	s_andn2_b64 s[18:19], s[18:19], exec
	v_cmp_ge_u64_e32 vcc, v[2:3], v[0:1]
	s_orn2_b64 s[24:25], vcc, exec
	s_branch .LBB2_4263
.LBB2_4268:
	s_or_b64 exec, exec, s[14:15]
	s_and_saveexec_b64 s[14:15], s[16:17]
	s_xor_b64 s[14:15], exec, s[14:15]
	s_cbranch_execz .LBB2_4270
; %bb.4269:
	v_mov_b32_e32 v0, 1
	ds_write_b32 v0, v0
	s_trap 2
.LBB2_4270:
	s_or_b64 exec, exec, s[12:13]
	;;#ASMSTART
	s_wakeup
	;;#ASMEND
.LBB2_4271:
	s_or_b64 exec, exec, s[10:11]
.LBB2_4272:
	s_andn2_saveexec_b64 s[4:5], s[4:5]
	s_cbranch_execz .LBB2_4274
; %bb.4273:
	s_waitcnt lgkmcnt(0)
	buffer_wbinvl1_vol
	s_barrier
.LBB2_4274:
	s_or_b64 exec, exec, s[6:7]
.LBB2_4275:
	s_andn2_saveexec_b64 s[26:27], s[40:41]
	s_cbranch_execz .LBB2_4277
; %bb.4276:
	s_getpc_b64 s[4:5]
	s_add_u32 s4, s4, __PRETTY_FUNCTION__._ZN10PrimitivesI14__hip_fp8_e4m310FuncMinMaxIS0_E12FanSymmetricILi1EELi0E11ProtoSimpleILi1ELi1ELi0ELi1ELi0ELi0EELi0ELb0ELi0ELi0ELi0EEC2EiiPKiS9_PKvPvmhhhP15ncclDevWorkCollP14ncclDevWorkP2pii@rel32@lo+4
	s_addc_u32 s5, s5, __PRETTY_FUNCTION__._ZN10PrimitivesI14__hip_fp8_e4m310FuncMinMaxIS0_E12FanSymmetricILi1EELi0E11ProtoSimpleILi1ELi1ELi0ELi1ELi0ELi0EELi0ELb0ELi0ELi0ELi0EEC2EiiPKiS9_PKvPvmhhhP15ncclDevWorkCollP14ncclDevWorkP2pii@rel32@hi+12
	s_getpc_b64 s[6:7]
	s_add_u32 s6, s6, __assert_fail@rel32@lo+4
	s_addc_u32 s7, s7, __assert_fail@rel32@hi+12
	v_mov_b32_e32 v0, s4
	s_waitcnt vmcnt(0)
	v_mov_b32_e32 v1, s5
	s_swappc_b64 s[30:31], s[6:7]
	; divergent unreachable
.LBB2_4277:
	s_or_b64 exec, exec, s[26:27]
	buffer_load_dword v62, off, s[0:3], s33 ; 4-byte Folded Reload
	buffer_load_dword v61, off, s[0:3], s33 offset:4 ; 4-byte Folded Reload
	buffer_load_dword v60, off, s[0:3], s33 offset:8 ; 4-byte Folded Reload
	;; [unrolled: 1-line block ×14, first 2 shown]
	v_readlane_b32 s30, v63, 18
	v_readlane_b32 s31, v63, 19
	;; [unrolled: 1-line block ×20, first 2 shown]
	s_mov_b32 s32, s33
	v_readlane_b32 s4, v63, 20
	s_or_saveexec_b64 s[6:7], -1
	buffer_load_dword v63, off, s[0:3], s33 offset:176 ; 4-byte Folded Reload
	s_mov_b64 exec, s[6:7]
	s_mov_b32 s33, s4
	s_waitcnt vmcnt(0) lgkmcnt(0)
	s_setpc_b64 s[30:31]
.Lfunc_end2:
	.size	_ZN12_GLOBAL__N_17runRingI14__hip_fp8_e4m310FuncMinMaxIS1_E11ProtoSimpleILi1ELi1ELi0ELi1ELi0ELi0EELi0ELi1ELi0EEEviiP15ncclDevWorkColl, .Lfunc_end2-_ZN12_GLOBAL__N_17runRingI14__hip_fp8_e4m310FuncMinMaxIS1_E11ProtoSimpleILi1ELi1ELi0ELi1ELi0ELi0EELi0ELi1ELi0EEEviiP15ncclDevWorkColl
                                        ; -- End function
	.set .L_ZN12_GLOBAL__N_17runRingI14__hip_fp8_e4m310FuncMinMaxIS1_E11ProtoSimpleILi1ELi1ELi0ELi1ELi0ELi0EELi0ELi1ELi0EEEviiP15ncclDevWorkColl.num_vgpr, max(64, .L__assert_fail.num_vgpr)
	.set .L_ZN12_GLOBAL__N_17runRingI14__hip_fp8_e4m310FuncMinMaxIS1_E11ProtoSimpleILi1ELi1ELi0ELi1ELi0ELi0EELi0ELi1ELi0EEEviiP15ncclDevWorkColl.num_agpr, max(0, .L__assert_fail.num_agpr)
	.set .L_ZN12_GLOBAL__N_17runRingI14__hip_fp8_e4m310FuncMinMaxIS1_E11ProtoSimpleILi1ELi1ELi0ELi1ELi0ELi0EELi0ELi1ELi0EEEviiP15ncclDevWorkColl.numbered_sgpr, max(96, .L__assert_fail.numbered_sgpr)
	.set .L_ZN12_GLOBAL__N_17runRingI14__hip_fp8_e4m310FuncMinMaxIS1_E11ProtoSimpleILi1ELi1ELi0ELi1ELi0ELi0EELi0ELi1ELi0EEEviiP15ncclDevWorkColl.num_named_barrier, max(0, .L__assert_fail.num_named_barrier)
	.set .L_ZN12_GLOBAL__N_17runRingI14__hip_fp8_e4m310FuncMinMaxIS1_E11ProtoSimpleILi1ELi1ELi0ELi1ELi0ELi0EELi0ELi1ELi0EEEviiP15ncclDevWorkColl.private_seg_size, 192+max(.L__assert_fail.private_seg_size)
	.set .L_ZN12_GLOBAL__N_17runRingI14__hip_fp8_e4m310FuncMinMaxIS1_E11ProtoSimpleILi1ELi1ELi0ELi1ELi0ELi0EELi0ELi1ELi0EEEviiP15ncclDevWorkColl.uses_vcc, or(1, .L__assert_fail.uses_vcc)
	.set .L_ZN12_GLOBAL__N_17runRingI14__hip_fp8_e4m310FuncMinMaxIS1_E11ProtoSimpleILi1ELi1ELi0ELi1ELi0ELi0EELi0ELi1ELi0EEEviiP15ncclDevWorkColl.uses_flat_scratch, or(0, .L__assert_fail.uses_flat_scratch)
	.set .L_ZN12_GLOBAL__N_17runRingI14__hip_fp8_e4m310FuncMinMaxIS1_E11ProtoSimpleILi1ELi1ELi0ELi1ELi0ELi0EELi0ELi1ELi0EEEviiP15ncclDevWorkColl.has_dyn_sized_stack, or(0, .L__assert_fail.has_dyn_sized_stack)
	.set .L_ZN12_GLOBAL__N_17runRingI14__hip_fp8_e4m310FuncMinMaxIS1_E11ProtoSimpleILi1ELi1ELi0ELi1ELi0ELi0EELi0ELi1ELi0EEEviiP15ncclDevWorkColl.has_recursion, or(1, .L__assert_fail.has_recursion)
	.set .L_ZN12_GLOBAL__N_17runRingI14__hip_fp8_e4m310FuncMinMaxIS1_E11ProtoSimpleILi1ELi1ELi0ELi1ELi0ELi0EELi0ELi1ELi0EEEviiP15ncclDevWorkColl.has_indirect_call, or(0, .L__assert_fail.has_indirect_call)
	.section	.AMDGPU.csdata,"",@progbits
; Function info:
; codeLenInByte = 112472
; TotalNumSgprs: 100
; NumVgprs: 64
; ScratchSize: 256
; MemoryBound: 1
	.text
	.p2align	2                               ; -- Begin function _Z50ncclDevFunc_Reduce_RING_SIMPLE_MinMax_f8e4m3_0_0_1v
	.type	_Z50ncclDevFunc_Reduce_RING_SIMPLE_MinMax_f8e4m3_0_0_1v,@function
_Z50ncclDevFunc_Reduce_RING_SIMPLE_MinMax_f8e4m3_0_0_1v: ; @_Z50ncclDevFunc_Reduce_RING_SIMPLE_MinMax_f8e4m3_0_0_1v
; %bb.0:
	s_waitcnt vmcnt(0) expcnt(0) lgkmcnt(0)
	s_mov_b32 s4, s33
	s_mov_b32 s33, s32
	s_or_saveexec_b64 s[6:7], -1
	buffer_store_dword v43, off, s[0:3], s33 offset:16 ; 4-byte Folded Spill
	s_mov_b64 exec, s[6:7]
	v_writelane_b32 v43, s4, 26
	s_addk_i32 s32, 0x800
	buffer_store_dword v40, off, s[0:3], s33 offset:12 ; 4-byte Folded Spill
	buffer_store_dword v41, off, s[0:3], s33 offset:8 ; 4-byte Folded Spill
	;; [unrolled: 1-line block ×3, first 2 shown]
	buffer_store_dword v63, off, s[0:3], s33 ; 4-byte Folded Spill
	v_writelane_b32 v43, s34, 0
	v_writelane_b32 v43, s35, 1
	;; [unrolled: 1-line block ×26, first 2 shown]
	s_trap 2
	ds_read_b32 v0, v0
	v_mov_b32_e32 v40, v31
	v_and_b32_e32 v41, 0x3ff, v40
	s_mov_b32 s70, s12
	s_mov_b64 s[68:69], s[8:9]
	s_waitcnt lgkmcnt(0)
	v_cmp_lt_i32_e32 vcc, v41, v0
	s_and_saveexec_b64 s[4:5], vcc
	s_cbranch_execz .LBB3_5
; %bb.1:
	s_load_dword s6, s[68:69], 0x0
	v_mov_b32_e32 v1, 0
	s_mov_b32 s10, 0
	v_mov_b32_e32 v4, v41
                                        ; implicit-def: $vgpr3
	s_waitcnt lgkmcnt(0)
	s_cmp_lt_u32 s70, s6
	s_cselect_b32 s6, 12, 18
	s_add_u32 s6, s68, s6
	s_addc_u32 s7, s69, 0
	global_load_ushort v1, v1, s[6:7]
	s_trap 2
	ds_read_b32 v2, v0
	s_mov_b64 s[6:7], 0
	s_waitcnt vmcnt(0) lgkmcnt(0)
	v_mul_lo_u32 v2, v2, v1
	s_branch .LBB3_3
.LBB3_2:                                ;   in Loop: Header=BB3_3 Depth=1
	s_or_b64 exec, exec, s[8:9]
	v_add_u32_e32 v4, v4, v1
	v_cmp_ge_i32_e32 vcc, v4, v0
	s_or_b64 s[6:7], vcc, s[6:7]
	v_add_u32_e32 v3, v3, v2
	s_andn2_b64 exec, exec, s[6:7]
	s_cbranch_execz .LBB3_5
.LBB3_3:                                ; =>This Inner Loop Header: Depth=1
	ds_read_b32 v5, v3
	s_waitcnt lgkmcnt(0)
	v_and_b32_e32 v5, 0x1000000, v5
	v_cmp_ne_u32_e32 vcc, 0, v5
	s_and_saveexec_b64 s[8:9], vcc
	s_cbranch_execz .LBB3_2
; %bb.4:                                ;   in Loop: Header=BB3_3 Depth=1
	ds_read_b64 v[5:6], v3 offset:104
	s_waitcnt lgkmcnt(0)
	flat_load_ubyte v5, v[5:6]
	v_mov_b32_e32 v6, s10
	s_waitcnt vmcnt(0) lgkmcnt(0)
	v_and_b32_e32 v5, 0xffff, v5
	ds_write_b64 v3, v[5:6] offset:104
	s_branch .LBB3_2
.LBB3_5:
	s_or_b64 exec, exec, s[4:5]
	s_waitcnt vmcnt(0) lgkmcnt(0)
	s_barrier
	s_trap 2
	ds_read_b32 v0, v0
	s_waitcnt lgkmcnt(0)
	v_cmp_gt_i32_e32 vcc, 1, v0
	s_cbranch_vccnz .LBB3_13
; %bb.6:
	s_mov_b32 s71, 0
	v_mov_b32_e32 v42, 6
	s_branch .LBB3_8
.LBB3_7:                                ;   in Loop: Header=BB3_8 Depth=1
	s_or_b64 exec, exec, s[80:81]
	s_trap 2
	ds_read_b32 v0, v0
	s_add_i32 s71, s71, 1
	s_waitcnt lgkmcnt(0)
	v_cmp_lt_i32_e32 vcc, s71, v0
	s_cbranch_vccz .LBB3_13
.LBB3_8:                                ; =>This Inner Loop Header: Depth=1
	s_trap 2
	ds_read_b32 v0, v0
	s_cmp_eq_u32 s71, 0
	s_cbranch_scc1 .LBB3_11
; %bb.9:                                ;   in Loop: Header=BB3_8 Depth=1
	s_trap 2
	s_waitcnt lgkmcnt(0)
	ds_read_b32 v1, v0
	s_waitcnt lgkmcnt(0)
	v_xor_b32_e32 v1, v1, v0
	v_and_b32_e32 v1, 0xff0000, v1
	v_cmp_eq_u32_e32 vcc, 0, v1
	s_cbranch_vccnz .LBB3_11
; %bb.10:                               ;   in Loop: Header=BB3_8 Depth=1
	s_barrier
	ds_read_b32 v0, v0
.LBB3_11:                               ;   in Loop: Header=BB3_8 Depth=1
	s_waitcnt lgkmcnt(0)
	v_lshlrev_b32_sdwa v1, v42, v0 dst_sel:DWORD dst_unused:UNUSED_PAD src0_sel:DWORD src1_sel:BYTE_2
	v_cmp_lt_u32_e32 vcc, v41, v1
	s_and_saveexec_b64 s[80:81], vcc
	s_cbranch_execz .LBB3_7
; %bb.12:                               ;   in Loop: Header=BB3_8 Depth=1
	s_mov_b64 s[4:5], src_shared_base
	s_getpc_b64 s[6:7]
	s_add_u32 s6, s6, _ZN12_GLOBAL__N_17runRingI14__hip_fp8_e4m310FuncMinMaxIS1_E11ProtoSimpleILi1ELi1ELi0ELi1ELi0ELi0EELi0ELi1ELi0EEEviiP15ncclDevWorkColl@rel32@lo+4
	s_addc_u32 s7, s7, _ZN12_GLOBAL__N_17runRingI14__hip_fp8_e4m310FuncMinMaxIS1_E11ProtoSimpleILi1ELi1ELi0ELi1ELi0ELi0EELi0ELi1ELi0EEEviiP15ncclDevWorkColl@rel32@hi+12
	s_mov_b64 s[8:9], s[68:69]
	s_mov_b32 s12, s70
	v_mov_b32_e32 v31, v40
	v_mov_b32_e32 v0, v41
	;; [unrolled: 1-line block ×3, first 2 shown]
	s_swappc_b64 s[30:31], s[6:7]
	s_branch .LBB3_7
.LBB3_13:
	buffer_load_dword v63, off, s[0:3], s33 ; 4-byte Folded Reload
	buffer_load_dword v42, off, s[0:3], s33 offset:4 ; 4-byte Folded Reload
	buffer_load_dword v41, off, s[0:3], s33 offset:8 ; 4-byte Folded Reload
	;; [unrolled: 1-line block ×3, first 2 shown]
	v_readlane_b32 s30, v43, 24
	v_readlane_b32 s31, v43, 25
	v_readlane_b32 s81, v43, 23
	v_readlane_b32 s80, v43, 22
	v_readlane_b32 s71, v43, 21
	v_readlane_b32 s70, v43, 20
	v_readlane_b32 s69, v43, 19
	v_readlane_b32 s68, v43, 18
	v_readlane_b32 s67, v43, 17
	v_readlane_b32 s66, v43, 16
	v_readlane_b32 s65, v43, 15
	v_readlane_b32 s64, v43, 14
	v_readlane_b32 s55, v43, 13
	v_readlane_b32 s54, v43, 12
	v_readlane_b32 s53, v43, 11
	v_readlane_b32 s52, v43, 10
	v_readlane_b32 s51, v43, 9
	v_readlane_b32 s50, v43, 8
	v_readlane_b32 s49, v43, 7
	v_readlane_b32 s48, v43, 6
	v_readlane_b32 s39, v43, 5
	v_readlane_b32 s38, v43, 4
	v_readlane_b32 s37, v43, 3
	v_readlane_b32 s36, v43, 2
	v_readlane_b32 s35, v43, 1
	v_readlane_b32 s34, v43, 0
	s_mov_b32 s32, s33
	v_readlane_b32 s4, v43, 26
	s_or_saveexec_b64 s[6:7], -1
	buffer_load_dword v43, off, s[0:3], s33 offset:16 ; 4-byte Folded Reload
	s_mov_b64 exec, s[6:7]
	s_mov_b32 s33, s4
	s_waitcnt vmcnt(0)
	s_setpc_b64 s[30:31]
.Lfunc_end3:
	.size	_Z50ncclDevFunc_Reduce_RING_SIMPLE_MinMax_f8e4m3_0_0_1v, .Lfunc_end3-_Z50ncclDevFunc_Reduce_RING_SIMPLE_MinMax_f8e4m3_0_0_1v
                                        ; -- End function
	.set .L_Z50ncclDevFunc_Reduce_RING_SIMPLE_MinMax_f8e4m3_0_0_1v.num_vgpr, max(64, .L_ZN12_GLOBAL__N_17runRingI14__hip_fp8_e4m310FuncMinMaxIS1_E11ProtoSimpleILi1ELi1ELi0ELi1ELi0ELi0EELi0ELi1ELi0EEEviiP15ncclDevWorkColl.num_vgpr)
	.set .L_Z50ncclDevFunc_Reduce_RING_SIMPLE_MinMax_f8e4m3_0_0_1v.num_agpr, max(0, .L_ZN12_GLOBAL__N_17runRingI14__hip_fp8_e4m310FuncMinMaxIS1_E11ProtoSimpleILi1ELi1ELi0ELi1ELi0ELi0EELi0ELi1ELi0EEEviiP15ncclDevWorkColl.num_agpr)
	.set .L_Z50ncclDevFunc_Reduce_RING_SIMPLE_MinMax_f8e4m3_0_0_1v.numbered_sgpr, max(82, .L_ZN12_GLOBAL__N_17runRingI14__hip_fp8_e4m310FuncMinMaxIS1_E11ProtoSimpleILi1ELi1ELi0ELi1ELi0ELi0EELi0ELi1ELi0EEEviiP15ncclDevWorkColl.numbered_sgpr)
	.set .L_Z50ncclDevFunc_Reduce_RING_SIMPLE_MinMax_f8e4m3_0_0_1v.num_named_barrier, max(0, .L_ZN12_GLOBAL__N_17runRingI14__hip_fp8_e4m310FuncMinMaxIS1_E11ProtoSimpleILi1ELi1ELi0ELi1ELi0ELi0EELi0ELi1ELi0EEEviiP15ncclDevWorkColl.num_named_barrier)
	.set .L_Z50ncclDevFunc_Reduce_RING_SIMPLE_MinMax_f8e4m3_0_0_1v.private_seg_size, 32+max(.L_ZN12_GLOBAL__N_17runRingI14__hip_fp8_e4m310FuncMinMaxIS1_E11ProtoSimpleILi1ELi1ELi0ELi1ELi0ELi0EELi0ELi1ELi0EEEviiP15ncclDevWorkColl.private_seg_size)
	.set .L_Z50ncclDevFunc_Reduce_RING_SIMPLE_MinMax_f8e4m3_0_0_1v.uses_vcc, or(1, .L_ZN12_GLOBAL__N_17runRingI14__hip_fp8_e4m310FuncMinMaxIS1_E11ProtoSimpleILi1ELi1ELi0ELi1ELi0ELi0EELi0ELi1ELi0EEEviiP15ncclDevWorkColl.uses_vcc)
	.set .L_Z50ncclDevFunc_Reduce_RING_SIMPLE_MinMax_f8e4m3_0_0_1v.uses_flat_scratch, or(0, .L_ZN12_GLOBAL__N_17runRingI14__hip_fp8_e4m310FuncMinMaxIS1_E11ProtoSimpleILi1ELi1ELi0ELi1ELi0ELi0EELi0ELi1ELi0EEEviiP15ncclDevWorkColl.uses_flat_scratch)
	.set .L_Z50ncclDevFunc_Reduce_RING_SIMPLE_MinMax_f8e4m3_0_0_1v.has_dyn_sized_stack, or(0, .L_ZN12_GLOBAL__N_17runRingI14__hip_fp8_e4m310FuncMinMaxIS1_E11ProtoSimpleILi1ELi1ELi0ELi1ELi0ELi0EELi0ELi1ELi0EEEviiP15ncclDevWorkColl.has_dyn_sized_stack)
	.set .L_Z50ncclDevFunc_Reduce_RING_SIMPLE_MinMax_f8e4m3_0_0_1v.has_recursion, or(1, .L_ZN12_GLOBAL__N_17runRingI14__hip_fp8_e4m310FuncMinMaxIS1_E11ProtoSimpleILi1ELi1ELi0ELi1ELi0ELi0EELi0ELi1ELi0EEEviiP15ncclDevWorkColl.has_recursion)
	.set .L_Z50ncclDevFunc_Reduce_RING_SIMPLE_MinMax_f8e4m3_0_0_1v.has_indirect_call, or(0, .L_ZN12_GLOBAL__N_17runRingI14__hip_fp8_e4m310FuncMinMaxIS1_E11ProtoSimpleILi1ELi1ELi0ELi1ELi0ELi0EELi0ELi1ELi0EEEviiP15ncclDevWorkColl.has_indirect_call)
	.section	.AMDGPU.csdata,"",@progbits
; Function info:
; codeLenInByte = 1024
; TotalNumSgprs: 100
; NumVgprs: 64
; ScratchSize: 288
; MemoryBound: 0
	.text
	.p2align	2                               ; -- Begin function _ZN12_GLOBAL__N_17runRingI14__hip_fp8_e4m310FuncMinMaxIS1_E11ProtoSimpleILi1ELi1ELi0ELi2ELi0ELi0EELi0ELi2ELi0EEEviiP15ncclDevWorkColl
	.type	_ZN12_GLOBAL__N_17runRingI14__hip_fp8_e4m310FuncMinMaxIS1_E11ProtoSimpleILi1ELi1ELi0ELi2ELi0ELi0EELi0ELi2ELi0EEEviiP15ncclDevWorkColl,@function
_ZN12_GLOBAL__N_17runRingI14__hip_fp8_e4m310FuncMinMaxIS1_E11ProtoSimpleILi1ELi1ELi0ELi2ELi0ELi0EELi0ELi2ELi0EEEviiP15ncclDevWorkColl: ; @_ZN12_GLOBAL__N_17runRingI14__hip_fp8_e4m310FuncMinMaxIS1_E11ProtoSimpleILi1ELi1ELi0ELi2ELi0ELi0EELi0ELi2ELi0EEEviiP15ncclDevWorkColl
; %bb.0:
	s_waitcnt vmcnt(0) expcnt(0) lgkmcnt(0)
	s_mov_b32 s4, s33
	s_mov_b32 s33, s32
	s_or_saveexec_b64 s[6:7], -1
	buffer_store_dword v63, off, s[0:3], s33 offset:228 ; 4-byte Folded Spill
	s_mov_b64 exec, s[6:7]
	v_writelane_b32 v63, s4, 20
	s_addk_i32 s32, 0x3c00
	buffer_store_dword v40, off, s[0:3], s33 offset:56 ; 4-byte Folded Spill
	buffer_store_dword v41, off, s[0:3], s33 offset:52 ; 4-byte Folded Spill
	;; [unrolled: 1-line block ×14, first 2 shown]
	buffer_store_dword v62, off, s[0:3], s33 ; 4-byte Folded Spill
	v_writelane_b32 v63, s34, 0
	v_writelane_b32 v63, s35, 1
	;; [unrolled: 1-line block ×20, first 2 shown]
	s_trap 2
	ds_read_b64 v[14:15], v0
	ds_read_b32 v6, v0
	v_mov_b32_e32 v36, v1
	v_mov_b32_e32 v52, v0
	flat_load_ushort v16, v[2:3] offset:8
	flat_load_dwordx2 v[8:9], v[2:3]
	s_waitcnt lgkmcnt(0)
	v_ashrrev_i32_e32 v1, 31, v15
	v_mov_b32_e32 v0, v15
	v_lshlrev_b64 v[0:1], 2, v[0:1]
                                        ; implicit-def: $vgpr17_vgpr18
                                        ; implicit-def: $vgpr4_vgpr5
                                        ; implicit-def: $vgpr53_vgpr54
	v_add_co_u32_e32 v0, vcc, v14, v0
	v_addc_co_u32_e32 v1, vcc, v15, v1, vcc
	v_add_co_u32_e32 v0, vcc, -4, v0
	v_addc_co_u32_e32 v1, vcc, -1, v1, vcc
	flat_load_dword v0, v[0:1]
	s_waitcnt vmcnt(0)
	v_mov_b32_e32 v15, v9
	v_cmp_ne_u32_sdwa s[4:5], v6, v8 src0_sel:DWORD src1_sel:BYTE_0
	s_and_saveexec_b64 s[6:7], s[4:5]
	s_xor_b64 s[4:5], exec, s[6:7]
	s_cbranch_execz .LBB4_6
; %bb.1:
	v_not_b32_sdwa v1, v8 dst_sel:DWORD dst_unused:UNUSED_PAD src0_sel:BYTE_0
	v_cmp_ne_u32_sdwa s[6:7], v6, v8 src0_sel:DWORD src1_sel:BYTE_1
                                        ; implicit-def: $vgpr17_vgpr18
                                        ; implicit-def: $vgpr4_vgpr5
                                        ; implicit-def: $vgpr53_vgpr54
	s_and_saveexec_b64 s[10:11], s[6:7]
	s_xor_b64 s[6:7], exec, s[10:11]
	s_cbranch_execz .LBB4_3
; %bb.2:
	flat_load_dwordx4 v[7:10], v[2:3] offset:72
	flat_load_dwordx2 v[4:5], v[2:3] offset:96
	v_add_u32_e32 v1, v6, v1
	v_ashrrev_i32_e32 v6, 31, v1
	s_waitcnt vmcnt(0) lgkmcnt(0)
	v_mul_lo_u32 v6, v9, v6
	v_mad_u64_u32 v[53:54], s[10:11], v9, v1, v[7:8]
	v_mul_lo_u32 v1, v10, v1
	v_lshrrev_b64 v[17:18], 12, v[4:5]
	v_mov_b32_e32 v4, v9
	v_mov_b32_e32 v5, v10
	v_add3_u32 v54, v1, v54, v6
                                        ; implicit-def: $vgpr8
                                        ; implicit-def: $vgpr1
.LBB4_3:
	s_andn2_saveexec_b64 s[6:7], s[6:7]
	s_cbranch_execz .LBB4_5
; %bb.4:
	flat_load_dwordx4 v[9:12], v[2:3] offset:72
	flat_load_dwordx4 v[4:7], v[2:3] offset:88
	v_add_u32_sdwa v1, v8, v1 dst_sel:DWORD dst_unused:UNUSED_PAD src0_sel:BYTE_1 src1_sel:DWORD
	s_waitcnt vmcnt(0) lgkmcnt(0)
	v_ashrrev_i32_e32 v6, 31, v1
	v_mul_lo_u32 v6, v11, v6
	v_mad_u64_u32 v[53:54], s[10:11], v11, v1, v[9:10]
	v_mul_lo_u32 v1, v12, v1
	v_lshrrev_b32_e32 v17, 1, v7
	v_add3_u32 v54, v1, v54, v6
.LBB4_5:
	s_or_b64 exec, exec, s[6:7]
.LBB4_6:
	s_andn2_saveexec_b64 s[4:5], s[4:5]
	s_cbranch_execz .LBB4_8
; %bb.7:
	flat_load_dwordx2 v[6:7], v[2:3] offset:96
	flat_load_dwordx2 v[4:5], v[2:3] offset:72
	v_mov_b32_e32 v53, 0
	v_mov_b32_e32 v54, 0
	s_waitcnt vmcnt(0) lgkmcnt(0)
	v_lshlrev_b64 v[17:18], 9, v[6:7]
.LBB4_8:
	s_or_b64 exec, exec, s[4:5]
	s_trap 2
	s_waitcnt lgkmcnt(0)
	ds_read_b64 v[6:7], v0
	s_waitcnt lgkmcnt(0)
	v_cmp_ne_u32_e32 vcc, -1, v6
	v_cndmask_b32_e64 v24, 0, 1, vcc
	v_cmp_ne_u32_e32 vcc, -1, v7
	v_addc_co_u32_e64 v1, s[4:5], 0, v24, vcc
	v_lshlrev_b32_e32 v6, 1, v1
	v_cmp_le_u32_e64 s[4:5], v6, v36
	s_and_saveexec_b64 s[6:7], s[4:5]
	s_xor_b64 s[40:41], exec, s[6:7]
	s_cbranch_execnz .LBB4_9
; %bb.6454:
	s_getpc_b64 s[68:69]
.Lpost_getpc0:
	s_add_u32 s68, s68, (.LBB4_6451-.Lpost_getpc0)&4294967295
	s_addc_u32 s69, s69, (.LBB4_6451-.Lpost_getpc0)>>32
	s_setpc_b64 s[68:69]
.LBB4_9:
	flat_load_dwordx4 v[10:13], v[2:3] offset:16
	flat_load_dwordx2 v[18:19], v[2:3] offset:104
	s_trap 2
	s_load_dword s4, s[8:9], 0x0
	v_mov_b32_e32 v2, 0
	v_mov_b32_e32 v28, 4
	s_waitcnt lgkmcnt(0)
	s_cmp_lt_u32 s12, s4
	s_cselect_b32 s4, 12, 18
	s_add_u32 s4, s8, s4
	s_addc_u32 s5, s9, 0
	global_load_ushort v2, v2, s[4:5]
	v_cmp_ge_u32_e64 s[4:5], v52, v24
	s_waitcnt vmcnt(0)
	buffer_store_dword v2, off, s[0:3], s33 offset:160 ; 4-byte Folded Spill
	ds_read_b32 v2, v0
	s_waitcnt lgkmcnt(0)
	v_readfirstlane_b32 s50, v2
	s_and_saveexec_b64 s[6:7], s[4:5]
	s_cbranch_execz .LBB4_19
; %bb.10:
	v_cmp_ge_u32_e64 s[4:5], v52, v1
                                        ; implicit-def: $vgpr28
	s_and_saveexec_b64 s[10:11], s[4:5]
	s_xor_b64 s[4:5], exec, s[10:11]
	s_cbranch_execz .LBB4_16
; %bb.11:
	v_cndmask_b32_e64 v2, 0, 1, vcc
	v_sub_u32_e32 v2, v36, v2
	v_cmp_ge_u32_e32 vcc, v52, v2
	s_and_saveexec_b64 s[10:11], vcc
	s_xor_b64 s[10:11], exec, s[10:11]
; %bb.12:
                                        ; implicit-def: $vgpr1
; %bb.13:
	s_or_saveexec_b64 s[10:11], s[10:11]
	v_mov_b32_e32 v28, 16
	s_xor_b64 exec, exec, s[10:11]
; %bb.14:
	v_sub_u32_e32 v1, v36, v1
	v_cmp_lt_i32_e32 vcc, v52, v1
	v_cndmask_b32_e64 v28, 32, 0, vcc
; %bb.15:
	s_or_b64 exec, exec, s[10:11]
.LBB4_16:
	s_andn2_saveexec_b64 s[4:5], s[4:5]
; %bb.17:
	v_mov_b32_e32 v28, 8
; %bb.18:
	s_or_b64 exec, exec, s[4:5]
.LBB4_19:
	s_or_b64 exec, exec, s[6:7]
	v_and_b32_e32 v1, 36, v28
	v_cmp_ne_u32_e32 vcc, 0, v1
	v_mov_b32_e32 v20, -1
	s_and_saveexec_b64 s[4:5], vcc
	s_cbranch_execz .LBB4_21
; %bb.20:
	s_trap 2
	ds_read_b32 v20, v0
.LBB4_21:
	s_or_b64 exec, exec, s[4:5]
	v_and_b32_e32 v1, 24, v28
	v_cmp_ne_u32_e64 s[4:5], 0, v1
	s_and_saveexec_b64 s[6:7], s[4:5]
	s_cbranch_execz .LBB4_23
; %bb.22:
	s_trap 2
	s_waitcnt lgkmcnt(0)
	ds_read_b32 v20, v0
.LBB4_23:
	s_or_b64 exec, exec, s[6:7]
	v_lshrrev_b64 v[1:2], 31, v[15:16]
	v_mov_b32_e32 v2, 0
	v_mov_b32_e32 v3, 0
	buffer_store_dword v2, off, s[0:3], s33 offset:136 ; 4-byte Folded Spill
	s_nop 0
	buffer_store_dword v3, off, s[0:3], s33 offset:140 ; 4-byte Folded Spill
	v_mov_b32_e32 v6, 0
                                        ; implicit-def: $vgpr2_vgpr3
	v_and_b32_e32 v1, 3, v1
	v_mov_b32_e32 v7, 0
	s_waitcnt lgkmcnt(0)
	v_ashrrev_i32_e32 v21, 31, v20
                                        ; kill: killed $vgpr2_vgpr3
                                        ; implicit-def: $vgpr2
                                        ; kill: killed $vgpr2
                                        ; implicit-def: $vgpr38_vgpr39
                                        ; implicit-def: $vgpr2_vgpr3
                                        ; kill: killed $vgpr2_vgpr3
                                        ; implicit-def: $vgpr32_vgpr33
	s_and_saveexec_b64 s[4:5], vcc
	s_cbranch_execz .LBB4_33
; %bb.24:
	s_trap 2
	ds_read_b64 v[2:3], v0
	v_lshlrev_b64 v[6:7], 3, v[20:21]
	s_movk_i32 s6, 0xa8
	s_waitcnt lgkmcnt(0)
	v_add_co_u32_e32 v2, vcc, v2, v6
	v_addc_co_u32_e32 v3, vcc, v3, v7, vcc
	flat_load_dwordx2 v[2:3], v[2:3]
	v_and_b32_e32 v6, 0xffff, v1
	s_waitcnt vmcnt(0) lgkmcnt(0)
	v_mad_u64_u32 v[22:23], s[6:7], v6, s6, v[2:3]
	flat_load_dword v2, v[22:23] offset:640
	s_waitcnt vmcnt(0) lgkmcnt(0)
	v_cmp_eq_u32_e32 vcc, 1, v2
                                        ; implicit-def: $vgpr2_vgpr3
                                        ; kill: killed $vgpr2_vgpr3
	s_and_saveexec_b64 s[6:7], vcc
	s_cbranch_execz .LBB4_26
; %bb.25:
	flat_load_dwordx2 v[6:7], v[22:23] offset:648
	v_or_b32_e32 v28, 0x2000, v28
	s_waitcnt vmcnt(0) lgkmcnt(0)
	flat_load_dwordx2 v[2:3], v[6:7]
	s_trap 2
	s_waitcnt vmcnt(0) lgkmcnt(0)
	ds_write_b64 v0, v[2:3]
	flat_load_dwordx2 v[2:3], v[6:7] offset:8
	s_waitcnt vmcnt(0) lgkmcnt(0)
	ds_write_b64 v0, v[2:3]
	buffer_store_dword v6, off, s[0:3], s33 offset:188 ; 4-byte Folded Spill
	s_nop 0
	buffer_store_dword v7, off, s[0:3], s33 offset:192 ; 4-byte Folded Spill
	flat_load_dwordx2 v[2:3], v[6:7] offset:16
	s_waitcnt vmcnt(0) lgkmcnt(0)
	ds_write_b64 v0, v[2:3]
.LBB4_26:
	s_or_b64 exec, exec, s[6:7]
	flat_load_dwordx2 v[8:9], v[22:23] offset:608
	v_and_b32_e32 v2, 32, v28
	v_cmp_ne_u32_e32 vcc, 0, v2
                                        ; implicit-def: $vgpr32_vgpr33
	s_and_saveexec_b64 s[6:7], vcc
	s_cbranch_execz .LBB4_28
; %bb.27:
	flat_load_dwordx2 v[32:33], v[22:23] offset:560
	s_waitcnt vmcnt(0) lgkmcnt(0)
	flat_store_dwordx2 v[32:33], v[8:9]
.LBB4_28:
	s_or_b64 exec, exec, s[6:7]
	v_add_co_u32_e32 v2, vcc, 0x1f8, v22
	v_addc_co_u32_e32 v3, vcc, 0, v23, vcc
	buffer_store_dword v2, off, s[0:3], s33 offset:136 ; 4-byte Folded Spill
	s_nop 0
	buffer_store_dword v3, off, s[0:3], s33 offset:140 ; 4-byte Folded Spill
	v_and_b32_e32 v2, 4, v28
	v_mov_b32_e32 v6, 0
	v_mov_b32_e32 v7, 0
	v_cmp_ne_u32_e32 vcc, 0, v2
                                        ; implicit-def: $vgpr2
                                        ; kill: killed $vgpr2
                                        ; implicit-def: $vgpr38_vgpr39
                                        ; implicit-def: $vgpr2_vgpr3
                                        ; kill: killed $vgpr2_vgpr3
	s_and_saveexec_b64 s[6:7], vcc
	s_cbranch_execz .LBB4_32
; %bb.29:
	v_and_b32_e32 v2, 0x800, v28
	v_cmp_eq_u32_e32 vcc, 0, v2
	s_and_saveexec_b64 s[10:11], vcc
	s_cbranch_execz .LBB4_31
; %bb.30:
	s_trap 2
	buffer_load_dword v2, off, s[0:3], s33 offset:136 ; 4-byte Folded Reload
	buffer_load_dword v3, off, s[0:3], s33 offset:140 ; 4-byte Folded Reload
	s_waitcnt vmcnt(0)
	ds_write_b64 v0, v[2:3]
.LBB4_31:
	s_or_b64 exec, exec, s[10:11]
	flat_load_dwordx2 v[32:33], v[22:23] offset:552
	s_waitcnt vmcnt(0) lgkmcnt(0)
	flat_load_dwordx2 v[38:39], v[32:33] glc
	flat_load_dwordx2 v[6:7], v[22:23] offset:600
	flat_load_dword v2, v[22:23] offset:576
	s_waitcnt vmcnt(0) lgkmcnt(0)
	v_cmp_eq_u64_e32 vcc, 0, v[6:7]
	buffer_store_dword v2, off, s[0:3], s33 offset:132 ; 4-byte Folded Spill
	flat_load_dwordx2 v[2:3], v[22:23] offset:520
	s_waitcnt vmcnt(0) lgkmcnt(0)
	buffer_store_dword v2, off, s[0:3], s33 offset:92 ; 4-byte Folded Spill
	s_nop 0
	buffer_store_dword v3, off, s[0:3], s33 offset:96 ; 4-byte Folded Spill
	v_or_b32_e32 v2, 0x100, v28
	v_cndmask_b32_e32 v28, v2, v28, vcc
.LBB4_32:
	s_or_b64 exec, exec, s[6:7]
.LBB4_33:
	s_or_b64 exec, exec, s[4:5]
	v_and_b32_e32 v2, 24, v28
	v_cmp_ne_u32_e32 vcc, 0, v2
                                        ; implicit-def: $vgpr40_vgpr41
	s_and_saveexec_b64 s[4:5], vcc
	s_cbranch_execz .LBB4_41
; %bb.34:
	s_trap 2
	ds_read_b64 v[2:3], v0
	v_lshlrev_b64 v[6:7], 3, v[20:21]
	v_and_b32_e32 v1, 0xffff, v1
	s_movk_i32 s6, 0xa8
                                        ; implicit-def: $vgpr40_vgpr41
	s_waitcnt lgkmcnt(0)
	v_add_co_u32_e32 v2, vcc, v2, v6
	v_addc_co_u32_e32 v3, vcc, v3, v7, vcc
	flat_load_dwordx2 v[2:3], v[2:3]
	s_waitcnt vmcnt(0) lgkmcnt(0)
	v_mad_u64_u32 v[1:2], s[6:7], v1, s6, v[2:3]
	buffer_store_dword v1, off, s[0:3], s33 offset:136 ; 4-byte Folded Spill
	s_nop 0
	buffer_store_dword v2, off, s[0:3], s33 offset:140 ; 4-byte Folded Spill
	flat_load_dwordx4 v[6:9], v[1:2] offset:96
	v_or_b32_e32 v1, 0x100, v28
	s_waitcnt vmcnt(0) lgkmcnt(0)
	v_cmp_eq_u64_e32 vcc, 0, v[6:7]
	v_cndmask_b32_e32 v28, v1, v28, vcc
	v_and_b32_e32 v1, 16, v28
	v_cmp_ne_u32_e32 vcc, 0, v1
	s_and_saveexec_b64 s[6:7], vcc
	s_cbranch_execz .LBB4_36
; %bb.35:
	buffer_load_dword v1, off, s[0:3], s33 offset:136 ; 4-byte Folded Reload
	buffer_load_dword v2, off, s[0:3], s33 offset:140 ; 4-byte Folded Reload
	s_waitcnt vmcnt(0)
	flat_load_dwordx2 v[32:33], v[1:2] offset:48
	flat_load_dwordx2 v[40:41], v[1:2] offset:120
	s_nop 0
	flat_load_dwordx2 v[1:2], v[1:2] offset:16
	s_waitcnt vmcnt(0) lgkmcnt(0)
	buffer_store_dword v1, off, s[0:3], s33 offset:92 ; 4-byte Folded Spill
	s_nop 0
	buffer_store_dword v2, off, s[0:3], s33 offset:96 ; 4-byte Folded Spill
.LBB4_36:
	s_or_b64 exec, exec, s[6:7]
	v_and_b32_e32 v1, 8, v28
	v_cmp_ne_u32_e32 vcc, 0, v1
	s_and_saveexec_b64 s[6:7], vcc
	s_cbranch_execz .LBB4_40
; %bb.37:
	v_and_b32_e32 v1, 0x800, v28
	v_cmp_eq_u32_e32 vcc, 0, v1
	s_and_saveexec_b64 s[10:11], vcc
	s_cbranch_execz .LBB4_39
; %bb.38:
	s_trap 2
	buffer_load_dword v1, off, s[0:3], s33 offset:136 ; 4-byte Folded Reload
	buffer_load_dword v2, off, s[0:3], s33 offset:140 ; 4-byte Folded Reload
	s_waitcnt vmcnt(0)
	ds_write_b64 v0, v[1:2]
.LBB4_39:
	s_or_b64 exec, exec, s[10:11]
	buffer_load_dword v1, off, s[0:3], s33 offset:136 ; 4-byte Folded Reload
	buffer_load_dword v2, off, s[0:3], s33 offset:140 ; 4-byte Folded Reload
	s_waitcnt vmcnt(0)
	flat_load_dwordx2 v[32:33], v[1:2] offset:56
	s_waitcnt vmcnt(0) lgkmcnt(0)
	flat_load_dwordx2 v[38:39], v[32:33] glc
	flat_load_dword v3, v[1:2] offset:72
	s_nop 0
	flat_load_dwordx2 v[1:2], v[1:2] offset:16
	s_waitcnt vmcnt(0) lgkmcnt(0)
	buffer_store_dword v3, off, s[0:3], s33 offset:132 ; 4-byte Folded Spill
	buffer_store_dword v1, off, s[0:3], s33 offset:92 ; 4-byte Folded Spill
	s_nop 0
	buffer_store_dword v2, off, s[0:3], s33 offset:96 ; 4-byte Folded Spill
.LBB4_40:
	s_or_b64 exec, exec, s[6:7]
.LBB4_41:
	s_or_b64 exec, exec, s[4:5]
	v_cmp_eq_u32_e64 s[4:5], 0, v52
	s_and_saveexec_b64 s[6:7], s[4:5]
	s_cbranch_execz .LBB4_43
; %bb.42:
	v_mov_b32_e32 v1, v12
	v_mov_b32_e32 v2, v13
	ds_write2_b64 v0, v[1:2], v[10:11] offset1:1
	v_mov_b32_e32 v1, 0
	v_mov_b32_e32 v2, v1
	s_trap 2
	ds_write_b64 v0, v[1:2]
	ds_write_b64 v0, v[18:19]
.LBB4_43:
	s_or_b64 exec, exec, s[6:7]
	v_and_b32_e32 v1, 0x3ffffe00, v17
	v_mov_b32_e32 v2, 0
	buffer_store_dword v1, off, s[0:3], s33 offset:68 ; 4-byte Folded Spill
	s_nop 0
	buffer_store_dword v2, off, s[0:3], s33 offset:72 ; 4-byte Folded Spill
	v_bfe_u32 v1, v15, 1, 30
	v_cmp_ne_u32_e32 vcc, v0, v1
                                        ; implicit-def: $vgpr2_vgpr3
                                        ; kill: killed $vgpr2_vgpr3
	s_and_saveexec_b64 s[6:7], vcc
	s_xor_b64 s[42:43], exec, s[6:7]
	s_cbranch_execnz .LBB4_44
; %bb.6456:
	s_getpc_b64 s[68:69]
.Lpost_getpc1:
	s_add_u32 s68, s68, (.LBB4_6245-.Lpost_getpc1)&4294967295
	s_addc_u32 s69, s69, (.LBB4_6245-.Lpost_getpc1)>>32
	s_setpc_b64 s[68:69]
.LBB4_44:
	v_cmp_ne_u32_e32 vcc, v14, v1
                                        ; implicit-def: $vgpr0_vgpr1
                                        ; kill: killed $vgpr0_vgpr1
	s_and_saveexec_b64 s[6:7], vcc
	s_xor_b64 s[44:45], exec, s[6:7]
	s_cbranch_execz .LBB4_3148
; %bb.45:
	v_mov_b32_e32 v0, 0
	v_cmp_ne_u64_e32 vcc, 0, v[4:5]
	v_mov_b32_e32 v1, 0
	buffer_store_dword v0, off, s[0:3], s33 offset:60 ; 4-byte Folded Spill
	s_nop 0
	buffer_store_dword v1, off, s[0:3], s33 offset:64 ; 4-byte Folded Spill
	s_and_saveexec_b64 s[46:47], vcc
	s_cbranch_execz .LBB4_3147
; %bb.46:
	buffer_store_dword v53, off, s[0:3], s33 offset:148 ; 4-byte Folded Spill
	s_nop 0
	buffer_store_dword v54, off, s[0:3], s33 offset:152 ; 4-byte Folded Spill
	s_trap 2
	buffer_load_dword v0, off, s[0:3], s33 offset:132 ; 4-byte Folded Reload
	v_and_b32_e32 v2, 63, v52
	v_lshrrev_b32_e32 v1, 6, v36
	buffer_store_dword v31, off, s[0:3], s33 offset:184 ; 4-byte Folded Spill
	buffer_store_dword v52, off, s[0:3], s33 offset:156 ; 4-byte Folded Spill
	buffer_store_dword v2, off, s[0:3], s33 offset:220 ; 4-byte Folded Spill
	v_cmp_le_u32_e64 s[14:15], v2, v24
	v_cmp_lt_u32_e64 s[16:17], v2, v24
	s_ashr_i32 s6, s50, 31
	s_lshr_b32 s6, s6, 24
	s_add_i32 s6, s50, s6
	v_cmp_eq_u32_e32 vcc, 64, v36
	s_mov_b32 s58, 0
	v_cmp_eq_u64_e64 s[18:19], 0, v[40:41]
	v_mov_b32_e32 v54, 0
	s_mov_b32 s78, -1
	v_mov_b32_e32 v11, v5
	s_ashr_i32 s51, s6, 8
	v_cmp_ge_u32_e64 s[6:7], v52, v36
	v_cmp_ne_u32_e64 s[10:11], 64, v36
	s_mov_b32 s59, 0x1000000
	v_mov_b32_e32 v53, 0
	v_and_b32_e32 v57, 0x3fc0, v36
	s_mov_b64 s[60:61], 0
	v_mov_b32_e32 v55, 0
	s_movk_i32 s52, 0x108
	v_mov_b32_e32 v58, 1
	s_xor_b64 s[62:63], vcc, -1
	s_movk_i32 s53, 0x80
	s_movk_i32 s54, 0x7f
	s_brev_b32 s55, 1
	s_mov_b64 s[72:73], 0x7f800000
	s_mov_b64 s[74:75], 0x43e00001
	s_movk_i32 s64, 0x7a
	s_mov_b64 s[76:77], 0xffffff
	s_mov_b32 s79, 0xffffff
	s_movk_i32 s65, 0xffc0
	s_mov_b32 s66, 0x3ffffc00
	v_mov_b32_e32 v23, 0xc8
	v_mov_b32_e32 v24, 0x90
	v_bfrev_b32_e32 v43, 60
	v_mov_b32_e32 v10, v4
	v_mov_b32_e32 v49, 0xffffff82
	s_waitcnt vmcnt(0)
	v_ashrrev_i32_e32 v56, 31, v0
	buffer_load_dword v0, off, s[0:3], s33 offset:160 ; 4-byte Folded Reload
	s_waitcnt vmcnt(0)
	v_cmp_ne_u32_sdwa s[56:57], v36, v0 src0_sel:DWORD src1_sel:WORD_0
	v_and_b32_e32 v0, 63, v31
	v_cmp_eq_u32_e64 s[12:13], 0, v0
	v_lshrrev_b32_e32 v0, 6, v52
	buffer_store_dword v0, off, s[0:3], s33 offset:208 ; 4-byte Folded Spill
	v_lshlrev_b32_e32 v0, 11, v0
	v_lshl_or_b32 v0, v2, 4, v0
	buffer_store_dword v0, off, s[0:3], s33 offset:224 ; 4-byte Folded Spill
	v_lshlrev_b32_e32 v0, 11, v1
	buffer_store_dword v0, off, s[0:3], s33 offset:128 ; 4-byte Folded Spill
	buffer_store_dword v1, off, s[0:3], s33 offset:76 ; 4-byte Folded Spill
	v_lshlrev_b32_e32 v0, 10, v1
	buffer_store_dword v0, off, s[0:3], s33 offset:100 ; 4-byte Folded Spill
	buffer_store_dword v36, off, s[0:3], s33 offset:180 ; 4-byte Folded Spill
	v_mov_b32_e32 v0, 0
	v_mov_b32_e32 v1, 0
	buffer_store_dword v0, off, s[0:3], s33 offset:60 ; 4-byte Folded Spill
	s_nop 0
	buffer_store_dword v1, off, s[0:3], s33 offset:64 ; 4-byte Folded Spill
	buffer_load_dword v2, off, s[0:3], s33 offset:68 ; 4-byte Folded Reload
	buffer_load_dword v3, off, s[0:3], s33 offset:72 ; 4-byte Folded Reload
	s_nop 0
	buffer_store_dword v40, off, s[0:3], s33 offset:172 ; 4-byte Folded Spill
	s_nop 0
	buffer_store_dword v41, off, s[0:3], s33 offset:176 ; 4-byte Folded Spill
	buffer_store_dword v56, off, s[0:3], s33 offset:196 ; 4-byte Folded Spill
	;; [unrolled: 1-line block ×4, first 2 shown]
	s_nop 0
	buffer_store_dword v11, off, s[0:3], s33 offset:108 ; 4-byte Folded Spill
	buffer_store_dword v12, off, s[0:3], s33 offset:112 ; 4-byte Folded Spill
	;; [unrolled: 1-line block ×3, first 2 shown]
	s_branch .LBB4_49
.LBB4_47:                               ;   in Loop: Header=BB4_49 Depth=1
	s_or_b64 exec, exec, s[20:21]
.LBB4_48:                               ;   in Loop: Header=BB4_49 Depth=1
	s_or_b64 exec, exec, s[22:23]
	buffer_load_dword v2, off, s[0:3], s33 offset:68 ; 4-byte Folded Reload
	buffer_load_dword v3, off, s[0:3], s33 offset:72 ; 4-byte Folded Reload
	buffer_load_dword v10, off, s[0:3], s33 offset:104 ; 4-byte Folded Reload
	buffer_load_dword v11, off, s[0:3], s33 offset:108 ; 4-byte Folded Reload
	buffer_load_dword v12, off, s[0:3], s33 offset:112 ; 4-byte Folded Reload
	buffer_load_dword v13, off, s[0:3], s33 offset:116 ; 4-byte Folded Reload
	s_waitcnt vmcnt(0)
	v_add_co_u32_e32 v54, vcc, v54, v2
	v_addc_co_u32_e32 v55, vcc, 0, v55, vcc
	v_cmp_ge_u64_e32 vcc, v[54:55], v[10:11]
	s_or_b64 s[60:61], vcc, s[60:61]
	s_andn2_b64 exec, exec, s[60:61]
	s_cbranch_execz .LBB4_3146
.LBB4_49:                               ; =>This Loop Header: Depth=1
                                        ;     Child Loop BB4_58 Depth 2
                                        ;     Child Loop BB4_84 Depth 2
	;; [unrolled: 1-line block ×10, first 2 shown]
	v_sub_co_u32_e32 v0, vcc, v10, v54
	v_subb_co_u32_e32 v1, vcc, v11, v55, vcc
	s_waitcnt vmcnt(0)
	v_cmp_lt_u64_e32 vcc, v[2:3], v[0:1]
	v_cndmask_b32_e32 v2, v0, v2, vcc
	v_cndmask_b32_e64 v3, v1, 0, vcc
	v_mov_b32_e32 v1, v2
	v_add_u32_e32 v0, 15, v2
	buffer_store_dword v1, off, s[0:3], s33 offset:120 ; 4-byte Folded Spill
	s_nop 0
	buffer_store_dword v2, off, s[0:3], s33 offset:124 ; 4-byte Folded Spill
	v_and_b32_e32 v0, 0x7ffffff0, v0
	v_max_i32_e32 v0, s51, v0
	buffer_store_dword v0, off, s[0:3], s33 offset:80 ; 4-byte Folded Spill
	s_nop 0
	buffer_store_dword v1, off, s[0:3], s33 offset:84 ; 4-byte Folded Spill
	v_cmp_eq_u64_e32 vcc, 0, v[2:3]
	v_mov_b32_e32 v0, v53
	s_or_b64 s[88:89], s[6:7], vcc
	s_xor_b64 s[20:21], s[88:89], -1
	s_and_saveexec_b64 s[90:91], s[20:21]
	s_cbranch_execz .LBB4_3096
; %bb.50:                               ;   in Loop: Header=BB4_49 Depth=1
	s_and_saveexec_b64 s[20:21], s[4:5]
	s_cbranch_execz .LBB4_52
; %bb.51:                               ;   in Loop: Header=BB4_49 Depth=1
	s_trap 2
	ds_read_b64 v[0:1], v0
	buffer_load_dword v2, off, s[0:3], s33 offset:148 ; 4-byte Folded Reload
	buffer_load_dword v3, off, s[0:3], s33 offset:152 ; 4-byte Folded Reload
	v_mov_b32_e32 v52, v53
	s_waitcnt vmcnt(0) lgkmcnt(0)
	v_add_co_u32_e32 v0, vcc, v0, v2
	v_addc_co_u32_e32 v1, vcc, v1, v3, vcc
	v_add_co_u32_e32 v0, vcc, v0, v54
	v_addc_co_u32_e32 v1, vcc, v1, v55, vcc
	ds_write_b64 v0, v[0:1]
	ds_write_b64 v0, v[52:53]
.LBB4_52:                               ;   in Loop: Header=BB4_49 Depth=1
	s_or_b64 exec, exec, s[20:21]
	buffer_load_dword v0, off, s[0:3], s33 offset:120 ; 4-byte Folded Reload
	buffer_load_dword v1, off, s[0:3], s33 offset:124 ; 4-byte Folded Reload
	;; [unrolled: 1-line block ×4, first 2 shown]
	s_waitcnt vmcnt(0)
	v_min_u32_e32 v1, v1, v0
	v_and_b32_e32 v0, 12, v28
	v_cmp_ne_u32_e32 vcc, 0, v0
	buffer_store_dword v1, off, s[0:3], s33 offset:80 ; 4-byte Folded Spill
	s_nop 0
	buffer_store_dword v2, off, s[0:3], s33 offset:84 ; 4-byte Folded Spill
	s_and_saveexec_b64 s[22:23], vcc
	s_cbranch_execz .LBB4_76
; %bb.53:                               ;   in Loop: Header=BB4_49 Depth=1
	v_and_b32_e32 v0, 8, v28
	v_add_co_u32_e32 v1, vcc, v38, v0
	v_addc_co_u32_e32 v2, vcc, 0, v39, vcc
	s_waitcnt lgkmcnt(0)
	v_add_co_u32_e32 v10, vcc, 1, v8
	v_addc_co_u32_e32 v11, vcc, 0, v9, vcc
	v_cmp_lt_u64_e32 vcc, v[1:2], v[10:11]
	s_and_saveexec_b64 s[24:25], vcc
	s_cbranch_execz .LBB4_65
; %bb.54:                               ;   in Loop: Header=BB4_49 Depth=1
	v_and_b32_e32 v1, 64, v28
	s_mov_b32 s67, 0
	v_cmp_eq_u32_e32 vcc, 0, v1
	s_mov_b64 s[26:27], 0
                                        ; implicit-def: $sgpr28_sgpr29
                                        ; implicit-def: $sgpr92_sgpr93
                                        ; implicit-def: $sgpr94_sgpr95
	s_branch .LBB4_58
.LBB4_55:                               ;   in Loop: Header=BB4_58 Depth=2
	s_waitcnt vmcnt(0) lgkmcnt(0)
	v_add_co_u32_e64 v2, s[20:21], v38, v0
	v_addc_co_u32_e64 v3, s[20:21], 0, v39, s[20:21]
	v_cmp_ge_u64_e64 s[20:21], v[2:3], v[10:11]
	s_or_b64 s[36:37], s[36:37], exec
	s_orn2_b64 s[34:35], s[20:21], exec
.LBB4_56:                               ;   in Loop: Header=BB4_58 Depth=2
	s_or_b64 exec, exec, s[48:49]
	s_andn2_b64 s[20:21], s[94:95], exec
	s_and_b64 s[94:95], s[36:37], exec
	s_or_b64 s[94:95], s[20:21], s[94:95]
	s_andn2_b64 s[20:21], s[92:93], exec
	s_and_b64 s[92:93], s[34:35], exec
	s_or_b64 s[92:93], s[20:21], s[92:93]
.LBB4_57:                               ;   in Loop: Header=BB4_58 Depth=2
	s_or_b64 exec, exec, s[30:31]
	s_and_b64 s[20:21], exec, s[92:93]
	s_or_b64 s[26:27], s[20:21], s[26:27]
	s_andn2_b64 s[20:21], s[28:29], exec
	s_and_b64 s[28:29], s[94:95], exec
	s_or_b64 s[28:29], s[20:21], s[28:29]
	s_andn2_b64 exec, exec, s[26:27]
	s_cbranch_execz .LBB4_62
.LBB4_58:                               ;   Parent Loop BB4_49 Depth=1
                                        ; =>  This Inner Loop Header: Depth=2
	s_sleep 1
	s_waitcnt vmcnt(0) lgkmcnt(0)
	flat_load_dwordx2 v[38:39], v[32:33] glc
	s_or_b64 s[94:95], s[94:95], exec
	s_or_b64 s[92:93], s[92:93], exec
                                        ; implicit-def: $vgpr1
	s_and_saveexec_b64 s[30:31], vcc
	s_cbranch_execz .LBB4_57
; %bb.59:                               ;   in Loop: Header=BB4_58 Depth=2
	s_cmpk_lt_i32 s67, 0x270f
	s_cselect_b64 s[38:39], -1, 0
	s_cmpk_gt_i32 s67, 0x270e
	s_mov_b64 s[34:35], -1
	s_cbranch_scc0 .LBB4_61
; %bb.60:                               ;   in Loop: Header=BB4_58 Depth=2
	s_trap 2
	ds_read_b64 v[1:2], v0
	s_andn2_b64 s[38:39], s[38:39], exec
	s_mov_b32 s67, 0
	s_mov_b64 s[36:37], 0
	s_waitcnt vmcnt(0) lgkmcnt(0)
	flat_load_dword v1, v[1:2] glc
	s_waitcnt vmcnt(0) lgkmcnt(0)
	buffer_wbinvl1_vol
	v_cmp_eq_u32_e64 s[20:21], 0, v1
	s_and_b64 s[20:21], s[20:21], exec
	s_or_b64 s[38:39], s[38:39], s[20:21]
	s_and_saveexec_b64 s[48:49], s[38:39]
	s_cbranch_execz .LBB4_56
	s_branch .LBB4_55
.LBB4_61:                               ;   in Loop: Header=BB4_58 Depth=2
	s_add_i32 s67, s67, 1
	s_mov_b64 s[36:37], -1
                                        ; implicit-def: $vgpr1
	s_and_saveexec_b64 s[48:49], s[38:39]
	s_cbranch_execz .LBB4_56
	s_branch .LBB4_55
.LBB4_62:                               ;   in Loop: Header=BB4_49 Depth=1
	s_or_b64 exec, exec, s[26:27]
	s_xor_b64 s[20:21], s[28:29], -1
	s_and_saveexec_b64 s[26:27], s[20:21]
	s_xor_b64 s[20:21], exec, s[26:27]
	s_cbranch_execz .LBB4_64
; %bb.63:                               ;   in Loop: Header=BB4_49 Depth=1
	v_or_b32_e32 v28, 64, v28
	s_waitcnt lgkmcnt(0)
	ds_write_b32 v0, v1
	s_trap 2
.LBB4_64:                               ;   in Loop: Header=BB4_49 Depth=1
	s_or_b64 exec, exec, s[20:21]
.LBB4_65:                               ;   in Loop: Header=BB4_49 Depth=1
	s_or_b64 exec, exec, s[24:25]
	v_and_b32_e32 v1, 0x108, v28
	v_cmp_ne_u32_e32 vcc, s52, v1
	v_and_b32_e32 v1, 7, v8
	;;#ASMSTART
	s_wakeup
	;;#ASMEND
	s_and_saveexec_b64 s[20:21], vcc
	s_xor_b64 s[20:21], exec, s[20:21]
	s_andn2_saveexec_b64 s[20:21], s[20:21]
	s_cbranch_execz .LBB4_67
; %bb.66:                               ;   in Loop: Header=BB4_49 Depth=1
	buffer_load_dword v8, off, s[0:3], s33 offset:80 ; 4-byte Folded Reload
	buffer_load_dword v9, off, s[0:3], s33 offset:84 ; 4-byte Folded Reload
	v_mad_u64_u32 v[2:3], s[24:25], v1, 24, v[6:7]
	s_waitcnt vmcnt(0)
	v_mov_b32_e32 v9, v53
	v_mov_b32_e32 v12, v8
	buffer_store_dword v12, off, s[0:3], s33 offset:80 ; 4-byte Folded Spill
	s_nop 0
	buffer_store_dword v13, off, s[0:3], s33 offset:84 ; 4-byte Folded Spill
	flat_store_dwordx2 v[2:3], v[8:9] offset:8
.LBB4_67:                               ;   in Loop: Header=BB4_49 Depth=1
	s_or_b64 exec, exec, s[20:21]
	v_and_b32_e32 v2, 0x100, v28
	v_cmp_ne_u32_e32 vcc, 0, v2
	s_mov_b64 s[20:21], -1
                                        ; implicit-def: $vgpr8_vgpr9
	s_and_saveexec_b64 s[24:25], vcc
	s_cbranch_execz .LBB4_71
; %bb.68:                               ;   in Loop: Header=BB4_49 Depth=1
	v_mad_u64_u32 v[2:3], s[20:21], v1, 24, v[6:7]
	v_mad_u64_u32 v[8:9], s[20:21], v53, 24, v[3:4]
	v_mov_b32_e32 v3, v8
	flat_load_dword v8, v[2:3]
	s_waitcnt vmcnt(0) lgkmcnt(0)
	v_cmp_ne_u32_e32 vcc, 1, v8
	v_cmp_eq_u32_e64 s[20:21], 1, v8
                                        ; implicit-def: $vgpr8_vgpr9
	s_and_saveexec_b64 s[26:27], s[20:21]
	s_cbranch_execz .LBB4_70
; %bb.69:                               ;   in Loop: Header=BB4_49 Depth=1
	flat_load_dword v8, v[2:3] offset:4 glc
	s_waitcnt vmcnt(0) lgkmcnt(0)
	v_ashrrev_i32_e32 v9, 31, v8
.LBB4_70:                               ;   in Loop: Header=BB4_49 Depth=1
	s_or_b64 exec, exec, s[26:27]
	s_orn2_b64 s[20:21], vcc, exec
.LBB4_71:                               ;   in Loop: Header=BB4_49 Depth=1
	s_or_b64 exec, exec, s[24:25]
	s_and_saveexec_b64 s[24:25], s[20:21]
	s_cbranch_execz .LBB4_73
; %bb.72:                               ;   in Loop: Header=BB4_49 Depth=1
	buffer_load_dword v8, off, s[0:3], s33 offset:132 ; 4-byte Folded Reload
	v_mul_lo_u32 v3, v1, v56
	s_waitcnt vmcnt(0)
	v_mul_lo_u32 v2, v53, v8
	v_mad_u64_u32 v[8:9], s[20:21], v1, v8, 0
	v_add3_u32 v9, v9, v3, v2
.LBB4_73:                               ;   in Loop: Header=BB4_49 Depth=1
	s_or_b64 exec, exec, s[24:25]
	v_cmp_eq_u32_e32 vcc, 0, v0
	buffer_load_dword v0, off, s[0:3], s33 offset:92 ; 4-byte Folded Reload
	buffer_load_dword v1, off, s[0:3], s33 offset:96 ; 4-byte Folded Reload
	v_cndmask_b32_e32 v2, v23, v24, vcc
	s_waitcnt vmcnt(0)
	v_add_co_u32_e32 v0, vcc, v0, v8
	v_addc_co_u32_e32 v1, vcc, v1, v9, vcc
	v_add_u32_e32 v2, v0, v2
	ds_write_b64 v2, v[0:1] offset:584
	v_and_b32_e32 v0, 0x2000, v28
	v_cmp_ne_u32_e32 vcc, 0, v0
	s_and_saveexec_b64 s[20:21], vcc
	s_cbranch_execz .LBB4_75
; %bb.74:                               ;   in Loop: Header=BB4_49 Depth=1
	ds_read_b64 v[0:1], v0 offset:872
	s_waitcnt lgkmcnt(0)
	v_add_co_u32_e32 v0, vcc, 1, v0
	v_addc_co_u32_e32 v1, vcc, 0, v1, vcc
	ds_write_b64 v0, v[0:1] offset:872
.LBB4_75:                               ;   in Loop: Header=BB4_49 Depth=1
	s_or_b64 exec, exec, s[20:21]
	v_mov_b32_e32 v8, v10
	v_mov_b32_e32 v9, v11
.LBB4_76:                               ;   in Loop: Header=BB4_49 Depth=1
	s_or_b64 exec, exec, s[22:23]
	s_and_saveexec_b64 s[20:21], s[10:11]
	s_cbranch_execz .LBB4_95
; %bb.77:                               ;   in Loop: Header=BB4_49 Depth=1
	s_and_saveexec_b64 s[22:23], s[56:57]
	s_xor_b64 s[22:23], exec, s[22:23]
	s_cbranch_execz .LBB4_92
; %bb.78:                               ;   in Loop: Header=BB4_49 Depth=1
	s_and_saveexec_b64 s[24:25], s[12:13]
	s_cbranch_execz .LBB4_91
; %bb.79:                               ;   in Loop: Header=BB4_49 Depth=1
	s_mov_b64 s[28:29], exec
	v_mbcnt_lo_u32_b32 v0, s28, 0
	v_mbcnt_hi_u32_b32 v0, s29, v0
	v_cmp_eq_u32_e32 vcc, 0, v0
	s_waitcnt vmcnt(0) lgkmcnt(0)
	buffer_wbinvl1_vol
	s_and_saveexec_b64 s[26:27], vcc
	s_cbranch_execz .LBB4_81
; %bb.80:                               ;   in Loop: Header=BB4_49 Depth=1
	s_bcnt1_i32_b64 s28, s[28:29]
	v_mov_b32_e32 v52, s28
	ds_add_u64 v0, v[52:53]
	s_trap 2
.LBB4_81:                               ;   in Loop: Header=BB4_49 Depth=1
	s_or_b64 exec, exec, s[26:27]
	s_trap 2
	ds_read_b64 v[0:1], v0
	s_waitcnt lgkmcnt(0)
	buffer_load_dword v2, off, s[0:3], s33 offset:60 ; 4-byte Folded Reload
	buffer_load_dword v3, off, s[0:3], s33 offset:64 ; 4-byte Folded Reload
	buffer_load_dword v10, off, s[0:3], s33 offset:76 ; 4-byte Folded Reload
	s_waitcnt vmcnt(0)
	v_add_co_u32_e32 v2, vcc, v2, v10
	v_addc_co_u32_e32 v3, vcc, 0, v3, vcc
	buffer_store_dword v2, off, s[0:3], s33 offset:60 ; 4-byte Folded Spill
	s_nop 0
	buffer_store_dword v3, off, s[0:3], s33 offset:64 ; 4-byte Folded Spill
	v_cmp_lt_u64_e32 vcc, v[0:1], v[2:3]
	s_and_saveexec_b64 s[26:27], vcc
	s_cbranch_execz .LBB4_90
; %bb.82:                               ;   in Loop: Header=BB4_49 Depth=1
	s_mov_b32 s36, 0
	s_mov_b64 s[28:29], 0
                                        ; implicit-def: $sgpr92_sgpr93
                                        ; implicit-def: $sgpr94_sgpr95
	s_branch .LBB4_84
.LBB4_83:                               ;   in Loop: Header=BB4_84 Depth=2
	s_or_b64 exec, exec, s[34:35]
	s_and_b64 vcc, exec, vcc
	s_or_b64 s[28:29], vcc, s[28:29]
	s_andn2_b64 s[92:93], s[92:93], exec
	s_and_b64 vcc, s[94:95], exec
	s_or_b64 s[92:93], s[92:93], vcc
	s_andn2_b64 exec, exec, s[28:29]
	s_cbranch_execz .LBB4_88
.LBB4_84:                               ;   Parent Loop BB4_49 Depth=1
                                        ; =>  This Inner Loop Header: Depth=2
	s_add_i32 s36, s36, 1
	s_cmpk_lg_i32 s36, 0x2710
	s_cselect_b64 s[30:31], -1, 0
	s_and_b64 vcc, exec, s[30:31]
	s_cbranch_vccz .LBB4_86
; %bb.85:                               ;   in Loop: Header=BB4_84 Depth=2
	s_mov_b64 vcc, -1
	s_or_b64 s[94:95], s[94:95], exec
	s_and_saveexec_b64 s[34:35], s[30:31]
	s_cbranch_execz .LBB4_83
	s_branch .LBB4_87
.LBB4_86:                               ;   in Loop: Header=BB4_84 Depth=2
	s_trap 2
	ds_read_b64 v[0:1], v0
	s_andn2_b64 s[30:31], s[30:31], exec
	s_mov_b32 s36, 0
	s_waitcnt vmcnt(0) lgkmcnt(0)
	flat_load_dword v0, v[0:1] glc
	s_waitcnt vmcnt(0) lgkmcnt(0)
	buffer_wbinvl1_vol
	v_cmp_eq_u32_e32 vcc, 0, v0
	s_and_b64 vcc, vcc, exec
	s_or_b64 s[30:31], s[30:31], vcc
	s_mov_b64 vcc, -1
	s_or_b64 s[94:95], s[94:95], exec
	s_and_saveexec_b64 s[34:35], s[30:31]
	s_cbranch_execz .LBB4_83
.LBB4_87:                               ;   in Loop: Header=BB4_84 Depth=2
	s_sleep 1
	s_trap 2
	ds_read_b64 v[0:1], v0
	s_waitcnt lgkmcnt(0)
	buffer_load_dword v2, off, s[0:3], s33 offset:60 ; 4-byte Folded Reload
	buffer_load_dword v3, off, s[0:3], s33 offset:64 ; 4-byte Folded Reload
	s_andn2_b64 s[94:95], s[94:95], exec
	s_waitcnt vmcnt(0)
	v_cmp_ge_u64_e32 vcc, v[0:1], v[2:3]
	s_orn2_b64 vcc, vcc, exec
	s_branch .LBB4_83
.LBB4_88:                               ;   in Loop: Header=BB4_49 Depth=1
	s_or_b64 exec, exec, s[28:29]
	s_and_saveexec_b64 s[28:29], s[92:93]
	s_xor_b64 s[28:29], exec, s[28:29]
	s_cbranch_execz .LBB4_90
; %bb.89:                               ;   in Loop: Header=BB4_49 Depth=1
	ds_write_b32 v0, v58
	s_trap 2
.LBB4_90:                               ;   in Loop: Header=BB4_49 Depth=1
	s_or_b64 exec, exec, s[26:27]
	;;#ASMSTART
	s_wakeup
	;;#ASMEND
.LBB4_91:                               ;   in Loop: Header=BB4_49 Depth=1
	s_or_b64 exec, exec, s[24:25]
.LBB4_92:                               ;   in Loop: Header=BB4_49 Depth=1
	s_andn2_saveexec_b64 s[22:23], s[22:23]
	s_cbranch_execz .LBB4_94
; %bb.93:                               ;   in Loop: Header=BB4_49 Depth=1
	s_waitcnt vmcnt(0) lgkmcnt(0)
	buffer_wbinvl1_vol
	s_barrier
.LBB4_94:                               ;   in Loop: Header=BB4_49 Depth=1
	s_or_b64 exec, exec, s[22:23]
.LBB4_95:                               ;   in Loop: Header=BB4_49 Depth=1
	s_or_b64 exec, exec, s[20:21]
	s_trap 2
	ds_read_b32 v0, v0
	v_and_b32_e32 v1, 0x4000, v28
	v_cmp_ne_u32_e32 vcc, 0, v1
	s_and_b64 s[22:23], s[62:63], vcc
	s_and_saveexec_b64 s[20:21], s[22:23]
	s_cbranch_execz .LBB4_114
; %bb.96:                               ;   in Loop: Header=BB4_49 Depth=1
	s_and_saveexec_b64 s[22:23], s[56:57]
	s_xor_b64 s[22:23], exec, s[22:23]
	s_cbranch_execz .LBB4_111
; %bb.97:                               ;   in Loop: Header=BB4_49 Depth=1
	s_and_saveexec_b64 s[24:25], s[12:13]
	s_cbranch_execz .LBB4_110
; %bb.98:                               ;   in Loop: Header=BB4_49 Depth=1
	s_mov_b64 s[28:29], exec
	v_mbcnt_lo_u32_b32 v1, s28, 0
	v_mbcnt_hi_u32_b32 v1, s29, v1
	v_cmp_eq_u32_e32 vcc, 0, v1
	s_waitcnt vmcnt(0) lgkmcnt(0)
	buffer_wbinvl1_vol
	s_and_saveexec_b64 s[26:27], vcc
	s_cbranch_execz .LBB4_100
; %bb.99:                               ;   in Loop: Header=BB4_49 Depth=1
	s_bcnt1_i32_b64 s28, s[28:29]
	v_mov_b32_e32 v52, s28
	ds_add_u64 v0, v[52:53]
	s_trap 2
.LBB4_100:                              ;   in Loop: Header=BB4_49 Depth=1
	s_or_b64 exec, exec, s[26:27]
	s_trap 2
	ds_read_b64 v[1:2], v0
	s_waitcnt lgkmcnt(0)
	buffer_load_dword v10, off, s[0:3], s33 offset:60 ; 4-byte Folded Reload
	buffer_load_dword v11, off, s[0:3], s33 offset:64 ; 4-byte Folded Reload
	;; [unrolled: 1-line block ×3, first 2 shown]
	s_waitcnt vmcnt(0)
	v_add_co_u32_e32 v10, vcc, v10, v3
	v_addc_co_u32_e32 v11, vcc, 0, v11, vcc
	buffer_store_dword v10, off, s[0:3], s33 offset:60 ; 4-byte Folded Spill
	s_nop 0
	buffer_store_dword v11, off, s[0:3], s33 offset:64 ; 4-byte Folded Spill
	v_cmp_lt_u64_e32 vcc, v[1:2], v[10:11]
	s_and_saveexec_b64 s[26:27], vcc
	s_cbranch_execz .LBB4_109
; %bb.101:                              ;   in Loop: Header=BB4_49 Depth=1
	s_mov_b32 s36, 0
	s_mov_b64 s[28:29], 0
                                        ; implicit-def: $sgpr92_sgpr93
                                        ; implicit-def: $sgpr94_sgpr95
	s_branch .LBB4_103
.LBB4_102:                              ;   in Loop: Header=BB4_103 Depth=2
	s_or_b64 exec, exec, s[34:35]
	s_and_b64 vcc, exec, vcc
	s_or_b64 s[28:29], vcc, s[28:29]
	s_andn2_b64 s[92:93], s[92:93], exec
	s_and_b64 vcc, s[94:95], exec
	s_or_b64 s[92:93], s[92:93], vcc
	s_andn2_b64 exec, exec, s[28:29]
	s_cbranch_execz .LBB4_107
.LBB4_103:                              ;   Parent Loop BB4_49 Depth=1
                                        ; =>  This Inner Loop Header: Depth=2
	s_add_i32 s36, s36, 1
	s_cmpk_lg_i32 s36, 0x2710
	s_cselect_b64 s[30:31], -1, 0
	s_and_b64 vcc, exec, s[30:31]
	s_cbranch_vccz .LBB4_105
; %bb.104:                              ;   in Loop: Header=BB4_103 Depth=2
	s_mov_b64 vcc, -1
	s_or_b64 s[94:95], s[94:95], exec
	s_and_saveexec_b64 s[34:35], s[30:31]
	s_cbranch_execz .LBB4_102
	s_branch .LBB4_106
.LBB4_105:                              ;   in Loop: Header=BB4_103 Depth=2
	s_trap 2
	ds_read_b64 v[1:2], v0
	s_andn2_b64 s[30:31], s[30:31], exec
	s_mov_b32 s36, 0
	s_waitcnt vmcnt(0) lgkmcnt(0)
	flat_load_dword v1, v[1:2] glc
	s_waitcnt vmcnt(0) lgkmcnt(0)
	buffer_wbinvl1_vol
	v_cmp_eq_u32_e32 vcc, 0, v1
	s_and_b64 vcc, vcc, exec
	s_or_b64 s[30:31], s[30:31], vcc
	s_mov_b64 vcc, -1
	s_or_b64 s[94:95], s[94:95], exec
	s_and_saveexec_b64 s[34:35], s[30:31]
	s_cbranch_execz .LBB4_102
.LBB4_106:                              ;   in Loop: Header=BB4_103 Depth=2
	s_sleep 1
	s_trap 2
	ds_read_b64 v[1:2], v0
	s_waitcnt lgkmcnt(0)
	buffer_load_dword v10, off, s[0:3], s33 offset:60 ; 4-byte Folded Reload
	buffer_load_dword v11, off, s[0:3], s33 offset:64 ; 4-byte Folded Reload
	s_andn2_b64 s[94:95], s[94:95], exec
	s_waitcnt vmcnt(0)
	v_cmp_ge_u64_e32 vcc, v[1:2], v[10:11]
	s_orn2_b64 vcc, vcc, exec
	s_branch .LBB4_102
.LBB4_107:                              ;   in Loop: Header=BB4_49 Depth=1
	s_or_b64 exec, exec, s[28:29]
	s_and_saveexec_b64 s[28:29], s[92:93]
	s_xor_b64 s[28:29], exec, s[28:29]
	s_cbranch_execz .LBB4_109
; %bb.108:                              ;   in Loop: Header=BB4_49 Depth=1
	ds_write_b32 v0, v58
	s_trap 2
.LBB4_109:                              ;   in Loop: Header=BB4_49 Depth=1
	s_or_b64 exec, exec, s[26:27]
	;;#ASMSTART
	s_wakeup
	;;#ASMEND
.LBB4_110:                              ;   in Loop: Header=BB4_49 Depth=1
	s_or_b64 exec, exec, s[24:25]
.LBB4_111:                              ;   in Loop: Header=BB4_49 Depth=1
	s_andn2_saveexec_b64 s[22:23], s[22:23]
	s_cbranch_execz .LBB4_113
; %bb.112:                              ;   in Loop: Header=BB4_49 Depth=1
	s_waitcnt vmcnt(0) lgkmcnt(0)
	buffer_wbinvl1_vol
	s_barrier
.LBB4_113:                              ;   in Loop: Header=BB4_49 Depth=1
	s_or_b64 exec, exec, s[22:23]
.LBB4_114:                              ;   in Loop: Header=BB4_49 Depth=1
	s_or_b64 exec, exec, s[20:21]
	s_trap 2
	s_waitcnt lgkmcnt(0)
	ds_read_b64 v[1:2], v0
	s_waitcnt lgkmcnt(0)
	v_cmp_eq_u64_e32 vcc, 0, v[1:2]
	s_cbranch_vccnz .LBB4_122
; %bb.115:                              ;   in Loop: Header=BB4_49 Depth=1
	s_trap 2
	ds_read_b64 v[59:60], v0
	s_waitcnt lgkmcnt(0)
	v_cmp_eq_u64_e32 vcc, 0, v[59:60]
	s_cbranch_vccnz .LBB4_122
; %bb.116:                              ;   in Loop: Header=BB4_49 Depth=1
	buffer_store_dword v1, off, s[0:3], s33 offset:164 ; 4-byte Folded Spill
	s_nop 0
	buffer_store_dword v2, off, s[0:3], s33 offset:168 ; 4-byte Folded Spill
	s_trap 2
	ds_read_b64 v[1:2], v0
	s_mov_b64 s[22:23], -1
	s_waitcnt lgkmcnt(0)
	v_readfirstlane_b32 s67, v1
	s_and_saveexec_b64 s[20:21], s[14:15]
	s_cbranch_execz .LBB4_118
; %bb.117:                              ;   in Loop: Header=BB4_49 Depth=1
	ds_read_b32 v1, v0 offset:720
	s_waitcnt lgkmcnt(0)
	v_and_b32_e32 v1, 15, v1
	v_cmp_eq_u32_e32 vcc, 0, v1
	s_orn2_b64 s[22:23], vcc, exec
.LBB4_118:                              ;   in Loop: Header=BB4_49 Depth=1
	s_or_b64 exec, exec, s[20:21]
	s_and_saveexec_b64 s[20:21], s[16:17]
	s_cbranch_execz .LBB4_120
; %bb.119:                              ;   in Loop: Header=BB4_49 Depth=1
	ds_read_b32 v1, v0 offset:784
	s_waitcnt lgkmcnt(0)
	v_and_b32_e32 v1, 15, v1
	v_cmp_eq_u32_e32 vcc, 0, v1
	s_and_b64 s[24:25], s[22:23], vcc
	s_andn2_b64 s[22:23], s[22:23], exec
	s_and_b64 s[24:25], s[24:25], exec
	s_or_b64 s[22:23], s[22:23], s[24:25]
.LBB4_120:                              ;   in Loop: Header=BB4_49 Depth=1
	s_or_b64 exec, exec, s[20:21]
	v_cmp_eq_u32_e32 vcc, 0, v0
	buffer_load_dword v0, off, s[0:3], s33 offset:80 ; 4-byte Folded Reload
	buffer_load_dword v1, off, s[0:3], s33 offset:84 ; 4-byte Folded Reload
	;; [unrolled: 1-line block ×3, first 2 shown]
	s_xor_b64 s[22:23], s[22:23], -1
	s_mov_b64 s[20:21], -1
	v_mov_b32_e32 v4, 0
	s_waitcnt vmcnt(1)
	v_cndmask_b32_e32 v1, 0, v0, vcc
	v_cndmask_b32_e64 v0, 0, 1, s[22:23]
	v_cmp_ne_u32_e32 vcc, 0, v0
	v_mov_b32_e32 v5, v1
	buffer_store_dword v1, off, s[0:3], s33 offset:144 ; 4-byte Folded Spill
	s_cbranch_vccz .LBB4_123
; %bb.121:                              ;   in Loop: Header=BB4_49 Depth=1
	s_and_saveexec_b64 s[26:27], s[20:21]
	s_cbranch_execnz .LBB4_2246
	s_branch .LBB4_3070
.LBB4_122:                              ;   in Loop: Header=BB4_49 Depth=1
	s_mov_b64 s[20:21], 0
	s_and_saveexec_b64 s[22:23], s[10:11]
	s_cbranch_execnz .LBB4_3071
	s_branch .LBB4_3089
.LBB4_123:                              ;   in Loop: Header=BB4_49 Depth=1
	buffer_load_dword v0, off, s[0:3], s33 offset:144 ; 4-byte Folded Reload
	buffer_load_dword v1, off, s[0:3], s33 offset:208 ; 4-byte Folded Reload
	s_waitcnt vmcnt(1)
	v_lshrrev_b32_e32 v0, 11, v0
	s_waitcnt vmcnt(0)
	v_sub_u32_e32 v42, v0, v1
	v_cmp_lt_i32_e32 vcc, 0, v42
	s_and_saveexec_b64 s[24:25], vcc
	s_cbranch_execz .LBB4_1535
; %bb.124:                              ;   in Loop: Header=BB4_49 Depth=1
	s_trap 2
	ds_read_b64 v[0:1], v0
	buffer_load_dword v2, off, s[0:3], s33 offset:224 ; 4-byte Folded Reload
	buffer_load_dword v10, off, s[0:3], s33 offset:164 ; 4-byte Folded Reload
	;; [unrolled: 1-line block ×3, first 2 shown]
	s_bitcmp1_b32 s67, 0
	s_mov_b64 s[26:27], 0
	s_cselect_b64 s[28:29], -1, 0
	s_waitcnt vmcnt(1)
	v_add_co_u32_e32 v46, vcc, v10, v2
	s_waitcnt vmcnt(0)
	v_addc_co_u32_e32 v47, vcc, 0, v11, vcc
	s_waitcnt lgkmcnt(0)
	v_add_co_u32_e32 v56, vcc, v0, v2
	v_addc_co_u32_e32 v57, vcc, 0, v1, vcc
	v_add_co_u32_e32 v58, vcc, v59, v2
	buffer_store_dword v59, off, s[0:3], s33 offset:212 ; 4-byte Folded Spill
	s_nop 0
	buffer_store_dword v60, off, s[0:3], s33 offset:216 ; 4-byte Folded Spill
	v_addc_co_u32_e32 v59, vcc, 0, v60, vcc
	s_branch .LBB4_126
.LBB4_125:                              ;   in Loop: Header=BB4_126 Depth=2
	s_or_b64 exec, exec, s[20:21]
	v_lshl_or_b32 v3, v31, 8, v62
	v_lshlrev_b32_e32 v10, 16, v60
	v_lshlrev_b32_e32 v11, 24, v30
	v_or3_b32 v11, v3, v10, v11
	buffer_load_dword v3, off, s[0:3], s33 offset:88 ; 4-byte Folded Reload
	v_lshlrev_b32_e32 v10, 16, v5
	v_lshlrev_b32_e32 v12, 24, v45
	;; [unrolled: 1-line block ×3, first 2 shown]
	v_lshl_or_b32 v16, v22, 8, v23
	v_lshl_or_b32 v0, v20, 8, v0
	v_lshlrev_b32_e32 v1, 16, v1
	s_waitcnt vmcnt(0)
	v_lshl_or_b32 v3, v3, 8, v4
	v_or3_b32 v10, v3, v10, v12
	v_lshl_or_b32 v3, v29, 8, v61
	v_lshlrev_b32_e32 v12, 16, v34
	v_or3_b32 v12, v3, v12, v13
	v_lshlrev_b32_e32 v3, 24, v21
	v_lshlrev_b32_e32 v13, 16, v26
	v_or3_b32 v13, v16, v13, v3
	v_lshlrev_b32_e32 v3, 24, v18
	v_or3_b32 v17, v0, v1, v3
	v_lshl_or_b32 v0, v25, 8, v24
	v_lshlrev_b32_e32 v1, 16, v50
	v_lshlrev_b32_e32 v3, 24, v41
	v_or3_b32 v16, v0, v1, v3
	v_lshl_or_b32 v0, v27, 8, v19
	v_lshlrev_b32_e32 v1, 16, v51
	v_lshlrev_b32_e32 v3, 24, v44
	v_or3_b32 v18, v0, v1, v3
	v_lshlrev_b32_e32 v0, 24, v2
	v_lshlrev_b32_e32 v1, 16, v40
	v_lshl_or_b32 v2, v14, 8, v15
	v_or3_b32 v19, v2, v1, v0
	global_store_dwordx4 v[58:59], v[10:13], off glc slc
	global_store_dwordx4 v[58:59], v[16:19], off offset:1024 glc slc
	buffer_load_dword v1, off, s[0:3], s33 offset:128 ; 4-byte Folded Reload
	buffer_load_dword v0, off, s[0:3], s33 offset:76 ; 4-byte Folded Reload
	s_waitcnt vmcnt(1)
	v_add_co_u32_e32 v46, vcc, v46, v1
	v_addc_co_u32_e32 v47, vcc, 0, v47, vcc
	v_add_co_u32_e32 v56, vcc, v56, v1
	v_addc_co_u32_e32 v57, vcc, 0, v57, vcc
	s_waitcnt vmcnt(0)
	v_sub_u32_e32 v42, v42, v0
	v_cmp_gt_i32_e32 vcc, 1, v42
	s_or_b64 s[26:27], vcc, s[26:27]
	v_add_co_u32_e32 v58, vcc, v58, v1
	v_addc_co_u32_e32 v59, vcc, 0, v59, vcc
	s_andn2_b64 exec, exec, s[26:27]
	s_cbranch_execz .LBB4_1534
.LBB4_126:                              ;   Parent Loop BB4_49 Depth=1
                                        ; =>  This Inner Loop Header: Depth=2
	global_load_dwordx4 v[22:25], v[46:47], off glc slc
	global_load_dwordx4 v[14:17], v[46:47], off offset:1024 glc slc
	global_load_dwordx4 v[18:21], v[56:57], off glc slc
	global_load_dwordx4 v[10:13], v[56:57], off offset:1024 glc slc
	s_mov_b64 s[22:23], -1
	s_and_b64 vcc, exec, s[28:29]
                                        ; implicit-def: $vgpr1
	s_waitcnt vmcnt(3)
	v_cmp_ne_u16_sdwa s[20:21], v22, v53 src0_sel:BYTE_0 src1_sel:DWORD
	s_cbranch_vccz .LBB4_140
; %bb.127:                              ;   in Loop: Header=BB4_126 Depth=2
	v_mov_b32_e32 v1, 0
	v_mov_b32_e32 v0, 0
	s_and_saveexec_b64 s[22:23], s[20:21]
	s_cbranch_execz .LBB4_133
; %bb.128:                              ;   in Loop: Header=BB4_126 Depth=2
	v_cmp_ne_u16_sdwa s[94:95], v22, s53 src0_sel:BYTE_0 src1_sel:DWORD
	v_bfrev_b32_e32 v0, 1
	s_and_saveexec_b64 s[92:93], s[94:95]
	s_cbranch_execz .LBB4_132
; %bb.129:                              ;   in Loop: Header=BB4_126 Depth=2
	v_and_b32_e32 v2, 0x7f, v22
	v_cmp_ne_u32_e32 vcc, s54, v2
	v_mov_b32_e32 v0, 0x7f800001
	s_and_saveexec_b64 s[94:95], vcc
	s_cbranch_execz .LBB4_131
; %bb.130:                              ;   in Loop: Header=BB4_126 Depth=2
	v_and_b32_e32 v0, 7, v22
	v_ffbh_u32_e32 v0, v0
	v_min_u32_e32 v0, 32, v0
	v_lshrrev_b32_e32 v3, 3, v2
	v_cmp_gt_u32_e32 vcc, 8, v2
	v_subrev_u32_e32 v2, 28, v0
	v_sub_u32_e32 v0, 29, v0
	v_cndmask_b32_e32 v2, 0, v2, vcc
	v_cndmask_b32_e32 v0, v3, v0, vcc
	v_lshlrev_b64 v[2:3], v2, v[22:23]
	v_lshlrev_b32_e32 v3, 24, v22
	v_lshlrev_b32_e32 v2, 20, v2
	v_and_b32_e32 v2, 0x700000, v2
	v_and_b32_e32 v3, 0x80000000, v3
	v_lshl_add_u32 v0, v0, 23, v43
	v_or3_b32 v0, v3, v0, v2
.LBB4_131:                              ;   in Loop: Header=BB4_126 Depth=2
	s_or_b64 exec, exec, s[94:95]
.LBB4_132:                              ;   in Loop: Header=BB4_126 Depth=2
	s_or_b64 exec, exec, s[92:93]
.LBB4_133:                              ;   in Loop: Header=BB4_126 Depth=2
	s_or_b64 exec, exec, s[22:23]
	s_waitcnt vmcnt(1)
	v_cmp_ne_u16_sdwa s[92:93], v18, v53 src0_sel:BYTE_0 src1_sel:DWORD
	s_and_saveexec_b64 s[22:23], s[92:93]
	s_cbranch_execz .LBB4_139
; %bb.134:                              ;   in Loop: Header=BB4_126 Depth=2
	v_cmp_ne_u16_sdwa s[94:95], v18, s53 src0_sel:BYTE_0 src1_sel:DWORD
	v_bfrev_b32_e32 v1, 1
	s_and_saveexec_b64 s[92:93], s[94:95]
	s_cbranch_execz .LBB4_138
; %bb.135:                              ;   in Loop: Header=BB4_126 Depth=2
	v_and_b32_e32 v2, 0x7f, v18
	v_cmp_ne_u32_e32 vcc, s54, v2
	v_mov_b32_e32 v1, 0x7f800001
	s_and_saveexec_b64 s[94:95], vcc
	s_cbranch_execz .LBB4_137
; %bb.136:                              ;   in Loop: Header=BB4_126 Depth=2
	v_and_b32_e32 v1, 7, v18
	v_ffbh_u32_e32 v1, v1
	v_min_u32_e32 v1, 32, v1
	v_lshrrev_b32_e32 v3, 3, v2
	v_cmp_gt_u32_e32 vcc, 8, v2
	v_subrev_u32_e32 v2, 28, v1
	v_sub_u32_e32 v1, 29, v1
	v_cndmask_b32_e32 v3, v3, v1, vcc
	v_cndmask_b32_e32 v1, 0, v2, vcc
	v_lshlrev_b64 v[1:2], v1, v[18:19]
	v_lshlrev_b32_e32 v2, 24, v18
	v_lshlrev_b32_e32 v1, 20, v1
	v_and_b32_e32 v1, 0x700000, v1
	v_and_b32_e32 v2, 0x80000000, v2
	v_lshl_add_u32 v3, v3, 23, v43
	v_or3_b32 v1, v2, v3, v1
.LBB4_137:                              ;   in Loop: Header=BB4_126 Depth=2
	s_or_b64 exec, exec, s[94:95]
.LBB4_138:                              ;   in Loop: Header=BB4_126 Depth=2
	s_or_b64 exec, exec, s[92:93]
.LBB4_139:                              ;   in Loop: Header=BB4_126 Depth=2
	s_or_b64 exec, exec, s[22:23]
	v_max_f32_e32 v1, v1, v1
	v_max_f32_e32 v0, v0, v0
	;; [unrolled: 1-line block ×3, first 2 shown]
	s_mov_b64 s[22:23], 0
.LBB4_140:                              ;   in Loop: Header=BB4_126 Depth=2
	s_and_b64 vcc, exec, s[22:23]
	s_cbranch_vccz .LBB4_154
; %bb.141:                              ;   in Loop: Header=BB4_126 Depth=2
	v_mov_b32_e32 v1, 0
	v_mov_b32_e32 v0, 0
	s_and_saveexec_b64 s[22:23], s[20:21]
	s_cbranch_execz .LBB4_147
; %bb.142:                              ;   in Loop: Header=BB4_126 Depth=2
	v_cmp_ne_u16_sdwa s[92:93], v22, s53 src0_sel:BYTE_0 src1_sel:DWORD
	v_bfrev_b32_e32 v0, 1
	s_and_saveexec_b64 s[20:21], s[92:93]
	s_cbranch_execz .LBB4_146
; %bb.143:                              ;   in Loop: Header=BB4_126 Depth=2
	v_and_b32_e32 v2, 0x7f, v22
	v_cmp_ne_u32_e32 vcc, s54, v2
	v_mov_b32_e32 v0, 0x7f800001
	s_and_saveexec_b64 s[92:93], vcc
	s_cbranch_execz .LBB4_145
; %bb.144:                              ;   in Loop: Header=BB4_126 Depth=2
	v_and_b32_e32 v0, 7, v22
	v_ffbh_u32_e32 v0, v0
	v_min_u32_e32 v0, 32, v0
	v_lshrrev_b32_e32 v3, 3, v2
	v_cmp_gt_u32_e32 vcc, 8, v2
	v_subrev_u32_e32 v2, 28, v0
	v_sub_u32_e32 v0, 29, v0
	v_cndmask_b32_e32 v2, 0, v2, vcc
	v_cndmask_b32_e32 v0, v3, v0, vcc
	v_lshlrev_b64 v[2:3], v2, v[22:23]
	v_lshlrev_b32_e32 v3, 24, v22
	v_lshlrev_b32_e32 v2, 20, v2
	v_and_b32_e32 v2, 0x700000, v2
	v_and_b32_e32 v3, 0x80000000, v3
	v_lshl_add_u32 v0, v0, 23, v43
	v_or3_b32 v0, v3, v0, v2
.LBB4_145:                              ;   in Loop: Header=BB4_126 Depth=2
	s_or_b64 exec, exec, s[92:93]
.LBB4_146:                              ;   in Loop: Header=BB4_126 Depth=2
	s_or_b64 exec, exec, s[20:21]
.LBB4_147:                              ;   in Loop: Header=BB4_126 Depth=2
	s_or_b64 exec, exec, s[22:23]
	s_waitcnt vmcnt(1)
	v_cmp_ne_u16_sdwa s[22:23], v18, v53 src0_sel:BYTE_0 src1_sel:DWORD
	s_and_saveexec_b64 s[20:21], s[22:23]
	s_cbranch_execz .LBB4_153
; %bb.148:                              ;   in Loop: Header=BB4_126 Depth=2
	v_cmp_ne_u16_sdwa s[92:93], v18, s53 src0_sel:BYTE_0 src1_sel:DWORD
	v_bfrev_b32_e32 v1, 1
	s_and_saveexec_b64 s[22:23], s[92:93]
	s_cbranch_execz .LBB4_152
; %bb.149:                              ;   in Loop: Header=BB4_126 Depth=2
	v_and_b32_e32 v2, 0x7f, v18
	v_cmp_ne_u32_e32 vcc, s54, v2
	v_mov_b32_e32 v1, 0x7f800001
	s_and_saveexec_b64 s[92:93], vcc
	s_cbranch_execz .LBB4_151
; %bb.150:                              ;   in Loop: Header=BB4_126 Depth=2
	v_and_b32_e32 v1, 7, v18
	v_ffbh_u32_e32 v1, v1
	v_min_u32_e32 v1, 32, v1
	v_lshrrev_b32_e32 v3, 3, v2
	v_cmp_gt_u32_e32 vcc, 8, v2
	v_subrev_u32_e32 v2, 28, v1
	v_sub_u32_e32 v1, 29, v1
	v_cndmask_b32_e32 v3, v3, v1, vcc
	v_cndmask_b32_e32 v1, 0, v2, vcc
	v_lshlrev_b64 v[1:2], v1, v[18:19]
	v_lshlrev_b32_e32 v2, 24, v18
	v_lshlrev_b32_e32 v1, 20, v1
	v_and_b32_e32 v1, 0x700000, v1
	v_and_b32_e32 v2, 0x80000000, v2
	v_lshl_add_u32 v3, v3, 23, v43
	v_or3_b32 v1, v2, v3, v1
.LBB4_151:                              ;   in Loop: Header=BB4_126 Depth=2
	s_or_b64 exec, exec, s[92:93]
.LBB4_152:                              ;   in Loop: Header=BB4_126 Depth=2
	s_or_b64 exec, exec, s[22:23]
.LBB4_153:                              ;   in Loop: Header=BB4_126 Depth=2
	s_or_b64 exec, exec, s[20:21]
	v_max_f32_e32 v1, v1, v1
	v_max_f32_e32 v0, v0, v0
	v_min_f32_e32 v1, v0, v1
.LBB4_154:                              ;   in Loop: Header=BB4_126 Depth=2
	v_and_b32_e32 v52, 0x7f800000, v1
	v_cmp_ne_u64_e32 vcc, s[72:73], v[52:53]
                                        ; implicit-def: $vgpr4
	s_and_saveexec_b64 s[20:21], vcc
	s_xor_b64 s[22:23], exec, s[20:21]
	s_cbranch_execz .LBB4_168
; %bb.155:                              ;   in Loop: Header=BB4_126 Depth=2
	v_and_b32_e32 v52, 0x7fffffff, v1
	v_cmp_gt_u64_e32 vcc, s[74:75], v[52:53]
	v_and_b32_sdwa v0, v1, s53 dst_sel:DWORD dst_unused:UNUSED_PAD src0_sel:BYTE_3 src1_sel:DWORD
                                        ; implicit-def: $vgpr4
	s_and_saveexec_b64 s[20:21], vcc
	s_xor_b64 s[92:93], exec, s[20:21]
	s_cbranch_execz .LBB4_165
; %bb.156:                              ;   in Loop: Header=BB4_126 Depth=2
	v_mov_b32_e32 v4, 0
	v_cmp_ne_u32_e32 vcc, 0, v1
	s_and_saveexec_b64 s[94:95], vcc
	s_cbranch_execz .LBB4_164
; %bb.157:                              ;   in Loop: Header=BB4_126 Depth=2
	v_and_b32_e32 v3, 0x7fffff, v1
	v_bfe_u32 v1, v1, 23, 8
	v_cmp_gt_u32_e64 s[20:21], s64, v1
	v_sub_u32_e32 v2, 0x79, v1
	v_cmp_eq_u32_e32 vcc, 0, v1
	v_cndmask_b32_e64 v2, 0, v2, s[20:21]
	v_mov_b32_e32 v27, 0x78
	v_or_b32_e32 v26, 0x800000, v3
	v_cndmask_b32_e32 v2, v2, v27, vcc
	v_cndmask_b32_e32 v52, v26, v3, vcc
	v_add_u32_e32 v3, 20, v2
	v_lshlrev_b64 v[26:27], v3, -1
	v_add_u32_e32 v3, 19, v2
	v_lshlrev_b64 v[29:30], v3, 1
	v_lshrrev_b64 v[60:61], v2, v[52:53]
	v_bfi_b32 v27, v27, 0, 0
	v_bfi_b32 v26, v26, 0, v52
	v_cmp_eq_u64_e64 s[20:21], v[26:27], v[29:30]
	v_mov_b32_e32 v62, v61
	v_mov_b32_e32 v61, v60
	s_and_saveexec_b64 s[30:31], s[20:21]
; %bb.158:                              ;   in Loop: Header=BB4_126 Depth=2
	v_bfe_u32 v3, v60, 20, 1
	v_add_co_u32_e64 v3, s[20:21], v60, v3
	v_add_co_u32_e64 v61, s[20:21], -1, v3
; %bb.159:                              ;   in Loop: Header=BB4_126 Depth=2
	s_or_b64 exec, exec, s[30:31]
	v_add_u32_e32 v1, 0xffffff81, v1
	v_cndmask_b32_e32 v1, v1, v49, vcc
	v_lshrrev_b32_e32 v3, 23, v60
	v_add3_u32 v3, v2, v1, v3
	v_add_u32_e32 v2, 6, v3
	v_and_b32_e32 v1, 0xfffff, v61
	v_add_u32_e32 v52, v1, v60
	v_cmp_ne_u32_e32 vcc, 0, v2
                                        ; implicit-def: $vgpr60_vgpr61
                                        ; implicit-def: $vgpr1
	s_and_saveexec_b64 s[20:21], vcc
	s_xor_b64 s[20:21], exec, s[20:21]
; %bb.160:                              ;   in Loop: Header=BB4_126 Depth=2
	v_cmp_lt_u64_e32 vcc, s[76:77], v[52:53]
	v_add_u32_e32 v1, 7, v3
	v_cndmask_b32_e32 v1, v2, v1, vcc
	v_cndmask_b32_e64 v2, 0, 1, vcc
	v_lshrrev_b64 v[60:61], v2, v[52:53]
; %bb.161:                              ;   in Loop: Header=BB4_126 Depth=2
	s_andn2_saveexec_b64 s[20:21], s[20:21]
; %bb.162:                              ;   in Loop: Header=BB4_126 Depth=2
	v_mov_b32_e32 v61, v53
	v_bfe_u32 v1, v52, 23, 1
	v_mov_b32_e32 v60, v52
; %bb.163:                              ;   in Loop: Header=BB4_126 Depth=2
	s_or_b64 exec, exec, s[20:21]
	v_lshrrev_b64 v[2:3], 20, v[60:61]
	v_cmp_gt_i32_e32 vcc, 16, v1
	v_cndmask_b32_e32 v3, 0, v3, vcc
	v_cndmask_b32_e32 v2, 7, v2, vcc
	v_cmp_eq_u32_e32 vcc, 0, v1
	v_min_i32_e32 v1, 15, v1
	v_cmp_eq_u64_e64 s[20:21], 0, v[2:3]
	v_lshlrev_b32_e32 v1, 3, v1
	v_and_b32_e32 v1, 0xf8, v1
	v_and_or_b32 v1, v2, 7, v1
	s_and_b64 s[20:21], vcc, s[20:21]
	v_cndmask_b32_e64 v1, v1, 0, s[20:21]
	v_or_b32_e32 v4, v1, v0
.LBB4_164:                              ;   in Loop: Header=BB4_126 Depth=2
	s_or_b64 exec, exec, s[94:95]
                                        ; implicit-def: $vgpr0
.LBB4_165:                              ;   in Loop: Header=BB4_126 Depth=2
	s_andn2_saveexec_b64 s[20:21], s[92:93]
; %bb.166:                              ;   in Loop: Header=BB4_126 Depth=2
	v_or_b32_e32 v4, 0x7e, v0
; %bb.167:                              ;   in Loop: Header=BB4_126 Depth=2
	s_or_b64 exec, exec, s[20:21]
                                        ; implicit-def: $vgpr1
.LBB4_168:                              ;   in Loop: Header=BB4_126 Depth=2
	s_andn2_saveexec_b64 s[20:21], s[22:23]
; %bb.169:                              ;   in Loop: Header=BB4_126 Depth=2
	v_or_b32_sdwa v4, v1, s54 dst_sel:DWORD dst_unused:UNUSED_PAD src0_sel:BYTE_3 src1_sel:DWORD
; %bb.170:                              ;   in Loop: Header=BB4_126 Depth=2
	s_or_b64 exec, exec, s[20:21]
	v_lshrrev_b16_e32 v52, 8, v22
	s_waitcnt vmcnt(1)
	v_lshrrev_b16_e32 v30, 8, v18
	v_cmp_ne_u16_e64 s[20:21], 0, v52
	s_mov_b64 s[22:23], -1
	s_and_b64 vcc, exec, s[28:29]
                                        ; implicit-def: $vgpr1
	s_cbranch_vccz .LBB4_184
; %bb.171:                              ;   in Loop: Header=BB4_126 Depth=2
	v_mov_b32_e32 v1, 0
	v_mov_b32_e32 v0, 0
	s_and_saveexec_b64 s[22:23], s[20:21]
	s_cbranch_execz .LBB4_177
; %bb.172:                              ;   in Loop: Header=BB4_126 Depth=2
	v_cmp_ne_u16_e32 vcc, s53, v52
	v_bfrev_b32_e32 v0, 1
	s_and_saveexec_b64 s[92:93], vcc
	s_cbranch_execz .LBB4_176
; %bb.173:                              ;   in Loop: Header=BB4_126 Depth=2
	v_and_b32_e32 v2, 0x7f, v52
	v_cmp_ne_u32_e32 vcc, s54, v2
	v_mov_b32_e32 v0, 0x7f800001
	s_and_saveexec_b64 s[94:95], vcc
	s_cbranch_execz .LBB4_175
; %bb.174:                              ;   in Loop: Header=BB4_126 Depth=2
	v_and_b32_e32 v0, 7, v52
	v_lshrrev_b32_e32 v26, 3, v2
	v_cmp_gt_u32_e32 vcc, 8, v2
	v_ffbh_u32_e32 v2, v0
	v_min_u32_e32 v27, 32, v2
	v_subrev_u32_e32 v2, 28, v27
	v_lshlrev_b64 v[2:3], v2, v[52:53]
	v_sub_u32_e32 v3, 29, v27
	v_and_b32_e32 v2, 7, v2
	v_cndmask_b32_e32 v3, v26, v3, vcc
	v_cndmask_b32_e32 v0, v0, v2, vcc
	v_lshlrev_b32_e32 v2, 16, v22
	v_lshlrev_b32_e32 v0, 20, v0
	v_and_b32_e32 v2, 0x80000000, v2
	v_lshl_add_u32 v3, v3, 23, v43
	v_or3_b32 v0, v2, v3, v0
.LBB4_175:                              ;   in Loop: Header=BB4_126 Depth=2
	s_or_b64 exec, exec, s[94:95]
.LBB4_176:                              ;   in Loop: Header=BB4_126 Depth=2
	s_or_b64 exec, exec, s[92:93]
.LBB4_177:                              ;   in Loop: Header=BB4_126 Depth=2
	s_or_b64 exec, exec, s[22:23]
	v_cmp_ne_u16_e32 vcc, 0, v30
	s_and_saveexec_b64 s[22:23], vcc
	s_cbranch_execz .LBB4_183
; %bb.178:                              ;   in Loop: Header=BB4_126 Depth=2
	v_cmp_ne_u16_e32 vcc, s53, v30
	v_bfrev_b32_e32 v1, 1
	s_and_saveexec_b64 s[92:93], vcc
	s_cbranch_execz .LBB4_182
; %bb.179:                              ;   in Loop: Header=BB4_126 Depth=2
	v_and_b32_e32 v2, 0x7f, v30
	v_cmp_ne_u32_e32 vcc, s54, v2
	v_mov_b32_e32 v1, 0x7f800001
	s_and_saveexec_b64 s[94:95], vcc
	s_cbranch_execz .LBB4_181
; %bb.180:                              ;   in Loop: Header=BB4_126 Depth=2
	v_and_b32_e32 v3, 7, v30
	v_ffbh_u32_e32 v1, v3
	v_min_u32_e32 v27, 32, v1
	v_subrev_u32_e32 v1, 28, v27
	v_lshrrev_b32_e32 v26, 3, v2
	v_cmp_gt_u32_e32 vcc, 8, v2
	v_lshlrev_b64 v[1:2], v1, v[30:31]
	v_sub_u32_e32 v2, 29, v27
	v_and_b32_e32 v1, 7, v1
	v_cndmask_b32_e32 v2, v26, v2, vcc
	v_cndmask_b32_e32 v1, v3, v1, vcc
	v_lshlrev_b32_e32 v3, 16, v18
	v_lshlrev_b32_e32 v1, 20, v1
	v_and_b32_e32 v3, 0x80000000, v3
	v_lshl_add_u32 v2, v2, 23, v43
	v_or3_b32 v1, v3, v2, v1
.LBB4_181:                              ;   in Loop: Header=BB4_126 Depth=2
	s_or_b64 exec, exec, s[94:95]
.LBB4_182:                              ;   in Loop: Header=BB4_126 Depth=2
	s_or_b64 exec, exec, s[92:93]
.LBB4_183:                              ;   in Loop: Header=BB4_126 Depth=2
	s_or_b64 exec, exec, s[22:23]
	v_max_f32_e32 v1, v1, v1
	v_max_f32_e32 v0, v0, v0
	;; [unrolled: 1-line block ×3, first 2 shown]
	s_mov_b64 s[22:23], 0
.LBB4_184:                              ;   in Loop: Header=BB4_126 Depth=2
	s_and_b64 vcc, exec, s[22:23]
	s_cbranch_vccz .LBB4_198
; %bb.185:                              ;   in Loop: Header=BB4_126 Depth=2
	v_mov_b32_e32 v1, 0
	v_mov_b32_e32 v0, 0
	s_and_saveexec_b64 s[22:23], s[20:21]
	s_cbranch_execz .LBB4_191
; %bb.186:                              ;   in Loop: Header=BB4_126 Depth=2
	v_cmp_ne_u16_e32 vcc, s53, v52
	v_bfrev_b32_e32 v0, 1
	s_and_saveexec_b64 s[20:21], vcc
	s_cbranch_execz .LBB4_190
; %bb.187:                              ;   in Loop: Header=BB4_126 Depth=2
	v_and_b32_e32 v2, 0x7f, v52
	v_cmp_ne_u32_e32 vcc, s54, v2
	v_mov_b32_e32 v0, 0x7f800001
	s_and_saveexec_b64 s[92:93], vcc
	s_cbranch_execz .LBB4_189
; %bb.188:                              ;   in Loop: Header=BB4_126 Depth=2
	v_and_b32_e32 v0, 7, v52
	v_lshrrev_b32_e32 v26, 3, v2
	v_cmp_gt_u32_e32 vcc, 8, v2
	v_ffbh_u32_e32 v2, v0
	v_min_u32_e32 v27, 32, v2
	v_subrev_u32_e32 v2, 28, v27
	v_lshlrev_b64 v[2:3], v2, v[52:53]
	v_sub_u32_e32 v3, 29, v27
	v_and_b32_e32 v2, 7, v2
	v_cndmask_b32_e32 v3, v26, v3, vcc
	v_cndmask_b32_e32 v0, v0, v2, vcc
	v_lshlrev_b32_e32 v2, 16, v22
	v_lshlrev_b32_e32 v0, 20, v0
	v_and_b32_e32 v2, 0x80000000, v2
	v_lshl_add_u32 v3, v3, 23, v43
	v_or3_b32 v0, v2, v3, v0
.LBB4_189:                              ;   in Loop: Header=BB4_126 Depth=2
	s_or_b64 exec, exec, s[92:93]
.LBB4_190:                              ;   in Loop: Header=BB4_126 Depth=2
	s_or_b64 exec, exec, s[20:21]
.LBB4_191:                              ;   in Loop: Header=BB4_126 Depth=2
	s_or_b64 exec, exec, s[22:23]
	v_cmp_ne_u16_e32 vcc, 0, v30
	s_and_saveexec_b64 s[20:21], vcc
	s_cbranch_execz .LBB4_197
; %bb.192:                              ;   in Loop: Header=BB4_126 Depth=2
	v_cmp_ne_u16_e32 vcc, s53, v30
	v_bfrev_b32_e32 v1, 1
	s_and_saveexec_b64 s[22:23], vcc
	s_cbranch_execz .LBB4_196
; %bb.193:                              ;   in Loop: Header=BB4_126 Depth=2
	v_and_b32_e32 v2, 0x7f, v30
	v_cmp_ne_u32_e32 vcc, s54, v2
	v_mov_b32_e32 v1, 0x7f800001
	s_and_saveexec_b64 s[92:93], vcc
	s_cbranch_execz .LBB4_195
; %bb.194:                              ;   in Loop: Header=BB4_126 Depth=2
	v_and_b32_e32 v3, 7, v30
	v_ffbh_u32_e32 v1, v3
	v_min_u32_e32 v27, 32, v1
	v_subrev_u32_e32 v1, 28, v27
	v_lshrrev_b32_e32 v26, 3, v2
	v_cmp_gt_u32_e32 vcc, 8, v2
	v_lshlrev_b64 v[1:2], v1, v[30:31]
	v_sub_u32_e32 v2, 29, v27
	v_and_b32_e32 v1, 7, v1
	v_cndmask_b32_e32 v2, v26, v2, vcc
	v_cndmask_b32_e32 v1, v3, v1, vcc
	v_lshlrev_b32_e32 v3, 16, v18
	v_lshlrev_b32_e32 v1, 20, v1
	v_and_b32_e32 v3, 0x80000000, v3
	v_lshl_add_u32 v2, v2, 23, v43
	v_or3_b32 v1, v3, v2, v1
.LBB4_195:                              ;   in Loop: Header=BB4_126 Depth=2
	s_or_b64 exec, exec, s[92:93]
.LBB4_196:                              ;   in Loop: Header=BB4_126 Depth=2
	s_or_b64 exec, exec, s[22:23]
.LBB4_197:                              ;   in Loop: Header=BB4_126 Depth=2
	s_or_b64 exec, exec, s[20:21]
	v_max_f32_e32 v1, v1, v1
	v_max_f32_e32 v0, v0, v0
	v_min_f32_e32 v1, v0, v1
.LBB4_198:                              ;   in Loop: Header=BB4_126 Depth=2
	v_and_b32_e32 v52, 0x7f800000, v1
	v_cmp_ne_u64_e32 vcc, s[72:73], v[52:53]
                                        ; implicit-def: $vgpr5
	s_and_saveexec_b64 s[20:21], vcc
	s_xor_b64 s[22:23], exec, s[20:21]
	s_cbranch_execz .LBB4_212
; %bb.199:                              ;   in Loop: Header=BB4_126 Depth=2
	v_and_b32_e32 v52, 0x7fffffff, v1
	v_cmp_gt_u64_e32 vcc, s[74:75], v[52:53]
	v_and_b32_sdwa v0, v1, s53 dst_sel:DWORD dst_unused:UNUSED_PAD src0_sel:BYTE_3 src1_sel:DWORD
                                        ; implicit-def: $vgpr5
	s_and_saveexec_b64 s[20:21], vcc
	s_xor_b64 s[92:93], exec, s[20:21]
	s_cbranch_execz .LBB4_209
; %bb.200:                              ;   in Loop: Header=BB4_126 Depth=2
	v_mov_b32_e32 v5, 0
	v_cmp_ne_u32_e32 vcc, 0, v1
	s_and_saveexec_b64 s[94:95], vcc
	s_cbranch_execz .LBB4_208
; %bb.201:                              ;   in Loop: Header=BB4_126 Depth=2
	v_and_b32_e32 v3, 0x7fffff, v1
	v_bfe_u32 v1, v1, 23, 8
	v_cmp_gt_u32_e64 s[20:21], s64, v1
	v_sub_u32_e32 v2, 0x79, v1
	v_cmp_eq_u32_e32 vcc, 0, v1
	v_cndmask_b32_e64 v2, 0, v2, s[20:21]
	v_mov_b32_e32 v27, 0x78
	v_or_b32_e32 v26, 0x800000, v3
	v_cndmask_b32_e32 v2, v2, v27, vcc
	v_cndmask_b32_e32 v52, v26, v3, vcc
	v_add_u32_e32 v3, 20, v2
	v_lshlrev_b64 v[26:27], v3, -1
	v_add_u32_e32 v3, 19, v2
	v_lshlrev_b64 v[29:30], v3, 1
	v_lshrrev_b64 v[60:61], v2, v[52:53]
	v_bfi_b32 v27, v27, 0, 0
	v_bfi_b32 v26, v26, 0, v52
	v_cmp_eq_u64_e64 s[20:21], v[26:27], v[29:30]
	v_mov_b32_e32 v62, v61
	v_mov_b32_e32 v61, v60
	s_and_saveexec_b64 s[30:31], s[20:21]
; %bb.202:                              ;   in Loop: Header=BB4_126 Depth=2
	v_bfe_u32 v3, v60, 20, 1
	v_add_co_u32_e64 v3, s[20:21], v60, v3
	v_add_co_u32_e64 v61, s[20:21], -1, v3
; %bb.203:                              ;   in Loop: Header=BB4_126 Depth=2
	s_or_b64 exec, exec, s[30:31]
	v_add_u32_e32 v1, 0xffffff81, v1
	v_cndmask_b32_e32 v1, v1, v49, vcc
	v_lshrrev_b32_e32 v3, 23, v60
	v_add3_u32 v3, v2, v1, v3
	v_add_u32_e32 v2, 6, v3
	v_and_b32_e32 v1, 0xfffff, v61
	v_add_u32_e32 v52, v1, v60
	v_cmp_ne_u32_e32 vcc, 0, v2
                                        ; implicit-def: $vgpr60_vgpr61
                                        ; implicit-def: $vgpr1
	s_and_saveexec_b64 s[20:21], vcc
	s_xor_b64 s[20:21], exec, s[20:21]
; %bb.204:                              ;   in Loop: Header=BB4_126 Depth=2
	v_cmp_lt_u64_e32 vcc, s[76:77], v[52:53]
	v_add_u32_e32 v1, 7, v3
	v_cndmask_b32_e32 v1, v2, v1, vcc
	v_cndmask_b32_e64 v2, 0, 1, vcc
	v_lshrrev_b64 v[60:61], v2, v[52:53]
; %bb.205:                              ;   in Loop: Header=BB4_126 Depth=2
	s_andn2_saveexec_b64 s[20:21], s[20:21]
; %bb.206:                              ;   in Loop: Header=BB4_126 Depth=2
	v_mov_b32_e32 v61, v53
	v_bfe_u32 v1, v52, 23, 1
	v_mov_b32_e32 v60, v52
; %bb.207:                              ;   in Loop: Header=BB4_126 Depth=2
	s_or_b64 exec, exec, s[20:21]
	v_lshrrev_b64 v[2:3], 20, v[60:61]
	v_cmp_gt_i32_e32 vcc, 16, v1
	v_cndmask_b32_e32 v3, 0, v3, vcc
	v_cndmask_b32_e32 v2, 7, v2, vcc
	v_cmp_eq_u32_e32 vcc, 0, v1
	v_min_i32_e32 v1, 15, v1
	v_cmp_eq_u64_e64 s[20:21], 0, v[2:3]
	v_lshlrev_b32_e32 v1, 3, v1
	v_and_b32_e32 v1, 0xf8, v1
	v_and_or_b32 v1, v2, 7, v1
	s_and_b64 s[20:21], vcc, s[20:21]
	v_cndmask_b32_e64 v1, v1, 0, s[20:21]
	v_or_b32_e32 v5, v1, v0
.LBB4_208:                              ;   in Loop: Header=BB4_126 Depth=2
	s_or_b64 exec, exec, s[94:95]
                                        ; implicit-def: $vgpr0
.LBB4_209:                              ;   in Loop: Header=BB4_126 Depth=2
	s_andn2_saveexec_b64 s[20:21], s[92:93]
; %bb.210:                              ;   in Loop: Header=BB4_126 Depth=2
	v_or_b32_e32 v5, 0x7e, v0
; %bb.211:                              ;   in Loop: Header=BB4_126 Depth=2
	s_or_b64 exec, exec, s[20:21]
                                        ; implicit-def: $vgpr1
.LBB4_212:                              ;   in Loop: Header=BB4_126 Depth=2
	s_andn2_saveexec_b64 s[20:21], s[22:23]
; %bb.213:                              ;   in Loop: Header=BB4_126 Depth=2
	v_or_b32_sdwa v5, v1, s54 dst_sel:DWORD dst_unused:UNUSED_PAD src0_sel:BYTE_3 src1_sel:DWORD
; %bb.214:                              ;   in Loop: Header=BB4_126 Depth=2
	s_or_b64 exec, exec, s[20:21]
	v_lshrrev_b32_e32 v52, 16, v22
	v_lshrrev_b32_e32 v30, 16, v18
	v_cmp_ne_u16_sdwa s[20:21], v52, v53 src0_sel:BYTE_0 src1_sel:DWORD
	s_mov_b64 s[22:23], -1
	s_and_b64 vcc, exec, s[28:29]
                                        ; implicit-def: $vgpr1
	s_cbranch_vccz .LBB4_228
; %bb.215:                              ;   in Loop: Header=BB4_126 Depth=2
	v_mov_b32_e32 v1, 0
	v_mov_b32_e32 v0, 0
	s_and_saveexec_b64 s[22:23], s[20:21]
	s_cbranch_execz .LBB4_221
; %bb.216:                              ;   in Loop: Header=BB4_126 Depth=2
	v_cmp_ne_u16_sdwa s[94:95], v52, s53 src0_sel:BYTE_0 src1_sel:DWORD
	v_bfrev_b32_e32 v0, 1
	s_and_saveexec_b64 s[92:93], s[94:95]
	s_cbranch_execz .LBB4_220
; %bb.217:                              ;   in Loop: Header=BB4_126 Depth=2
	v_bfe_u32 v2, v22, 16, 7
	v_cmp_ne_u32_e32 vcc, s54, v2
	v_mov_b32_e32 v0, 0x7f800001
	s_and_saveexec_b64 s[94:95], vcc
	s_cbranch_execz .LBB4_219
; %bb.218:                              ;   in Loop: Header=BB4_126 Depth=2
	v_and_b32_e32 v0, 7, v52
	v_lshrrev_b32_e32 v26, 3, v2
	v_cmp_gt_u32_e32 vcc, 8, v2
	v_ffbh_u32_e32 v2, v0
	v_min_u32_e32 v27, 32, v2
	v_subrev_u32_e32 v2, 28, v27
	v_lshlrev_b64 v[2:3], v2, v[52:53]
	v_sub_u32_e32 v3, 29, v27
	v_and_b32_e32 v2, 7, v2
	v_cndmask_b32_e32 v3, v26, v3, vcc
	v_cndmask_b32_e32 v0, v0, v2, vcc
	v_lshlrev_b32_e32 v2, 24, v52
	v_lshlrev_b32_e32 v0, 20, v0
	v_and_b32_e32 v2, 0x80000000, v2
	v_lshl_add_u32 v3, v3, 23, v43
	v_or3_b32 v0, v2, v3, v0
.LBB4_219:                              ;   in Loop: Header=BB4_126 Depth=2
	s_or_b64 exec, exec, s[94:95]
.LBB4_220:                              ;   in Loop: Header=BB4_126 Depth=2
	s_or_b64 exec, exec, s[92:93]
.LBB4_221:                              ;   in Loop: Header=BB4_126 Depth=2
	s_or_b64 exec, exec, s[22:23]
	v_cmp_ne_u16_sdwa s[92:93], v30, v53 src0_sel:BYTE_0 src1_sel:DWORD
	s_and_saveexec_b64 s[22:23], s[92:93]
	s_cbranch_execz .LBB4_227
; %bb.222:                              ;   in Loop: Header=BB4_126 Depth=2
	v_cmp_ne_u16_sdwa s[94:95], v30, s53 src0_sel:BYTE_0 src1_sel:DWORD
	v_bfrev_b32_e32 v1, 1
	s_and_saveexec_b64 s[92:93], s[94:95]
	s_cbranch_execz .LBB4_226
; %bb.223:                              ;   in Loop: Header=BB4_126 Depth=2
	v_bfe_u32 v2, v18, 16, 7
	v_cmp_ne_u32_e32 vcc, s54, v2
	v_mov_b32_e32 v1, 0x7f800001
	s_and_saveexec_b64 s[94:95], vcc
	s_cbranch_execz .LBB4_225
; %bb.224:                              ;   in Loop: Header=BB4_126 Depth=2
	v_and_b32_e32 v3, 7, v30
	v_ffbh_u32_e32 v1, v3
	v_min_u32_e32 v27, 32, v1
	v_subrev_u32_e32 v1, 28, v27
	v_lshrrev_b32_e32 v26, 3, v2
	v_cmp_gt_u32_e32 vcc, 8, v2
	v_lshlrev_b64 v[1:2], v1, v[30:31]
	v_sub_u32_e32 v2, 29, v27
	v_and_b32_e32 v1, 7, v1
	v_cndmask_b32_e32 v2, v26, v2, vcc
	v_cndmask_b32_e32 v1, v3, v1, vcc
	v_lshlrev_b32_e32 v3, 24, v30
	v_lshlrev_b32_e32 v1, 20, v1
	v_and_b32_e32 v3, 0x80000000, v3
	v_lshl_add_u32 v2, v2, 23, v43
	v_or3_b32 v1, v3, v2, v1
.LBB4_225:                              ;   in Loop: Header=BB4_126 Depth=2
	s_or_b64 exec, exec, s[94:95]
.LBB4_226:                              ;   in Loop: Header=BB4_126 Depth=2
	s_or_b64 exec, exec, s[92:93]
.LBB4_227:                              ;   in Loop: Header=BB4_126 Depth=2
	s_or_b64 exec, exec, s[22:23]
	v_max_f32_e32 v1, v1, v1
	v_max_f32_e32 v0, v0, v0
	;; [unrolled: 1-line block ×3, first 2 shown]
	s_mov_b64 s[22:23], 0
.LBB4_228:                              ;   in Loop: Header=BB4_126 Depth=2
	s_and_b64 vcc, exec, s[22:23]
	s_cbranch_vccz .LBB4_242
; %bb.229:                              ;   in Loop: Header=BB4_126 Depth=2
	v_mov_b32_e32 v1, 0
	v_mov_b32_e32 v0, 0
	s_and_saveexec_b64 s[22:23], s[20:21]
	s_cbranch_execz .LBB4_235
; %bb.230:                              ;   in Loop: Header=BB4_126 Depth=2
	v_cmp_ne_u16_sdwa s[92:93], v52, s53 src0_sel:BYTE_0 src1_sel:DWORD
	v_bfrev_b32_e32 v0, 1
	s_and_saveexec_b64 s[20:21], s[92:93]
	s_cbranch_execz .LBB4_234
; %bb.231:                              ;   in Loop: Header=BB4_126 Depth=2
	v_bfe_u32 v2, v22, 16, 7
	v_cmp_ne_u32_e32 vcc, s54, v2
	v_mov_b32_e32 v0, 0x7f800001
	s_and_saveexec_b64 s[92:93], vcc
	s_cbranch_execz .LBB4_233
; %bb.232:                              ;   in Loop: Header=BB4_126 Depth=2
	v_and_b32_e32 v0, 7, v52
	v_lshrrev_b32_e32 v26, 3, v2
	v_cmp_gt_u32_e32 vcc, 8, v2
	v_ffbh_u32_e32 v2, v0
	v_min_u32_e32 v27, 32, v2
	v_subrev_u32_e32 v2, 28, v27
	v_lshlrev_b64 v[2:3], v2, v[52:53]
	v_sub_u32_e32 v3, 29, v27
	v_and_b32_e32 v2, 7, v2
	v_cndmask_b32_e32 v3, v26, v3, vcc
	v_cndmask_b32_e32 v0, v0, v2, vcc
	v_lshlrev_b32_e32 v2, 24, v52
	v_lshlrev_b32_e32 v0, 20, v0
	v_and_b32_e32 v2, 0x80000000, v2
	v_lshl_add_u32 v3, v3, 23, v43
	v_or3_b32 v0, v2, v3, v0
.LBB4_233:                              ;   in Loop: Header=BB4_126 Depth=2
	s_or_b64 exec, exec, s[92:93]
.LBB4_234:                              ;   in Loop: Header=BB4_126 Depth=2
	s_or_b64 exec, exec, s[20:21]
.LBB4_235:                              ;   in Loop: Header=BB4_126 Depth=2
	s_or_b64 exec, exec, s[22:23]
	v_cmp_ne_u16_sdwa s[22:23], v30, v53 src0_sel:BYTE_0 src1_sel:DWORD
	s_and_saveexec_b64 s[20:21], s[22:23]
	s_cbranch_execz .LBB4_241
; %bb.236:                              ;   in Loop: Header=BB4_126 Depth=2
	v_cmp_ne_u16_sdwa s[92:93], v30, s53 src0_sel:BYTE_0 src1_sel:DWORD
	v_bfrev_b32_e32 v1, 1
	s_and_saveexec_b64 s[22:23], s[92:93]
	s_cbranch_execz .LBB4_240
; %bb.237:                              ;   in Loop: Header=BB4_126 Depth=2
	v_bfe_u32 v2, v18, 16, 7
	v_cmp_ne_u32_e32 vcc, s54, v2
	v_mov_b32_e32 v1, 0x7f800001
	s_and_saveexec_b64 s[92:93], vcc
	s_cbranch_execz .LBB4_239
; %bb.238:                              ;   in Loop: Header=BB4_126 Depth=2
	v_and_b32_e32 v3, 7, v30
	v_ffbh_u32_e32 v1, v3
	v_min_u32_e32 v27, 32, v1
	v_subrev_u32_e32 v1, 28, v27
	v_lshrrev_b32_e32 v26, 3, v2
	v_cmp_gt_u32_e32 vcc, 8, v2
	v_lshlrev_b64 v[1:2], v1, v[30:31]
	v_sub_u32_e32 v2, 29, v27
	v_and_b32_e32 v1, 7, v1
	v_cndmask_b32_e32 v2, v26, v2, vcc
	v_cndmask_b32_e32 v1, v3, v1, vcc
	v_lshlrev_b32_e32 v3, 24, v30
	v_lshlrev_b32_e32 v1, 20, v1
	v_and_b32_e32 v3, 0x80000000, v3
	v_lshl_add_u32 v2, v2, 23, v43
	v_or3_b32 v1, v3, v2, v1
.LBB4_239:                              ;   in Loop: Header=BB4_126 Depth=2
	s_or_b64 exec, exec, s[92:93]
.LBB4_240:                              ;   in Loop: Header=BB4_126 Depth=2
	s_or_b64 exec, exec, s[22:23]
.LBB4_241:                              ;   in Loop: Header=BB4_126 Depth=2
	s_or_b64 exec, exec, s[20:21]
	v_max_f32_e32 v1, v1, v1
	v_max_f32_e32 v0, v0, v0
	v_min_f32_e32 v1, v0, v1
.LBB4_242:                              ;   in Loop: Header=BB4_126 Depth=2
	v_and_b32_e32 v52, 0x7f800000, v1
	v_cmp_ne_u64_e32 vcc, s[72:73], v[52:53]
	buffer_store_dword v5, off, s[0:3], s33 offset:88 ; 4-byte Folded Spill
                                        ; implicit-def: $vgpr5
	s_and_saveexec_b64 s[20:21], vcc
	s_xor_b64 s[22:23], exec, s[20:21]
	s_cbranch_execz .LBB4_256
; %bb.243:                              ;   in Loop: Header=BB4_126 Depth=2
	v_and_b32_e32 v52, 0x7fffffff, v1
	v_cmp_gt_u64_e32 vcc, s[74:75], v[52:53]
	v_and_b32_sdwa v0, v1, s53 dst_sel:DWORD dst_unused:UNUSED_PAD src0_sel:BYTE_3 src1_sel:DWORD
                                        ; implicit-def: $vgpr5
	s_and_saveexec_b64 s[20:21], vcc
	s_xor_b64 s[92:93], exec, s[20:21]
	s_cbranch_execz .LBB4_253
; %bb.244:                              ;   in Loop: Header=BB4_126 Depth=2
	v_mov_b32_e32 v5, 0
	v_cmp_ne_u32_e32 vcc, 0, v1
	s_and_saveexec_b64 s[94:95], vcc
	s_cbranch_execz .LBB4_252
; %bb.245:                              ;   in Loop: Header=BB4_126 Depth=2
	v_and_b32_e32 v3, 0x7fffff, v1
	v_bfe_u32 v1, v1, 23, 8
	v_cmp_gt_u32_e64 s[20:21], s64, v1
	v_sub_u32_e32 v2, 0x79, v1
	v_cmp_eq_u32_e32 vcc, 0, v1
	v_cndmask_b32_e64 v2, 0, v2, s[20:21]
	v_mov_b32_e32 v27, 0x78
	v_or_b32_e32 v26, 0x800000, v3
	v_cndmask_b32_e32 v2, v2, v27, vcc
	v_cndmask_b32_e32 v52, v26, v3, vcc
	v_add_u32_e32 v3, 20, v2
	v_lshlrev_b64 v[26:27], v3, -1
	v_add_u32_e32 v3, 19, v2
	v_lshlrev_b64 v[29:30], v3, 1
	v_lshrrev_b64 v[60:61], v2, v[52:53]
	v_bfi_b32 v27, v27, 0, 0
	v_bfi_b32 v26, v26, 0, v52
	v_cmp_eq_u64_e64 s[20:21], v[26:27], v[29:30]
	v_mov_b32_e32 v62, v61
	v_mov_b32_e32 v61, v60
	s_and_saveexec_b64 s[30:31], s[20:21]
; %bb.246:                              ;   in Loop: Header=BB4_126 Depth=2
	v_bfe_u32 v3, v60, 20, 1
	v_add_co_u32_e64 v3, s[20:21], v60, v3
	v_add_co_u32_e64 v61, s[20:21], -1, v3
; %bb.247:                              ;   in Loop: Header=BB4_126 Depth=2
	s_or_b64 exec, exec, s[30:31]
	v_add_u32_e32 v1, 0xffffff81, v1
	v_cndmask_b32_e32 v1, v1, v49, vcc
	v_lshrrev_b32_e32 v3, 23, v60
	v_add3_u32 v3, v2, v1, v3
	v_add_u32_e32 v2, 6, v3
	v_and_b32_e32 v1, 0xfffff, v61
	v_add_u32_e32 v52, v1, v60
	v_cmp_ne_u32_e32 vcc, 0, v2
                                        ; implicit-def: $vgpr60_vgpr61
                                        ; implicit-def: $vgpr1
	s_and_saveexec_b64 s[20:21], vcc
	s_xor_b64 s[20:21], exec, s[20:21]
; %bb.248:                              ;   in Loop: Header=BB4_126 Depth=2
	v_cmp_lt_u64_e32 vcc, s[76:77], v[52:53]
	v_add_u32_e32 v1, 7, v3
	v_cndmask_b32_e32 v1, v2, v1, vcc
	v_cndmask_b32_e64 v2, 0, 1, vcc
	v_lshrrev_b64 v[60:61], v2, v[52:53]
; %bb.249:                              ;   in Loop: Header=BB4_126 Depth=2
	s_andn2_saveexec_b64 s[20:21], s[20:21]
; %bb.250:                              ;   in Loop: Header=BB4_126 Depth=2
	v_mov_b32_e32 v61, v53
	v_bfe_u32 v1, v52, 23, 1
	v_mov_b32_e32 v60, v52
; %bb.251:                              ;   in Loop: Header=BB4_126 Depth=2
	s_or_b64 exec, exec, s[20:21]
	v_lshrrev_b64 v[2:3], 20, v[60:61]
	v_cmp_gt_i32_e32 vcc, 16, v1
	v_cndmask_b32_e32 v3, 0, v3, vcc
	v_cndmask_b32_e32 v2, 7, v2, vcc
	v_cmp_eq_u32_e32 vcc, 0, v1
	v_min_i32_e32 v1, 15, v1
	v_cmp_eq_u64_e64 s[20:21], 0, v[2:3]
	v_lshlrev_b32_e32 v1, 3, v1
	v_and_b32_e32 v1, 0xf8, v1
	v_and_or_b32 v1, v2, 7, v1
	s_and_b64 s[20:21], vcc, s[20:21]
	v_cndmask_b32_e64 v1, v1, 0, s[20:21]
	v_or_b32_e32 v5, v1, v0
.LBB4_252:                              ;   in Loop: Header=BB4_126 Depth=2
	s_or_b64 exec, exec, s[94:95]
                                        ; implicit-def: $vgpr0
.LBB4_253:                              ;   in Loop: Header=BB4_126 Depth=2
	s_andn2_saveexec_b64 s[20:21], s[92:93]
; %bb.254:                              ;   in Loop: Header=BB4_126 Depth=2
	v_or_b32_e32 v5, 0x7e, v0
; %bb.255:                              ;   in Loop: Header=BB4_126 Depth=2
	s_or_b64 exec, exec, s[20:21]
                                        ; implicit-def: $vgpr1
.LBB4_256:                              ;   in Loop: Header=BB4_126 Depth=2
	s_andn2_saveexec_b64 s[20:21], s[22:23]
; %bb.257:                              ;   in Loop: Header=BB4_126 Depth=2
	v_or_b32_sdwa v5, v1, s54 dst_sel:DWORD dst_unused:UNUSED_PAD src0_sel:BYTE_3 src1_sel:DWORD
; %bb.258:                              ;   in Loop: Header=BB4_126 Depth=2
	s_or_b64 exec, exec, s[20:21]
	v_lshrrev_b32_e32 v52, 24, v22
	v_lshrrev_b32_e32 v30, 24, v18
	v_cmp_lt_u32_e64 s[20:21], s79, v22
	s_mov_b64 s[22:23], -1
	s_and_b64 vcc, exec, s[28:29]
                                        ; implicit-def: $vgpr1
	s_cbranch_vccz .LBB4_272
; %bb.259:                              ;   in Loop: Header=BB4_126 Depth=2
	v_mov_b32_e32 v1, 0
	v_mov_b32_e32 v0, 0
	s_and_saveexec_b64 s[22:23], s[20:21]
	s_cbranch_execz .LBB4_265
; %bb.260:                              ;   in Loop: Header=BB4_126 Depth=2
	v_cmp_ne_u32_e32 vcc, s53, v52
	v_bfrev_b32_e32 v0, 1
	s_and_saveexec_b64 s[92:93], vcc
	s_cbranch_execz .LBB4_264
; %bb.261:                              ;   in Loop: Header=BB4_126 Depth=2
	v_bfe_u32 v2, v22, 24, 7
	v_cmp_ne_u32_e32 vcc, s54, v2
	v_mov_b32_e32 v0, 0x7f800001
	s_and_saveexec_b64 s[94:95], vcc
	s_cbranch_execz .LBB4_263
; %bb.262:                              ;   in Loop: Header=BB4_126 Depth=2
	v_and_b32_e32 v0, 7, v52
	v_lshrrev_b32_e32 v26, 3, v2
	v_cmp_gt_u32_e32 vcc, 8, v2
	v_ffbh_u32_e32 v2, v0
	v_min_u32_e32 v27, 32, v2
	v_subrev_u32_e32 v2, 28, v27
	v_lshlrev_b64 v[2:3], v2, v[52:53]
	v_sub_u32_e32 v3, 29, v27
	v_and_b32_e32 v2, 7, v2
	v_cndmask_b32_e32 v3, v26, v3, vcc
	v_cndmask_b32_e32 v0, v0, v2, vcc
	v_lshlrev_b32_e32 v2, 24, v52
	v_lshlrev_b32_e32 v0, 20, v0
	v_and_b32_e32 v2, 0x80000000, v2
	v_lshl_add_u32 v3, v3, 23, v43
	v_or3_b32 v0, v2, v3, v0
.LBB4_263:                              ;   in Loop: Header=BB4_126 Depth=2
	s_or_b64 exec, exec, s[94:95]
.LBB4_264:                              ;   in Loop: Header=BB4_126 Depth=2
	s_or_b64 exec, exec, s[92:93]
.LBB4_265:                              ;   in Loop: Header=BB4_126 Depth=2
	s_or_b64 exec, exec, s[22:23]
	v_cmp_lt_u32_e32 vcc, s79, v18
	s_and_saveexec_b64 s[22:23], vcc
	s_cbranch_execz .LBB4_271
; %bb.266:                              ;   in Loop: Header=BB4_126 Depth=2
	v_cmp_ne_u32_e32 vcc, s53, v30
	v_bfrev_b32_e32 v1, 1
	s_and_saveexec_b64 s[92:93], vcc
	s_cbranch_execz .LBB4_270
; %bb.267:                              ;   in Loop: Header=BB4_126 Depth=2
	v_bfe_u32 v2, v18, 24, 7
	v_cmp_ne_u32_e32 vcc, s54, v2
	v_mov_b32_e32 v1, 0x7f800001
	s_and_saveexec_b64 s[94:95], vcc
	s_cbranch_execz .LBB4_269
; %bb.268:                              ;   in Loop: Header=BB4_126 Depth=2
	v_and_b32_e32 v3, 7, v30
	v_ffbh_u32_e32 v1, v3
	v_min_u32_e32 v27, 32, v1
	v_subrev_u32_e32 v1, 28, v27
	v_lshrrev_b32_e32 v26, 3, v2
	v_cmp_gt_u32_e32 vcc, 8, v2
	v_lshlrev_b64 v[1:2], v1, v[30:31]
	v_sub_u32_e32 v2, 29, v27
	v_and_b32_e32 v1, 7, v1
	v_cndmask_b32_e32 v2, v26, v2, vcc
	v_cndmask_b32_e32 v1, v3, v1, vcc
	v_lshlrev_b32_e32 v3, 24, v30
	v_lshlrev_b32_e32 v1, 20, v1
	v_and_b32_e32 v3, 0x80000000, v3
	v_lshl_add_u32 v2, v2, 23, v43
	v_or3_b32 v1, v3, v2, v1
.LBB4_269:                              ;   in Loop: Header=BB4_126 Depth=2
	s_or_b64 exec, exec, s[94:95]
.LBB4_270:                              ;   in Loop: Header=BB4_126 Depth=2
	s_or_b64 exec, exec, s[92:93]
.LBB4_271:                              ;   in Loop: Header=BB4_126 Depth=2
	s_or_b64 exec, exec, s[22:23]
	v_max_f32_e32 v1, v1, v1
	v_max_f32_e32 v0, v0, v0
	;; [unrolled: 1-line block ×3, first 2 shown]
	s_mov_b64 s[22:23], 0
.LBB4_272:                              ;   in Loop: Header=BB4_126 Depth=2
	s_and_b64 vcc, exec, s[22:23]
	s_cbranch_vccz .LBB4_286
; %bb.273:                              ;   in Loop: Header=BB4_126 Depth=2
	v_mov_b32_e32 v1, 0
	v_mov_b32_e32 v0, 0
	s_and_saveexec_b64 s[22:23], s[20:21]
	s_cbranch_execz .LBB4_279
; %bb.274:                              ;   in Loop: Header=BB4_126 Depth=2
	v_cmp_ne_u32_e32 vcc, s53, v52
	v_bfrev_b32_e32 v0, 1
	s_and_saveexec_b64 s[20:21], vcc
	s_cbranch_execz .LBB4_278
; %bb.275:                              ;   in Loop: Header=BB4_126 Depth=2
	v_bfe_u32 v2, v22, 24, 7
	v_cmp_ne_u32_e32 vcc, s54, v2
	v_mov_b32_e32 v0, 0x7f800001
	s_and_saveexec_b64 s[92:93], vcc
	s_cbranch_execz .LBB4_277
; %bb.276:                              ;   in Loop: Header=BB4_126 Depth=2
	v_and_b32_e32 v0, 7, v52
	v_lshrrev_b32_e32 v26, 3, v2
	v_cmp_gt_u32_e32 vcc, 8, v2
	v_ffbh_u32_e32 v2, v0
	v_min_u32_e32 v27, 32, v2
	v_subrev_u32_e32 v2, 28, v27
	v_lshlrev_b64 v[2:3], v2, v[52:53]
	v_sub_u32_e32 v3, 29, v27
	v_and_b32_e32 v2, 7, v2
	v_cndmask_b32_e32 v3, v26, v3, vcc
	v_cndmask_b32_e32 v0, v0, v2, vcc
	v_lshlrev_b32_e32 v2, 24, v52
	v_lshlrev_b32_e32 v0, 20, v0
	v_and_b32_e32 v2, 0x80000000, v2
	v_lshl_add_u32 v3, v3, 23, v43
	v_or3_b32 v0, v2, v3, v0
.LBB4_277:                              ;   in Loop: Header=BB4_126 Depth=2
	s_or_b64 exec, exec, s[92:93]
.LBB4_278:                              ;   in Loop: Header=BB4_126 Depth=2
	s_or_b64 exec, exec, s[20:21]
.LBB4_279:                              ;   in Loop: Header=BB4_126 Depth=2
	s_or_b64 exec, exec, s[22:23]
	v_cmp_lt_u32_e32 vcc, s79, v18
	s_and_saveexec_b64 s[20:21], vcc
	s_cbranch_execz .LBB4_285
; %bb.280:                              ;   in Loop: Header=BB4_126 Depth=2
	v_cmp_ne_u32_e32 vcc, s53, v30
	v_bfrev_b32_e32 v1, 1
	s_and_saveexec_b64 s[22:23], vcc
	s_cbranch_execz .LBB4_284
; %bb.281:                              ;   in Loop: Header=BB4_126 Depth=2
	v_bfe_u32 v2, v18, 24, 7
	v_cmp_ne_u32_e32 vcc, s54, v2
	v_mov_b32_e32 v1, 0x7f800001
	s_and_saveexec_b64 s[92:93], vcc
	s_cbranch_execz .LBB4_283
; %bb.282:                              ;   in Loop: Header=BB4_126 Depth=2
	v_and_b32_e32 v3, 7, v30
	v_ffbh_u32_e32 v1, v3
	v_min_u32_e32 v27, 32, v1
	v_subrev_u32_e32 v1, 28, v27
	v_lshrrev_b32_e32 v26, 3, v2
	v_cmp_gt_u32_e32 vcc, 8, v2
	v_lshlrev_b64 v[1:2], v1, v[30:31]
	v_sub_u32_e32 v2, 29, v27
	v_and_b32_e32 v1, 7, v1
	v_cndmask_b32_e32 v2, v26, v2, vcc
	v_cndmask_b32_e32 v1, v3, v1, vcc
	v_lshlrev_b32_e32 v3, 24, v30
	v_lshlrev_b32_e32 v1, 20, v1
	v_and_b32_e32 v3, 0x80000000, v3
	v_lshl_add_u32 v2, v2, 23, v43
	v_or3_b32 v1, v3, v2, v1
.LBB4_283:                              ;   in Loop: Header=BB4_126 Depth=2
	s_or_b64 exec, exec, s[92:93]
.LBB4_284:                              ;   in Loop: Header=BB4_126 Depth=2
	s_or_b64 exec, exec, s[22:23]
.LBB4_285:                              ;   in Loop: Header=BB4_126 Depth=2
	s_or_b64 exec, exec, s[20:21]
	v_max_f32_e32 v1, v1, v1
	v_max_f32_e32 v0, v0, v0
	v_min_f32_e32 v1, v0, v1
.LBB4_286:                              ;   in Loop: Header=BB4_126 Depth=2
	v_and_b32_e32 v52, 0x7f800000, v1
	v_cmp_ne_u64_e32 vcc, s[72:73], v[52:53]
                                        ; implicit-def: $vgpr45
	s_and_saveexec_b64 s[20:21], vcc
	s_xor_b64 s[22:23], exec, s[20:21]
	s_cbranch_execz .LBB4_300
; %bb.287:                              ;   in Loop: Header=BB4_126 Depth=2
	v_and_b32_e32 v52, 0x7fffffff, v1
	v_cmp_gt_u64_e32 vcc, s[74:75], v[52:53]
	v_and_b32_sdwa v0, v1, s53 dst_sel:DWORD dst_unused:UNUSED_PAD src0_sel:BYTE_3 src1_sel:DWORD
                                        ; implicit-def: $vgpr45
	s_and_saveexec_b64 s[20:21], vcc
	s_xor_b64 s[92:93], exec, s[20:21]
	s_cbranch_execz .LBB4_297
; %bb.288:                              ;   in Loop: Header=BB4_126 Depth=2
	v_mov_b32_e32 v45, 0
	v_cmp_ne_u32_e32 vcc, 0, v1
	s_and_saveexec_b64 s[94:95], vcc
	s_cbranch_execz .LBB4_296
; %bb.289:                              ;   in Loop: Header=BB4_126 Depth=2
	v_and_b32_e32 v3, 0x7fffff, v1
	v_bfe_u32 v1, v1, 23, 8
	v_cmp_gt_u32_e64 s[20:21], s64, v1
	v_sub_u32_e32 v2, 0x79, v1
	v_cmp_eq_u32_e32 vcc, 0, v1
	v_cndmask_b32_e64 v2, 0, v2, s[20:21]
	v_mov_b32_e32 v27, 0x78
	v_or_b32_e32 v26, 0x800000, v3
	v_cndmask_b32_e32 v2, v2, v27, vcc
	v_cndmask_b32_e32 v52, v26, v3, vcc
	v_add_u32_e32 v3, 20, v2
	v_lshlrev_b64 v[26:27], v3, -1
	v_add_u32_e32 v3, 19, v2
	v_lshlrev_b64 v[29:30], v3, 1
	v_lshrrev_b64 v[60:61], v2, v[52:53]
	v_bfi_b32 v27, v27, 0, 0
	v_bfi_b32 v26, v26, 0, v52
	v_cmp_eq_u64_e64 s[20:21], v[26:27], v[29:30]
	v_mov_b32_e32 v62, v61
	v_mov_b32_e32 v61, v60
	s_and_saveexec_b64 s[30:31], s[20:21]
; %bb.290:                              ;   in Loop: Header=BB4_126 Depth=2
	v_bfe_u32 v3, v60, 20, 1
	v_add_co_u32_e64 v3, s[20:21], v60, v3
	v_add_co_u32_e64 v61, s[20:21], -1, v3
; %bb.291:                              ;   in Loop: Header=BB4_126 Depth=2
	s_or_b64 exec, exec, s[30:31]
	v_add_u32_e32 v1, 0xffffff81, v1
	v_cndmask_b32_e32 v1, v1, v49, vcc
	v_lshrrev_b32_e32 v3, 23, v60
	v_add3_u32 v3, v2, v1, v3
	v_add_u32_e32 v2, 6, v3
	v_and_b32_e32 v1, 0xfffff, v61
	v_add_u32_e32 v52, v1, v60
	v_cmp_ne_u32_e32 vcc, 0, v2
                                        ; implicit-def: $vgpr60_vgpr61
                                        ; implicit-def: $vgpr1
	s_and_saveexec_b64 s[20:21], vcc
	s_xor_b64 s[20:21], exec, s[20:21]
; %bb.292:                              ;   in Loop: Header=BB4_126 Depth=2
	v_cmp_lt_u64_e32 vcc, s[76:77], v[52:53]
	v_add_u32_e32 v1, 7, v3
	v_cndmask_b32_e32 v1, v2, v1, vcc
	v_cndmask_b32_e64 v2, 0, 1, vcc
	v_lshrrev_b64 v[60:61], v2, v[52:53]
; %bb.293:                              ;   in Loop: Header=BB4_126 Depth=2
	s_andn2_saveexec_b64 s[20:21], s[20:21]
; %bb.294:                              ;   in Loop: Header=BB4_126 Depth=2
	v_mov_b32_e32 v61, v53
	v_bfe_u32 v1, v52, 23, 1
	v_mov_b32_e32 v60, v52
; %bb.295:                              ;   in Loop: Header=BB4_126 Depth=2
	s_or_b64 exec, exec, s[20:21]
	v_lshrrev_b64 v[2:3], 20, v[60:61]
	v_cmp_gt_i32_e32 vcc, 16, v1
	v_cndmask_b32_e32 v3, 0, v3, vcc
	v_cndmask_b32_e32 v2, 7, v2, vcc
	v_cmp_eq_u32_e32 vcc, 0, v1
	v_min_i32_e32 v1, 15, v1
	v_cmp_eq_u64_e64 s[20:21], 0, v[2:3]
	v_lshlrev_b32_e32 v1, 3, v1
	v_and_b32_e32 v1, 0xf8, v1
	v_and_or_b32 v1, v2, 7, v1
	s_and_b64 s[20:21], vcc, s[20:21]
	v_cndmask_b32_e64 v1, v1, 0, s[20:21]
	v_or_b32_e32 v45, v1, v0
.LBB4_296:                              ;   in Loop: Header=BB4_126 Depth=2
	s_or_b64 exec, exec, s[94:95]
                                        ; implicit-def: $vgpr0
.LBB4_297:                              ;   in Loop: Header=BB4_126 Depth=2
	s_andn2_saveexec_b64 s[20:21], s[92:93]
; %bb.298:                              ;   in Loop: Header=BB4_126 Depth=2
	v_or_b32_e32 v45, 0x7e, v0
; %bb.299:                              ;   in Loop: Header=BB4_126 Depth=2
	s_or_b64 exec, exec, s[20:21]
                                        ; implicit-def: $vgpr1
.LBB4_300:                              ;   in Loop: Header=BB4_126 Depth=2
	s_andn2_saveexec_b64 s[20:21], s[22:23]
; %bb.301:                              ;   in Loop: Header=BB4_126 Depth=2
	v_or_b32_sdwa v45, v1, s54 dst_sel:DWORD dst_unused:UNUSED_PAD src0_sel:BYTE_3 src1_sel:DWORD
; %bb.302:                              ;   in Loop: Header=BB4_126 Depth=2
	s_or_b64 exec, exec, s[20:21]
	v_mov_b32_e32 v52, v23
	v_mov_b32_e32 v60, v19
	;; [unrolled: 1-line block ×3, first 2 shown]
	v_cmp_ne_u16_sdwa s[20:21], v23, v53 src0_sel:BYTE_0 src1_sel:DWORD
	s_mov_b64 s[22:23], -1
	s_and_b64 vcc, exec, s[28:29]
                                        ; implicit-def: $vgpr1
	s_cbranch_vccz .LBB4_316
; %bb.303:                              ;   in Loop: Header=BB4_126 Depth=2
	v_mov_b32_e32 v1, 0
	v_mov_b32_e32 v0, 0
	s_and_saveexec_b64 s[22:23], s[20:21]
	s_cbranch_execz .LBB4_309
; %bb.304:                              ;   in Loop: Header=BB4_126 Depth=2
	v_cmp_ne_u16_sdwa s[94:95], v23, s53 src0_sel:BYTE_0 src1_sel:DWORD
	v_bfrev_b32_e32 v0, 1
	s_and_saveexec_b64 s[92:93], s[94:95]
	s_cbranch_execz .LBB4_308
; %bb.305:                              ;   in Loop: Header=BB4_126 Depth=2
	v_and_b32_e32 v2, 0x7f, v23
	v_cmp_ne_u32_e32 vcc, s54, v2
	v_mov_b32_e32 v0, 0x7f800001
	s_and_saveexec_b64 s[94:95], vcc
	s_cbranch_execz .LBB4_307
; %bb.306:                              ;   in Loop: Header=BB4_126 Depth=2
	v_and_b32_e32 v0, 7, v23
	v_ffbh_u32_e32 v0, v0
	v_min_u32_e32 v0, 32, v0
	v_lshrrev_b32_e32 v3, 3, v2
	v_cmp_gt_u32_e32 vcc, 8, v2
	v_subrev_u32_e32 v2, 28, v0
	v_sub_u32_e32 v0, 29, v0
	v_cndmask_b32_e32 v2, 0, v2, vcc
	v_cndmask_b32_e32 v0, v3, v0, vcc
	v_lshlrev_b64 v[2:3], v2, v[52:53]
	v_lshlrev_b32_e32 v3, 24, v52
	v_lshlrev_b32_e32 v2, 20, v2
	v_and_b32_e32 v2, 0x700000, v2
	v_and_b32_e32 v3, 0x80000000, v3
	v_lshl_add_u32 v0, v0, 23, v43
	v_or3_b32 v0, v3, v0, v2
.LBB4_307:                              ;   in Loop: Header=BB4_126 Depth=2
	s_or_b64 exec, exec, s[94:95]
.LBB4_308:                              ;   in Loop: Header=BB4_126 Depth=2
	s_or_b64 exec, exec, s[92:93]
.LBB4_309:                              ;   in Loop: Header=BB4_126 Depth=2
	s_or_b64 exec, exec, s[22:23]
	v_cmp_ne_u16_sdwa s[92:93], v19, v53 src0_sel:BYTE_0 src1_sel:DWORD
	s_and_saveexec_b64 s[22:23], s[92:93]
	s_cbranch_execz .LBB4_315
; %bb.310:                              ;   in Loop: Header=BB4_126 Depth=2
	v_cmp_ne_u16_sdwa s[94:95], v19, s53 src0_sel:BYTE_0 src1_sel:DWORD
	v_bfrev_b32_e32 v1, 1
	s_and_saveexec_b64 s[92:93], s[94:95]
	s_cbranch_execz .LBB4_314
; %bb.311:                              ;   in Loop: Header=BB4_126 Depth=2
	v_and_b32_e32 v2, 0x7f, v19
	v_cmp_ne_u32_e32 vcc, s54, v2
	v_mov_b32_e32 v1, 0x7f800001
	s_and_saveexec_b64 s[94:95], vcc
	s_cbranch_execz .LBB4_313
; %bb.312:                              ;   in Loop: Header=BB4_126 Depth=2
	v_and_b32_e32 v1, 7, v19
	v_ffbh_u32_e32 v1, v1
	v_min_u32_e32 v1, 32, v1
	v_lshrrev_b32_e32 v3, 3, v2
	v_cmp_gt_u32_e32 vcc, 8, v2
	v_subrev_u32_e32 v2, 28, v1
	v_sub_u32_e32 v1, 29, v1
	v_cndmask_b32_e32 v3, v3, v1, vcc
	v_cndmask_b32_e32 v1, 0, v2, vcc
	v_lshlrev_b64 v[1:2], v1, v[60:61]
	v_lshlrev_b32_e32 v2, 24, v60
	v_lshlrev_b32_e32 v1, 20, v1
	v_and_b32_e32 v1, 0x700000, v1
	v_and_b32_e32 v2, 0x80000000, v2
	v_lshl_add_u32 v3, v3, 23, v43
	v_or3_b32 v1, v2, v3, v1
.LBB4_313:                              ;   in Loop: Header=BB4_126 Depth=2
	s_or_b64 exec, exec, s[94:95]
.LBB4_314:                              ;   in Loop: Header=BB4_126 Depth=2
	s_or_b64 exec, exec, s[92:93]
.LBB4_315:                              ;   in Loop: Header=BB4_126 Depth=2
	s_or_b64 exec, exec, s[22:23]
	v_max_f32_e32 v1, v1, v1
	v_max_f32_e32 v0, v0, v0
	;; [unrolled: 1-line block ×3, first 2 shown]
	s_mov_b64 s[22:23], 0
.LBB4_316:                              ;   in Loop: Header=BB4_126 Depth=2
	s_and_b64 vcc, exec, s[22:23]
	s_cbranch_vccz .LBB4_330
; %bb.317:                              ;   in Loop: Header=BB4_126 Depth=2
	v_mov_b32_e32 v1, 0
	v_mov_b32_e32 v0, 0
	s_and_saveexec_b64 s[22:23], s[20:21]
	s_cbranch_execz .LBB4_323
; %bb.318:                              ;   in Loop: Header=BB4_126 Depth=2
	v_cmp_ne_u16_sdwa s[92:93], v23, s53 src0_sel:BYTE_0 src1_sel:DWORD
	v_bfrev_b32_e32 v0, 1
	s_and_saveexec_b64 s[20:21], s[92:93]
	s_cbranch_execz .LBB4_322
; %bb.319:                              ;   in Loop: Header=BB4_126 Depth=2
	v_and_b32_e32 v2, 0x7f, v23
	v_cmp_ne_u32_e32 vcc, s54, v2
	v_mov_b32_e32 v0, 0x7f800001
	s_and_saveexec_b64 s[92:93], vcc
	s_cbranch_execz .LBB4_321
; %bb.320:                              ;   in Loop: Header=BB4_126 Depth=2
	v_and_b32_e32 v0, 7, v23
	v_ffbh_u32_e32 v0, v0
	v_min_u32_e32 v0, 32, v0
	v_lshrrev_b32_e32 v3, 3, v2
	v_cmp_gt_u32_e32 vcc, 8, v2
	v_subrev_u32_e32 v2, 28, v0
	v_sub_u32_e32 v0, 29, v0
	v_cndmask_b32_e32 v2, 0, v2, vcc
	v_cndmask_b32_e32 v0, v3, v0, vcc
	v_lshlrev_b64 v[2:3], v2, v[52:53]
	v_lshlrev_b32_e32 v3, 24, v52
	v_lshlrev_b32_e32 v2, 20, v2
	v_and_b32_e32 v2, 0x700000, v2
	v_and_b32_e32 v3, 0x80000000, v3
	v_lshl_add_u32 v0, v0, 23, v43
	v_or3_b32 v0, v3, v0, v2
.LBB4_321:                              ;   in Loop: Header=BB4_126 Depth=2
	s_or_b64 exec, exec, s[92:93]
.LBB4_322:                              ;   in Loop: Header=BB4_126 Depth=2
	s_or_b64 exec, exec, s[20:21]
.LBB4_323:                              ;   in Loop: Header=BB4_126 Depth=2
	s_or_b64 exec, exec, s[22:23]
	v_cmp_ne_u16_sdwa s[22:23], v19, v53 src0_sel:BYTE_0 src1_sel:DWORD
	s_and_saveexec_b64 s[20:21], s[22:23]
	s_cbranch_execz .LBB4_329
; %bb.324:                              ;   in Loop: Header=BB4_126 Depth=2
	v_cmp_ne_u16_sdwa s[92:93], v19, s53 src0_sel:BYTE_0 src1_sel:DWORD
	v_bfrev_b32_e32 v1, 1
	s_and_saveexec_b64 s[22:23], s[92:93]
	s_cbranch_execz .LBB4_328
; %bb.325:                              ;   in Loop: Header=BB4_126 Depth=2
	v_and_b32_e32 v2, 0x7f, v19
	v_cmp_ne_u32_e32 vcc, s54, v2
	v_mov_b32_e32 v1, 0x7f800001
	s_and_saveexec_b64 s[92:93], vcc
	s_cbranch_execz .LBB4_327
; %bb.326:                              ;   in Loop: Header=BB4_126 Depth=2
	v_and_b32_e32 v1, 7, v19
	v_ffbh_u32_e32 v1, v1
	v_min_u32_e32 v1, 32, v1
	v_lshrrev_b32_e32 v3, 3, v2
	v_cmp_gt_u32_e32 vcc, 8, v2
	v_subrev_u32_e32 v2, 28, v1
	v_sub_u32_e32 v1, 29, v1
	v_cndmask_b32_e32 v3, v3, v1, vcc
	v_cndmask_b32_e32 v1, 0, v2, vcc
	v_lshlrev_b64 v[1:2], v1, v[60:61]
	v_lshlrev_b32_e32 v2, 24, v60
	v_lshlrev_b32_e32 v1, 20, v1
	v_and_b32_e32 v1, 0x700000, v1
	v_and_b32_e32 v2, 0x80000000, v2
	v_lshl_add_u32 v3, v3, 23, v43
	v_or3_b32 v1, v2, v3, v1
.LBB4_327:                              ;   in Loop: Header=BB4_126 Depth=2
	s_or_b64 exec, exec, s[92:93]
.LBB4_328:                              ;   in Loop: Header=BB4_126 Depth=2
	s_or_b64 exec, exec, s[22:23]
.LBB4_329:                              ;   in Loop: Header=BB4_126 Depth=2
	s_or_b64 exec, exec, s[20:21]
	v_max_f32_e32 v1, v1, v1
	v_max_f32_e32 v0, v0, v0
	v_min_f32_e32 v1, v0, v1
.LBB4_330:                              ;   in Loop: Header=BB4_126 Depth=2
	v_and_b32_e32 v2, 0x7f800000, v1
	v_mov_b32_e32 v3, v53
	v_cmp_ne_u64_e32 vcc, s[72:73], v[2:3]
                                        ; implicit-def: $vgpr62
	s_and_saveexec_b64 s[20:21], vcc
	s_xor_b64 s[22:23], exec, s[20:21]
	s_cbranch_execz .LBB4_344
; %bb.331:                              ;   in Loop: Header=BB4_126 Depth=2
	v_and_b32_e32 v2, 0x7fffffff, v1
	v_mov_b32_e32 v3, v53
	v_cmp_gt_u64_e32 vcc, s[74:75], v[2:3]
	v_and_b32_sdwa v0, v1, s53 dst_sel:DWORD dst_unused:UNUSED_PAD src0_sel:BYTE_3 src1_sel:DWORD
                                        ; implicit-def: $vgpr62
	s_and_saveexec_b64 s[20:21], vcc
	s_xor_b64 s[92:93], exec, s[20:21]
	s_cbranch_execz .LBB4_341
; %bb.332:                              ;   in Loop: Header=BB4_126 Depth=2
	v_mov_b32_e32 v62, 0
	v_cmp_ne_u32_e32 vcc, 0, v1
	s_and_saveexec_b64 s[94:95], vcc
	s_cbranch_execz .LBB4_340
; %bb.333:                              ;   in Loop: Header=BB4_126 Depth=2
	v_and_b32_e32 v2, 0x7fffff, v1
	v_bfe_u32 v1, v1, 23, 8
	v_cmp_gt_u32_e64 s[20:21], s64, v1
	v_sub_u32_e32 v3, 0x79, v1
	v_cmp_eq_u32_e32 vcc, 0, v1
	v_cndmask_b32_e64 v3, 0, v3, s[20:21]
	v_mov_b32_e32 v26, 0x78
	v_or_b32_e32 v27, 0x800000, v2
	v_cndmask_b32_e32 v26, v3, v26, vcc
	v_cndmask_b32_e32 v2, v27, v2, vcc
	v_add_u32_e32 v27, 20, v26
	v_lshlrev_b64 v[29:30], v27, -1
	v_add_u32_e32 v27, 19, v26
	v_mov_b32_e32 v3, v53
	v_lshlrev_b64 v[34:35], v27, 1
	v_bfi_b32 v30, v30, 0, 0
	v_bfi_b32 v29, v29, 0, v2
	v_lshrrev_b64 v[61:62], v26, v[2:3]
	v_cmp_eq_u64_e64 s[20:21], v[29:30], v[34:35]
	v_mov_b32_e32 v2, v61
	v_mov_b32_e32 v3, v62
	s_and_saveexec_b64 s[30:31], s[20:21]
; %bb.334:                              ;   in Loop: Header=BB4_126 Depth=2
	v_bfe_u32 v2, v61, 20, 1
	v_add_co_u32_e64 v2, s[20:21], v61, v2
	v_add_co_u32_e64 v2, s[20:21], -1, v2
; %bb.335:                              ;   in Loop: Header=BB4_126 Depth=2
	s_or_b64 exec, exec, s[30:31]
	v_add_u32_e32 v1, 0xffffff81, v1
	v_cndmask_b32_e32 v1, v1, v49, vcc
	v_lshrrev_b32_e32 v3, 23, v61
	v_add3_u32 v26, v26, v1, v3
	v_add_u32_e32 v3, 6, v26
	v_and_b32_e32 v1, 0xfffff, v2
	v_add_u32_e32 v61, v1, v61
	v_mov_b32_e32 v62, v53
	v_cmp_ne_u32_e32 vcc, 0, v3
                                        ; implicit-def: $vgpr1
	s_and_saveexec_b64 s[20:21], vcc
	s_xor_b64 s[20:21], exec, s[20:21]
; %bb.336:                              ;   in Loop: Header=BB4_126 Depth=2
	v_cmp_lt_u64_e32 vcc, s[76:77], v[61:62]
	v_add_u32_e32 v1, 7, v26
	v_cndmask_b32_e64 v2, 0, 1, vcc
	v_cndmask_b32_e32 v1, v3, v1, vcc
	v_lshrrev_b64 v[61:62], v2, v[61:62]
; %bb.337:                              ;   in Loop: Header=BB4_126 Depth=2
	s_andn2_saveexec_b64 s[20:21], s[20:21]
; %bb.338:                              ;   in Loop: Header=BB4_126 Depth=2
	v_bfe_u32 v1, v61, 23, 1
; %bb.339:                              ;   in Loop: Header=BB4_126 Depth=2
	s_or_b64 exec, exec, s[20:21]
	v_lshrrev_b64 v[2:3], 20, v[61:62]
	v_cmp_gt_i32_e32 vcc, 16, v1
	v_cndmask_b32_e32 v3, 0, v3, vcc
	v_cndmask_b32_e32 v2, 7, v2, vcc
	v_cmp_eq_u32_e32 vcc, 0, v1
	v_min_i32_e32 v1, 15, v1
	v_cmp_eq_u64_e64 s[20:21], 0, v[2:3]
	v_lshlrev_b32_e32 v1, 3, v1
	v_and_b32_e32 v1, 0xf8, v1
	v_and_or_b32 v1, v2, 7, v1
	s_and_b64 s[20:21], vcc, s[20:21]
	v_cndmask_b32_e64 v1, v1, 0, s[20:21]
	v_or_b32_e32 v62, v1, v0
.LBB4_340:                              ;   in Loop: Header=BB4_126 Depth=2
	s_or_b64 exec, exec, s[94:95]
                                        ; implicit-def: $vgpr0
.LBB4_341:                              ;   in Loop: Header=BB4_126 Depth=2
	s_andn2_saveexec_b64 s[20:21], s[92:93]
; %bb.342:                              ;   in Loop: Header=BB4_126 Depth=2
	v_or_b32_e32 v62, 0x7e, v0
; %bb.343:                              ;   in Loop: Header=BB4_126 Depth=2
	s_or_b64 exec, exec, s[20:21]
                                        ; implicit-def: $vgpr1
.LBB4_344:                              ;   in Loop: Header=BB4_126 Depth=2
	s_andn2_saveexec_b64 s[20:21], s[22:23]
; %bb.345:                              ;   in Loop: Header=BB4_126 Depth=2
	v_or_b32_sdwa v62, v1, s54 dst_sel:DWORD dst_unused:UNUSED_PAD src0_sel:BYTE_3 src1_sel:DWORD
; %bb.346:                              ;   in Loop: Header=BB4_126 Depth=2
	s_or_b64 exec, exec, s[20:21]
	v_lshrrev_b16_e32 v61, 8, v52
	v_lshrrev_b16_e32 v30, 8, v60
	v_cmp_ne_u16_e64 s[20:21], 0, v61
	s_mov_b64 s[22:23], -1
	s_and_b64 vcc, exec, s[28:29]
                                        ; implicit-def: $vgpr1
	s_cbranch_vccz .LBB4_360
; %bb.347:                              ;   in Loop: Header=BB4_126 Depth=2
	v_mov_b32_e32 v1, 0
	v_mov_b32_e32 v0, 0
	s_and_saveexec_b64 s[22:23], s[20:21]
	s_cbranch_execz .LBB4_353
; %bb.348:                              ;   in Loop: Header=BB4_126 Depth=2
	v_cmp_ne_u16_e32 vcc, s53, v61
	v_bfrev_b32_e32 v0, 1
	s_and_saveexec_b64 s[92:93], vcc
	s_cbranch_execz .LBB4_352
; %bb.349:                              ;   in Loop: Header=BB4_126 Depth=2
	v_and_b32_e32 v2, 0x7f, v61
	v_cmp_ne_u32_e32 vcc, s54, v2
	v_mov_b32_e32 v0, 0x7f800001
	s_and_saveexec_b64 s[94:95], vcc
	s_cbranch_execz .LBB4_351
; %bb.350:                              ;   in Loop: Header=BB4_126 Depth=2
	v_and_b32_e32 v0, 7, v61
	v_lshrrev_b32_e32 v26, 3, v2
	v_cmp_gt_u32_e32 vcc, 8, v2
	v_ffbh_u32_e32 v2, v0
	v_min_u32_e32 v27, 32, v2
	v_subrev_u32_e32 v2, 28, v27
	v_lshlrev_b64 v[2:3], v2, v[61:62]
	v_sub_u32_e32 v3, 29, v27
	v_and_b32_e32 v2, 7, v2
	v_cndmask_b32_e32 v3, v26, v3, vcc
	v_cndmask_b32_e32 v0, v0, v2, vcc
	v_lshlrev_b32_e32 v2, 16, v52
	v_lshlrev_b32_e32 v0, 20, v0
	v_and_b32_e32 v2, 0x80000000, v2
	v_lshl_add_u32 v3, v3, 23, v43
	v_or3_b32 v0, v2, v3, v0
.LBB4_351:                              ;   in Loop: Header=BB4_126 Depth=2
	s_or_b64 exec, exec, s[94:95]
.LBB4_352:                              ;   in Loop: Header=BB4_126 Depth=2
	s_or_b64 exec, exec, s[92:93]
.LBB4_353:                              ;   in Loop: Header=BB4_126 Depth=2
	s_or_b64 exec, exec, s[22:23]
	v_cmp_ne_u16_e32 vcc, 0, v30
	s_and_saveexec_b64 s[22:23], vcc
	s_cbranch_execz .LBB4_359
; %bb.354:                              ;   in Loop: Header=BB4_126 Depth=2
	v_cmp_ne_u16_e32 vcc, s53, v30
	v_bfrev_b32_e32 v1, 1
	s_and_saveexec_b64 s[92:93], vcc
	s_cbranch_execz .LBB4_358
; %bb.355:                              ;   in Loop: Header=BB4_126 Depth=2
	v_and_b32_e32 v2, 0x7f, v30
	v_cmp_ne_u32_e32 vcc, s54, v2
	v_mov_b32_e32 v1, 0x7f800001
	s_and_saveexec_b64 s[94:95], vcc
	s_cbranch_execz .LBB4_357
; %bb.356:                              ;   in Loop: Header=BB4_126 Depth=2
	v_and_b32_e32 v3, 7, v30
	v_ffbh_u32_e32 v1, v3
	v_min_u32_e32 v27, 32, v1
	v_subrev_u32_e32 v1, 28, v27
	v_lshrrev_b32_e32 v26, 3, v2
	v_cmp_gt_u32_e32 vcc, 8, v2
	v_lshlrev_b64 v[1:2], v1, v[30:31]
	v_sub_u32_e32 v2, 29, v27
	v_and_b32_e32 v1, 7, v1
	v_cndmask_b32_e32 v2, v26, v2, vcc
	v_cndmask_b32_e32 v1, v3, v1, vcc
	v_lshlrev_b32_e32 v3, 16, v60
	v_lshlrev_b32_e32 v1, 20, v1
	v_and_b32_e32 v3, 0x80000000, v3
	v_lshl_add_u32 v2, v2, 23, v43
	v_or3_b32 v1, v3, v2, v1
.LBB4_357:                              ;   in Loop: Header=BB4_126 Depth=2
	s_or_b64 exec, exec, s[94:95]
.LBB4_358:                              ;   in Loop: Header=BB4_126 Depth=2
	s_or_b64 exec, exec, s[92:93]
.LBB4_359:                              ;   in Loop: Header=BB4_126 Depth=2
	s_or_b64 exec, exec, s[22:23]
	v_max_f32_e32 v1, v1, v1
	v_max_f32_e32 v0, v0, v0
	;; [unrolled: 1-line block ×3, first 2 shown]
	s_mov_b64 s[22:23], 0
.LBB4_360:                              ;   in Loop: Header=BB4_126 Depth=2
	s_and_b64 vcc, exec, s[22:23]
	s_cbranch_vccz .LBB4_374
; %bb.361:                              ;   in Loop: Header=BB4_126 Depth=2
	v_mov_b32_e32 v1, 0
	v_mov_b32_e32 v0, 0
	s_and_saveexec_b64 s[22:23], s[20:21]
	s_cbranch_execz .LBB4_367
; %bb.362:                              ;   in Loop: Header=BB4_126 Depth=2
	v_cmp_ne_u16_e32 vcc, s53, v61
	v_bfrev_b32_e32 v0, 1
	s_and_saveexec_b64 s[20:21], vcc
	s_cbranch_execz .LBB4_366
; %bb.363:                              ;   in Loop: Header=BB4_126 Depth=2
	v_and_b32_e32 v2, 0x7f, v61
	v_cmp_ne_u32_e32 vcc, s54, v2
	v_mov_b32_e32 v0, 0x7f800001
	s_and_saveexec_b64 s[92:93], vcc
	s_cbranch_execz .LBB4_365
; %bb.364:                              ;   in Loop: Header=BB4_126 Depth=2
	v_and_b32_e32 v0, 7, v61
	v_lshrrev_b32_e32 v26, 3, v2
	v_cmp_gt_u32_e32 vcc, 8, v2
	v_ffbh_u32_e32 v2, v0
	v_min_u32_e32 v27, 32, v2
	v_subrev_u32_e32 v2, 28, v27
	v_lshlrev_b64 v[2:3], v2, v[61:62]
	v_sub_u32_e32 v3, 29, v27
	v_and_b32_e32 v2, 7, v2
	v_cndmask_b32_e32 v3, v26, v3, vcc
	v_cndmask_b32_e32 v0, v0, v2, vcc
	v_lshlrev_b32_e32 v2, 16, v52
	v_lshlrev_b32_e32 v0, 20, v0
	v_and_b32_e32 v2, 0x80000000, v2
	v_lshl_add_u32 v3, v3, 23, v43
	v_or3_b32 v0, v2, v3, v0
.LBB4_365:                              ;   in Loop: Header=BB4_126 Depth=2
	s_or_b64 exec, exec, s[92:93]
.LBB4_366:                              ;   in Loop: Header=BB4_126 Depth=2
	s_or_b64 exec, exec, s[20:21]
.LBB4_367:                              ;   in Loop: Header=BB4_126 Depth=2
	s_or_b64 exec, exec, s[22:23]
	v_cmp_ne_u16_e32 vcc, 0, v30
	s_and_saveexec_b64 s[20:21], vcc
	s_cbranch_execz .LBB4_373
; %bb.368:                              ;   in Loop: Header=BB4_126 Depth=2
	v_cmp_ne_u16_e32 vcc, s53, v30
	v_bfrev_b32_e32 v1, 1
	s_and_saveexec_b64 s[22:23], vcc
	s_cbranch_execz .LBB4_372
; %bb.369:                              ;   in Loop: Header=BB4_126 Depth=2
	v_and_b32_e32 v2, 0x7f, v30
	v_cmp_ne_u32_e32 vcc, s54, v2
	v_mov_b32_e32 v1, 0x7f800001
	s_and_saveexec_b64 s[92:93], vcc
	s_cbranch_execz .LBB4_371
; %bb.370:                              ;   in Loop: Header=BB4_126 Depth=2
	v_and_b32_e32 v3, 7, v30
	v_ffbh_u32_e32 v1, v3
	v_min_u32_e32 v27, 32, v1
	v_subrev_u32_e32 v1, 28, v27
	v_lshrrev_b32_e32 v26, 3, v2
	v_cmp_gt_u32_e32 vcc, 8, v2
	v_lshlrev_b64 v[1:2], v1, v[30:31]
	v_sub_u32_e32 v2, 29, v27
	v_and_b32_e32 v1, 7, v1
	v_cndmask_b32_e32 v2, v26, v2, vcc
	v_cndmask_b32_e32 v1, v3, v1, vcc
	v_lshlrev_b32_e32 v3, 16, v60
	v_lshlrev_b32_e32 v1, 20, v1
	v_and_b32_e32 v3, 0x80000000, v3
	v_lshl_add_u32 v2, v2, 23, v43
	v_or3_b32 v1, v3, v2, v1
.LBB4_371:                              ;   in Loop: Header=BB4_126 Depth=2
	s_or_b64 exec, exec, s[92:93]
.LBB4_372:                              ;   in Loop: Header=BB4_126 Depth=2
	s_or_b64 exec, exec, s[22:23]
.LBB4_373:                              ;   in Loop: Header=BB4_126 Depth=2
	s_or_b64 exec, exec, s[20:21]
	v_max_f32_e32 v1, v1, v1
	v_max_f32_e32 v0, v0, v0
	v_min_f32_e32 v1, v0, v1
.LBB4_374:                              ;   in Loop: Header=BB4_126 Depth=2
	v_and_b32_e32 v52, 0x7f800000, v1
	v_cmp_ne_u64_e32 vcc, s[72:73], v[52:53]
                                        ; implicit-def: $vgpr31
	s_and_saveexec_b64 s[20:21], vcc
	s_xor_b64 s[22:23], exec, s[20:21]
	s_cbranch_execz .LBB4_388
; %bb.375:                              ;   in Loop: Header=BB4_126 Depth=2
	v_and_b32_e32 v52, 0x7fffffff, v1
	v_cmp_gt_u64_e32 vcc, s[74:75], v[52:53]
	v_and_b32_sdwa v0, v1, s53 dst_sel:DWORD dst_unused:UNUSED_PAD src0_sel:BYTE_3 src1_sel:DWORD
                                        ; implicit-def: $vgpr31
	s_and_saveexec_b64 s[20:21], vcc
	s_xor_b64 s[92:93], exec, s[20:21]
	s_cbranch_execz .LBB4_385
; %bb.376:                              ;   in Loop: Header=BB4_126 Depth=2
	v_mov_b32_e32 v31, 0
	v_cmp_ne_u32_e32 vcc, 0, v1
	s_and_saveexec_b64 s[94:95], vcc
	s_cbranch_execz .LBB4_384
; %bb.377:                              ;   in Loop: Header=BB4_126 Depth=2
	v_and_b32_e32 v2, 0x7fffff, v1
	v_bfe_u32 v1, v1, 23, 8
	v_cmp_gt_u32_e64 s[20:21], s64, v1
	v_sub_u32_e32 v3, 0x79, v1
	v_cmp_eq_u32_e32 vcc, 0, v1
	v_cndmask_b32_e64 v3, 0, v3, s[20:21]
	v_mov_b32_e32 v26, 0x78
	v_or_b32_e32 v27, 0x800000, v2
	v_cndmask_b32_e32 v26, v3, v26, vcc
	v_cndmask_b32_e32 v52, v27, v2, vcc
	v_add_u32_e32 v2, 20, v26
	v_lshlrev_b64 v[2:3], v2, -1
	v_add_u32_e32 v27, 19, v26
	v_lshlrev_b64 v[29:30], v27, 1
	v_bfi_b32 v3, v3, 0, 0
	v_bfi_b32 v2, v2, 0, v52
	v_lshrrev_b64 v[60:61], v26, v[52:53]
	v_cmp_eq_u64_e64 s[20:21], v[2:3], v[29:30]
	v_mov_b32_e32 v2, v60
	v_mov_b32_e32 v3, v61
	s_and_saveexec_b64 s[30:31], s[20:21]
; %bb.378:                              ;   in Loop: Header=BB4_126 Depth=2
	v_bfe_u32 v2, v60, 20, 1
	v_add_co_u32_e64 v2, s[20:21], v60, v2
	v_add_co_u32_e64 v2, s[20:21], -1, v2
; %bb.379:                              ;   in Loop: Header=BB4_126 Depth=2
	s_or_b64 exec, exec, s[30:31]
	v_add_u32_e32 v1, 0xffffff81, v1
	v_cndmask_b32_e32 v1, v1, v49, vcc
	v_lshrrev_b32_e32 v3, 23, v60
	v_add3_u32 v26, v26, v1, v3
	v_add_u32_e32 v3, 6, v26
	v_and_b32_e32 v1, 0xfffff, v2
	v_add_u32_e32 v52, v1, v60
	v_cmp_ne_u32_e32 vcc, 0, v3
                                        ; implicit-def: $vgpr60_vgpr61
                                        ; implicit-def: $vgpr1
	s_and_saveexec_b64 s[20:21], vcc
	s_xor_b64 s[20:21], exec, s[20:21]
; %bb.380:                              ;   in Loop: Header=BB4_126 Depth=2
	v_cmp_lt_u64_e32 vcc, s[76:77], v[52:53]
	v_add_u32_e32 v1, 7, v26
	v_cndmask_b32_e64 v2, 0, 1, vcc
	v_cndmask_b32_e32 v1, v3, v1, vcc
	v_lshrrev_b64 v[60:61], v2, v[52:53]
; %bb.381:                              ;   in Loop: Header=BB4_126 Depth=2
	s_andn2_saveexec_b64 s[20:21], s[20:21]
; %bb.382:                              ;   in Loop: Header=BB4_126 Depth=2
	v_mov_b32_e32 v61, v53
	v_bfe_u32 v1, v52, 23, 1
	v_mov_b32_e32 v60, v52
; %bb.383:                              ;   in Loop: Header=BB4_126 Depth=2
	s_or_b64 exec, exec, s[20:21]
	v_lshrrev_b64 v[2:3], 20, v[60:61]
	v_cmp_gt_i32_e32 vcc, 16, v1
	v_cndmask_b32_e32 v3, 0, v3, vcc
	v_cndmask_b32_e32 v2, 7, v2, vcc
	v_cmp_eq_u32_e32 vcc, 0, v1
	v_min_i32_e32 v1, 15, v1
	v_cmp_eq_u64_e64 s[20:21], 0, v[2:3]
	v_lshlrev_b32_e32 v1, 3, v1
	v_and_b32_e32 v1, 0xf8, v1
	v_and_or_b32 v1, v2, 7, v1
	s_and_b64 s[20:21], vcc, s[20:21]
	v_cndmask_b32_e64 v1, v1, 0, s[20:21]
	v_or_b32_e32 v31, v1, v0
.LBB4_384:                              ;   in Loop: Header=BB4_126 Depth=2
	s_or_b64 exec, exec, s[94:95]
                                        ; implicit-def: $vgpr0
.LBB4_385:                              ;   in Loop: Header=BB4_126 Depth=2
	s_andn2_saveexec_b64 s[20:21], s[92:93]
; %bb.386:                              ;   in Loop: Header=BB4_126 Depth=2
	v_or_b32_e32 v31, 0x7e, v0
; %bb.387:                              ;   in Loop: Header=BB4_126 Depth=2
	s_or_b64 exec, exec, s[20:21]
                                        ; implicit-def: $vgpr1
.LBB4_388:                              ;   in Loop: Header=BB4_126 Depth=2
	s_andn2_saveexec_b64 s[20:21], s[22:23]
; %bb.389:                              ;   in Loop: Header=BB4_126 Depth=2
	v_or_b32_sdwa v31, v1, s54 dst_sel:DWORD dst_unused:UNUSED_PAD src0_sel:BYTE_3 src1_sel:DWORD
; %bb.390:                              ;   in Loop: Header=BB4_126 Depth=2
	s_or_b64 exec, exec, s[20:21]
	v_lshrrev_b32_e32 v52, 16, v23
	v_lshrrev_b32_e32 v30, 16, v19
	v_cmp_ne_u16_sdwa s[20:21], v52, v53 src0_sel:BYTE_0 src1_sel:DWORD
	s_mov_b64 s[22:23], -1
	s_and_b64 vcc, exec, s[28:29]
                                        ; implicit-def: $vgpr1
	s_cbranch_vccz .LBB4_404
; %bb.391:                              ;   in Loop: Header=BB4_126 Depth=2
	v_mov_b32_e32 v1, 0
	v_mov_b32_e32 v0, 0
	s_and_saveexec_b64 s[22:23], s[20:21]
	s_cbranch_execz .LBB4_397
; %bb.392:                              ;   in Loop: Header=BB4_126 Depth=2
	v_cmp_ne_u16_sdwa s[94:95], v52, s53 src0_sel:BYTE_0 src1_sel:DWORD
	v_bfrev_b32_e32 v0, 1
	s_and_saveexec_b64 s[92:93], s[94:95]
	s_cbranch_execz .LBB4_396
; %bb.393:                              ;   in Loop: Header=BB4_126 Depth=2
	v_bfe_u32 v2, v23, 16, 7
	v_cmp_ne_u32_e32 vcc, s54, v2
	v_mov_b32_e32 v0, 0x7f800001
	s_and_saveexec_b64 s[94:95], vcc
	s_cbranch_execz .LBB4_395
; %bb.394:                              ;   in Loop: Header=BB4_126 Depth=2
	v_and_b32_e32 v0, 7, v52
	v_lshrrev_b32_e32 v26, 3, v2
	v_cmp_gt_u32_e32 vcc, 8, v2
	v_ffbh_u32_e32 v2, v0
	v_min_u32_e32 v27, 32, v2
	v_subrev_u32_e32 v2, 28, v27
	v_lshlrev_b64 v[2:3], v2, v[52:53]
	v_sub_u32_e32 v3, 29, v27
	v_and_b32_e32 v2, 7, v2
	v_cndmask_b32_e32 v3, v26, v3, vcc
	v_cndmask_b32_e32 v0, v0, v2, vcc
	v_lshlrev_b32_e32 v2, 24, v52
	v_lshlrev_b32_e32 v0, 20, v0
	v_and_b32_e32 v2, 0x80000000, v2
	v_lshl_add_u32 v3, v3, 23, v43
	v_or3_b32 v0, v2, v3, v0
.LBB4_395:                              ;   in Loop: Header=BB4_126 Depth=2
	s_or_b64 exec, exec, s[94:95]
.LBB4_396:                              ;   in Loop: Header=BB4_126 Depth=2
	s_or_b64 exec, exec, s[92:93]
.LBB4_397:                              ;   in Loop: Header=BB4_126 Depth=2
	s_or_b64 exec, exec, s[22:23]
	v_cmp_ne_u16_sdwa s[92:93], v30, v53 src0_sel:BYTE_0 src1_sel:DWORD
	s_and_saveexec_b64 s[22:23], s[92:93]
	s_cbranch_execz .LBB4_403
; %bb.398:                              ;   in Loop: Header=BB4_126 Depth=2
	v_cmp_ne_u16_sdwa s[94:95], v30, s53 src0_sel:BYTE_0 src1_sel:DWORD
	v_bfrev_b32_e32 v1, 1
	s_and_saveexec_b64 s[92:93], s[94:95]
	s_cbranch_execz .LBB4_402
; %bb.399:                              ;   in Loop: Header=BB4_126 Depth=2
	v_bfe_u32 v2, v19, 16, 7
	v_cmp_ne_u32_e32 vcc, s54, v2
	v_mov_b32_e32 v1, 0x7f800001
	s_and_saveexec_b64 s[94:95], vcc
	s_cbranch_execz .LBB4_401
; %bb.400:                              ;   in Loop: Header=BB4_126 Depth=2
	v_and_b32_e32 v3, 7, v30
	v_ffbh_u32_e32 v1, v3
	v_min_u32_e32 v27, 32, v1
	v_subrev_u32_e32 v1, 28, v27
	v_lshrrev_b32_e32 v26, 3, v2
	v_cmp_gt_u32_e32 vcc, 8, v2
	v_lshlrev_b64 v[1:2], v1, v[30:31]
	v_sub_u32_e32 v2, 29, v27
	v_and_b32_e32 v1, 7, v1
	v_cndmask_b32_e32 v2, v26, v2, vcc
	v_cndmask_b32_e32 v1, v3, v1, vcc
	v_lshlrev_b32_e32 v3, 24, v30
	v_lshlrev_b32_e32 v1, 20, v1
	v_and_b32_e32 v3, 0x80000000, v3
	v_lshl_add_u32 v2, v2, 23, v43
	v_or3_b32 v1, v3, v2, v1
.LBB4_401:                              ;   in Loop: Header=BB4_126 Depth=2
	s_or_b64 exec, exec, s[94:95]
.LBB4_402:                              ;   in Loop: Header=BB4_126 Depth=2
	s_or_b64 exec, exec, s[92:93]
.LBB4_403:                              ;   in Loop: Header=BB4_126 Depth=2
	s_or_b64 exec, exec, s[22:23]
	v_max_f32_e32 v1, v1, v1
	v_max_f32_e32 v0, v0, v0
	;; [unrolled: 1-line block ×3, first 2 shown]
	s_mov_b64 s[22:23], 0
.LBB4_404:                              ;   in Loop: Header=BB4_126 Depth=2
	s_and_b64 vcc, exec, s[22:23]
	s_cbranch_vccz .LBB4_418
; %bb.405:                              ;   in Loop: Header=BB4_126 Depth=2
	v_mov_b32_e32 v1, 0
	v_mov_b32_e32 v0, 0
	s_and_saveexec_b64 s[22:23], s[20:21]
	s_cbranch_execz .LBB4_411
; %bb.406:                              ;   in Loop: Header=BB4_126 Depth=2
	v_cmp_ne_u16_sdwa s[92:93], v52, s53 src0_sel:BYTE_0 src1_sel:DWORD
	v_bfrev_b32_e32 v0, 1
	s_and_saveexec_b64 s[20:21], s[92:93]
	s_cbranch_execz .LBB4_410
; %bb.407:                              ;   in Loop: Header=BB4_126 Depth=2
	v_bfe_u32 v2, v23, 16, 7
	v_cmp_ne_u32_e32 vcc, s54, v2
	v_mov_b32_e32 v0, 0x7f800001
	s_and_saveexec_b64 s[92:93], vcc
	s_cbranch_execz .LBB4_409
; %bb.408:                              ;   in Loop: Header=BB4_126 Depth=2
	v_and_b32_e32 v0, 7, v52
	v_lshrrev_b32_e32 v26, 3, v2
	v_cmp_gt_u32_e32 vcc, 8, v2
	v_ffbh_u32_e32 v2, v0
	v_min_u32_e32 v27, 32, v2
	v_subrev_u32_e32 v2, 28, v27
	v_lshlrev_b64 v[2:3], v2, v[52:53]
	v_sub_u32_e32 v3, 29, v27
	v_and_b32_e32 v2, 7, v2
	v_cndmask_b32_e32 v3, v26, v3, vcc
	v_cndmask_b32_e32 v0, v0, v2, vcc
	v_lshlrev_b32_e32 v2, 24, v52
	v_lshlrev_b32_e32 v0, 20, v0
	v_and_b32_e32 v2, 0x80000000, v2
	v_lshl_add_u32 v3, v3, 23, v43
	v_or3_b32 v0, v2, v3, v0
.LBB4_409:                              ;   in Loop: Header=BB4_126 Depth=2
	s_or_b64 exec, exec, s[92:93]
.LBB4_410:                              ;   in Loop: Header=BB4_126 Depth=2
	s_or_b64 exec, exec, s[20:21]
.LBB4_411:                              ;   in Loop: Header=BB4_126 Depth=2
	s_or_b64 exec, exec, s[22:23]
	v_cmp_ne_u16_sdwa s[22:23], v30, v53 src0_sel:BYTE_0 src1_sel:DWORD
	s_and_saveexec_b64 s[20:21], s[22:23]
	s_cbranch_execz .LBB4_417
; %bb.412:                              ;   in Loop: Header=BB4_126 Depth=2
	v_cmp_ne_u16_sdwa s[92:93], v30, s53 src0_sel:BYTE_0 src1_sel:DWORD
	v_bfrev_b32_e32 v1, 1
	s_and_saveexec_b64 s[22:23], s[92:93]
	s_cbranch_execz .LBB4_416
; %bb.413:                              ;   in Loop: Header=BB4_126 Depth=2
	v_bfe_u32 v2, v19, 16, 7
	v_cmp_ne_u32_e32 vcc, s54, v2
	v_mov_b32_e32 v1, 0x7f800001
	s_and_saveexec_b64 s[92:93], vcc
	s_cbranch_execz .LBB4_415
; %bb.414:                              ;   in Loop: Header=BB4_126 Depth=2
	v_and_b32_e32 v3, 7, v30
	v_ffbh_u32_e32 v1, v3
	v_min_u32_e32 v27, 32, v1
	v_subrev_u32_e32 v1, 28, v27
	v_lshrrev_b32_e32 v26, 3, v2
	v_cmp_gt_u32_e32 vcc, 8, v2
	v_lshlrev_b64 v[1:2], v1, v[30:31]
	v_sub_u32_e32 v2, 29, v27
	v_and_b32_e32 v1, 7, v1
	v_cndmask_b32_e32 v2, v26, v2, vcc
	v_cndmask_b32_e32 v1, v3, v1, vcc
	v_lshlrev_b32_e32 v3, 24, v30
	v_lshlrev_b32_e32 v1, 20, v1
	v_and_b32_e32 v3, 0x80000000, v3
	v_lshl_add_u32 v2, v2, 23, v43
	v_or3_b32 v1, v3, v2, v1
.LBB4_415:                              ;   in Loop: Header=BB4_126 Depth=2
	s_or_b64 exec, exec, s[92:93]
.LBB4_416:                              ;   in Loop: Header=BB4_126 Depth=2
	s_or_b64 exec, exec, s[22:23]
.LBB4_417:                              ;   in Loop: Header=BB4_126 Depth=2
	s_or_b64 exec, exec, s[20:21]
	v_max_f32_e32 v1, v1, v1
	v_max_f32_e32 v0, v0, v0
	v_min_f32_e32 v1, v0, v1
.LBB4_418:                              ;   in Loop: Header=BB4_126 Depth=2
	v_and_b32_e32 v52, 0x7f800000, v1
	v_cmp_ne_u64_e32 vcc, s[72:73], v[52:53]
                                        ; implicit-def: $vgpr60
	s_and_saveexec_b64 s[20:21], vcc
	s_xor_b64 s[22:23], exec, s[20:21]
	s_cbranch_execz .LBB4_432
; %bb.419:                              ;   in Loop: Header=BB4_126 Depth=2
	v_and_b32_e32 v52, 0x7fffffff, v1
	v_cmp_gt_u64_e32 vcc, s[74:75], v[52:53]
	v_and_b32_sdwa v0, v1, s53 dst_sel:DWORD dst_unused:UNUSED_PAD src0_sel:BYTE_3 src1_sel:DWORD
                                        ; implicit-def: $vgpr60
	s_and_saveexec_b64 s[20:21], vcc
	s_xor_b64 s[92:93], exec, s[20:21]
	s_cbranch_execz .LBB4_429
; %bb.420:                              ;   in Loop: Header=BB4_126 Depth=2
	v_mov_b32_e32 v60, 0
	v_cmp_ne_u32_e32 vcc, 0, v1
	s_and_saveexec_b64 s[94:95], vcc
	s_cbranch_execz .LBB4_428
; %bb.421:                              ;   in Loop: Header=BB4_126 Depth=2
	v_and_b32_e32 v2, 0x7fffff, v1
	v_bfe_u32 v1, v1, 23, 8
	v_cmp_gt_u32_e64 s[20:21], s64, v1
	v_sub_u32_e32 v3, 0x79, v1
	v_cmp_eq_u32_e32 vcc, 0, v1
	v_cndmask_b32_e64 v3, 0, v3, s[20:21]
	v_mov_b32_e32 v26, 0x78
	v_or_b32_e32 v27, 0x800000, v2
	v_cndmask_b32_e32 v26, v3, v26, vcc
	v_cndmask_b32_e32 v52, v27, v2, vcc
	v_add_u32_e32 v2, 20, v26
	v_lshlrev_b64 v[2:3], v2, -1
	v_add_u32_e32 v27, 19, v26
	v_lshlrev_b64 v[29:30], v27, 1
	v_bfi_b32 v3, v3, 0, 0
	v_bfi_b32 v2, v2, 0, v52
	v_lshrrev_b64 v[60:61], v26, v[52:53]
	v_cmp_eq_u64_e64 s[20:21], v[2:3], v[29:30]
	v_mov_b32_e32 v2, v60
	v_mov_b32_e32 v3, v61
	s_and_saveexec_b64 s[30:31], s[20:21]
; %bb.422:                              ;   in Loop: Header=BB4_126 Depth=2
	v_bfe_u32 v2, v60, 20, 1
	v_add_co_u32_e64 v2, s[20:21], v60, v2
	v_add_co_u32_e64 v2, s[20:21], -1, v2
; %bb.423:                              ;   in Loop: Header=BB4_126 Depth=2
	s_or_b64 exec, exec, s[30:31]
	v_add_u32_e32 v1, 0xffffff81, v1
	v_cndmask_b32_e32 v1, v1, v49, vcc
	v_lshrrev_b32_e32 v3, 23, v60
	v_add3_u32 v26, v26, v1, v3
	v_add_u32_e32 v3, 6, v26
	v_and_b32_e32 v1, 0xfffff, v2
	v_add_u32_e32 v52, v1, v60
	v_cmp_ne_u32_e32 vcc, 0, v3
                                        ; implicit-def: $vgpr60_vgpr61
                                        ; implicit-def: $vgpr1
	s_and_saveexec_b64 s[20:21], vcc
	s_xor_b64 s[20:21], exec, s[20:21]
; %bb.424:                              ;   in Loop: Header=BB4_126 Depth=2
	v_cmp_lt_u64_e32 vcc, s[76:77], v[52:53]
	v_add_u32_e32 v1, 7, v26
	v_cndmask_b32_e64 v2, 0, 1, vcc
	v_cndmask_b32_e32 v1, v3, v1, vcc
	v_lshrrev_b64 v[60:61], v2, v[52:53]
; %bb.425:                              ;   in Loop: Header=BB4_126 Depth=2
	s_andn2_saveexec_b64 s[20:21], s[20:21]
; %bb.426:                              ;   in Loop: Header=BB4_126 Depth=2
	v_mov_b32_e32 v61, v53
	v_bfe_u32 v1, v52, 23, 1
	v_mov_b32_e32 v60, v52
; %bb.427:                              ;   in Loop: Header=BB4_126 Depth=2
	s_or_b64 exec, exec, s[20:21]
	v_lshrrev_b64 v[2:3], 20, v[60:61]
	v_cmp_gt_i32_e32 vcc, 16, v1
	v_cndmask_b32_e32 v3, 0, v3, vcc
	v_cndmask_b32_e32 v2, 7, v2, vcc
	v_cmp_eq_u32_e32 vcc, 0, v1
	v_min_i32_e32 v1, 15, v1
	v_cmp_eq_u64_e64 s[20:21], 0, v[2:3]
	v_lshlrev_b32_e32 v1, 3, v1
	v_and_b32_e32 v1, 0xf8, v1
	v_and_or_b32 v1, v2, 7, v1
	s_and_b64 s[20:21], vcc, s[20:21]
	v_cndmask_b32_e64 v1, v1, 0, s[20:21]
	v_or_b32_e32 v60, v1, v0
.LBB4_428:                              ;   in Loop: Header=BB4_126 Depth=2
	s_or_b64 exec, exec, s[94:95]
                                        ; implicit-def: $vgpr0
.LBB4_429:                              ;   in Loop: Header=BB4_126 Depth=2
	s_andn2_saveexec_b64 s[20:21], s[92:93]
; %bb.430:                              ;   in Loop: Header=BB4_126 Depth=2
	v_or_b32_e32 v60, 0x7e, v0
; %bb.431:                              ;   in Loop: Header=BB4_126 Depth=2
	s_or_b64 exec, exec, s[20:21]
                                        ; implicit-def: $vgpr1
.LBB4_432:                              ;   in Loop: Header=BB4_126 Depth=2
	s_andn2_saveexec_b64 s[20:21], s[22:23]
; %bb.433:                              ;   in Loop: Header=BB4_126 Depth=2
	v_or_b32_sdwa v60, v1, s54 dst_sel:DWORD dst_unused:UNUSED_PAD src0_sel:BYTE_3 src1_sel:DWORD
; %bb.434:                              ;   in Loop: Header=BB4_126 Depth=2
	s_or_b64 exec, exec, s[20:21]
	v_cmp_lt_u64_e64 s[20:21], s[78:79], v[22:23]
	v_lshrrev_b32_e32 v52, 24, v23
	v_lshrrev_b32_e32 v30, 24, v19
	s_mov_b64 s[22:23], -1
	s_and_b64 vcc, exec, s[28:29]
                                        ; implicit-def: $vgpr1
	s_cbranch_vccz .LBB4_448
; %bb.435:                              ;   in Loop: Header=BB4_126 Depth=2
	v_mov_b32_e32 v1, 0
	v_mov_b32_e32 v0, 0
	s_and_saveexec_b64 s[22:23], s[20:21]
	s_cbranch_execz .LBB4_441
; %bb.436:                              ;   in Loop: Header=BB4_126 Depth=2
	v_cmp_ne_u32_e32 vcc, s53, v52
	v_bfrev_b32_e32 v0, 1
	s_and_saveexec_b64 s[92:93], vcc
	s_cbranch_execz .LBB4_440
; %bb.437:                              ;   in Loop: Header=BB4_126 Depth=2
	v_bfe_u32 v2, v23, 24, 7
	v_cmp_ne_u32_e32 vcc, s54, v2
	v_mov_b32_e32 v0, 0x7f800001
	s_and_saveexec_b64 s[94:95], vcc
	s_cbranch_execz .LBB4_439
; %bb.438:                              ;   in Loop: Header=BB4_126 Depth=2
	v_and_b32_e32 v0, 7, v52
	v_lshrrev_b32_e32 v22, 3, v2
	v_cmp_gt_u32_e32 vcc, 8, v2
	v_ffbh_u32_e32 v2, v0
	v_min_u32_e32 v26, 32, v2
	v_subrev_u32_e32 v2, 28, v26
	v_lshlrev_b64 v[2:3], v2, v[52:53]
	v_sub_u32_e32 v3, 29, v26
	v_and_b32_e32 v2, 7, v2
	v_cndmask_b32_e32 v3, v22, v3, vcc
	v_cndmask_b32_e32 v0, v0, v2, vcc
	v_lshlrev_b32_e32 v2, 24, v52
	v_lshlrev_b32_e32 v0, 20, v0
	v_and_b32_e32 v2, 0x80000000, v2
	v_lshl_add_u32 v3, v3, 23, v43
	v_or3_b32 v0, v2, v3, v0
.LBB4_439:                              ;   in Loop: Header=BB4_126 Depth=2
	s_or_b64 exec, exec, s[94:95]
.LBB4_440:                              ;   in Loop: Header=BB4_126 Depth=2
	s_or_b64 exec, exec, s[92:93]
.LBB4_441:                              ;   in Loop: Header=BB4_126 Depth=2
	s_or_b64 exec, exec, s[22:23]
	v_cmp_lt_u64_e32 vcc, s[78:79], v[18:19]
	s_and_saveexec_b64 s[22:23], vcc
	s_cbranch_execz .LBB4_447
; %bb.442:                              ;   in Loop: Header=BB4_126 Depth=2
	v_cmp_ne_u32_e32 vcc, s53, v30
	v_bfrev_b32_e32 v1, 1
	s_and_saveexec_b64 s[92:93], vcc
	s_cbranch_execz .LBB4_446
; %bb.443:                              ;   in Loop: Header=BB4_126 Depth=2
	v_bfe_u32 v2, v19, 24, 7
	v_cmp_ne_u32_e32 vcc, s54, v2
	v_mov_b32_e32 v1, 0x7f800001
	s_and_saveexec_b64 s[94:95], vcc
	s_cbranch_execz .LBB4_445
; %bb.444:                              ;   in Loop: Header=BB4_126 Depth=2
	v_and_b32_e32 v3, 7, v30
	v_ffbh_u32_e32 v1, v3
	v_min_u32_e32 v26, 32, v1
	v_subrev_u32_e32 v1, 28, v26
	v_lshrrev_b32_e32 v22, 3, v2
	v_cmp_gt_u32_e32 vcc, 8, v2
	v_lshlrev_b64 v[1:2], v1, v[30:31]
	v_sub_u32_e32 v2, 29, v26
	v_and_b32_e32 v1, 7, v1
	v_cndmask_b32_e32 v2, v22, v2, vcc
	v_cndmask_b32_e32 v1, v3, v1, vcc
	v_lshlrev_b32_e32 v3, 24, v30
	v_lshlrev_b32_e32 v1, 20, v1
	v_and_b32_e32 v3, 0x80000000, v3
	v_lshl_add_u32 v2, v2, 23, v43
	v_or3_b32 v1, v3, v2, v1
.LBB4_445:                              ;   in Loop: Header=BB4_126 Depth=2
	s_or_b64 exec, exec, s[94:95]
.LBB4_446:                              ;   in Loop: Header=BB4_126 Depth=2
	s_or_b64 exec, exec, s[92:93]
.LBB4_447:                              ;   in Loop: Header=BB4_126 Depth=2
	s_or_b64 exec, exec, s[22:23]
	v_max_f32_e32 v1, v1, v1
	v_max_f32_e32 v0, v0, v0
	;; [unrolled: 1-line block ×3, first 2 shown]
	s_mov_b64 s[22:23], 0
.LBB4_448:                              ;   in Loop: Header=BB4_126 Depth=2
	s_and_b64 vcc, exec, s[22:23]
	s_cbranch_vccz .LBB4_462
; %bb.449:                              ;   in Loop: Header=BB4_126 Depth=2
	v_mov_b32_e32 v1, 0
	v_mov_b32_e32 v0, 0
	s_and_saveexec_b64 s[22:23], s[20:21]
	s_cbranch_execz .LBB4_455
; %bb.450:                              ;   in Loop: Header=BB4_126 Depth=2
	v_cmp_ne_u32_e32 vcc, s53, v52
	v_bfrev_b32_e32 v0, 1
	s_and_saveexec_b64 s[20:21], vcc
	s_cbranch_execz .LBB4_454
; %bb.451:                              ;   in Loop: Header=BB4_126 Depth=2
	v_bfe_u32 v2, v23, 24, 7
	v_cmp_ne_u32_e32 vcc, s54, v2
	v_mov_b32_e32 v0, 0x7f800001
	s_and_saveexec_b64 s[92:93], vcc
	s_cbranch_execz .LBB4_453
; %bb.452:                              ;   in Loop: Header=BB4_126 Depth=2
	v_and_b32_e32 v0, 7, v52
	v_lshrrev_b32_e32 v22, 3, v2
	v_cmp_gt_u32_e32 vcc, 8, v2
	v_ffbh_u32_e32 v2, v0
	v_min_u32_e32 v23, 32, v2
	v_subrev_u32_e32 v2, 28, v23
	v_lshlrev_b64 v[2:3], v2, v[52:53]
	v_sub_u32_e32 v3, 29, v23
	v_and_b32_e32 v2, 7, v2
	v_cndmask_b32_e32 v3, v22, v3, vcc
	v_cndmask_b32_e32 v0, v0, v2, vcc
	v_lshlrev_b32_e32 v2, 24, v52
	v_lshlrev_b32_e32 v0, 20, v0
	v_and_b32_e32 v2, 0x80000000, v2
	v_lshl_add_u32 v3, v3, 23, v43
	v_or3_b32 v0, v2, v3, v0
.LBB4_453:                              ;   in Loop: Header=BB4_126 Depth=2
	s_or_b64 exec, exec, s[92:93]
.LBB4_454:                              ;   in Loop: Header=BB4_126 Depth=2
	s_or_b64 exec, exec, s[20:21]
.LBB4_455:                              ;   in Loop: Header=BB4_126 Depth=2
	s_or_b64 exec, exec, s[22:23]
	v_cmp_lt_u64_e32 vcc, s[78:79], v[18:19]
	s_and_saveexec_b64 s[20:21], vcc
	s_cbranch_execz .LBB4_461
; %bb.456:                              ;   in Loop: Header=BB4_126 Depth=2
	v_cmp_ne_u32_e32 vcc, s53, v30
	v_bfrev_b32_e32 v1, 1
	s_and_saveexec_b64 s[22:23], vcc
	s_cbranch_execz .LBB4_460
; %bb.457:                              ;   in Loop: Header=BB4_126 Depth=2
	v_bfe_u32 v2, v19, 24, 7
	v_cmp_ne_u32_e32 vcc, s54, v2
	v_mov_b32_e32 v1, 0x7f800001
	s_and_saveexec_b64 s[92:93], vcc
	s_cbranch_execz .LBB4_459
; %bb.458:                              ;   in Loop: Header=BB4_126 Depth=2
	v_and_b32_e32 v3, 7, v30
	v_ffbh_u32_e32 v1, v3
	v_min_u32_e32 v19, 32, v1
	v_subrev_u32_e32 v1, 28, v19
	v_lshrrev_b32_e32 v18, 3, v2
	v_cmp_gt_u32_e32 vcc, 8, v2
	v_lshlrev_b64 v[1:2], v1, v[30:31]
	v_sub_u32_e32 v2, 29, v19
	v_and_b32_e32 v1, 7, v1
	v_cndmask_b32_e32 v2, v18, v2, vcc
	v_cndmask_b32_e32 v1, v3, v1, vcc
	v_lshlrev_b32_e32 v3, 24, v30
	v_lshlrev_b32_e32 v1, 20, v1
	v_and_b32_e32 v3, 0x80000000, v3
	v_lshl_add_u32 v2, v2, 23, v43
	v_or3_b32 v1, v3, v2, v1
.LBB4_459:                              ;   in Loop: Header=BB4_126 Depth=2
	s_or_b64 exec, exec, s[92:93]
.LBB4_460:                              ;   in Loop: Header=BB4_126 Depth=2
	s_or_b64 exec, exec, s[22:23]
.LBB4_461:                              ;   in Loop: Header=BB4_126 Depth=2
	s_or_b64 exec, exec, s[20:21]
	v_max_f32_e32 v1, v1, v1
	v_max_f32_e32 v0, v0, v0
	v_min_f32_e32 v1, v0, v1
.LBB4_462:                              ;   in Loop: Header=BB4_126 Depth=2
	v_and_b32_e32 v52, 0x7f800000, v1
	v_cmp_ne_u64_e32 vcc, s[72:73], v[52:53]
                                        ; implicit-def: $vgpr30
	s_and_saveexec_b64 s[20:21], vcc
	s_xor_b64 s[22:23], exec, s[20:21]
	s_cbranch_execz .LBB4_476
; %bb.463:                              ;   in Loop: Header=BB4_126 Depth=2
	v_and_b32_e32 v52, 0x7fffffff, v1
	v_cmp_gt_u64_e32 vcc, s[74:75], v[52:53]
	v_and_b32_sdwa v0, v1, s53 dst_sel:DWORD dst_unused:UNUSED_PAD src0_sel:BYTE_3 src1_sel:DWORD
                                        ; implicit-def: $vgpr30
	s_and_saveexec_b64 s[20:21], vcc
	s_xor_b64 s[92:93], exec, s[20:21]
	s_cbranch_execz .LBB4_473
; %bb.464:                              ;   in Loop: Header=BB4_126 Depth=2
	v_mov_b32_e32 v30, 0
	v_cmp_ne_u32_e32 vcc, 0, v1
	s_and_saveexec_b64 s[94:95], vcc
	s_cbranch_execz .LBB4_472
; %bb.465:                              ;   in Loop: Header=BB4_126 Depth=2
	v_and_b32_e32 v2, 0x7fffff, v1
	v_bfe_u32 v1, v1, 23, 8
	v_cmp_gt_u32_e64 s[20:21], s64, v1
	v_sub_u32_e32 v3, 0x79, v1
	v_cmp_eq_u32_e32 vcc, 0, v1
	v_cndmask_b32_e64 v3, 0, v3, s[20:21]
	v_mov_b32_e32 v19, 0x78
	v_or_b32_e32 v18, 0x800000, v2
	v_cndmask_b32_e32 v22, v3, v19, vcc
	v_cndmask_b32_e32 v52, v18, v2, vcc
	v_add_u32_e32 v2, 20, v22
	v_lshlrev_b64 v[2:3], v2, -1
	v_add_u32_e32 v18, 19, v22
	v_lshlrev_b64 v[18:19], v18, 1
	v_bfi_b32 v3, v3, 0, 0
	v_bfi_b32 v2, v2, 0, v52
	v_cmp_eq_u64_e64 s[20:21], v[2:3], v[18:19]
	v_lshrrev_b64 v[18:19], v22, v[52:53]
	v_mov_b32_e32 v2, v18
	v_mov_b32_e32 v3, v19
	s_and_saveexec_b64 s[30:31], s[20:21]
; %bb.466:                              ;   in Loop: Header=BB4_126 Depth=2
	v_bfe_u32 v2, v18, 20, 1
	v_add_co_u32_e64 v2, s[20:21], v18, v2
	v_add_co_u32_e64 v2, s[20:21], -1, v2
; %bb.467:                              ;   in Loop: Header=BB4_126 Depth=2
	s_or_b64 exec, exec, s[30:31]
	v_add_u32_e32 v1, 0xffffff81, v1
	v_cndmask_b32_e32 v1, v1, v49, vcc
	v_lshrrev_b32_e32 v3, 23, v18
	v_add3_u32 v22, v22, v1, v3
	v_add_u32_e32 v3, 6, v22
	v_and_b32_e32 v1, 0xfffff, v2
	v_add_u32_e32 v52, v1, v18
	v_cmp_ne_u32_e32 vcc, 0, v3
                                        ; implicit-def: $vgpr18_vgpr19
                                        ; implicit-def: $vgpr1
	s_and_saveexec_b64 s[20:21], vcc
	s_xor_b64 s[20:21], exec, s[20:21]
; %bb.468:                              ;   in Loop: Header=BB4_126 Depth=2
	v_cmp_lt_u64_e32 vcc, s[76:77], v[52:53]
	v_add_u32_e32 v1, 7, v22
	v_cndmask_b32_e64 v2, 0, 1, vcc
	v_cndmask_b32_e32 v1, v3, v1, vcc
	v_lshrrev_b64 v[18:19], v2, v[52:53]
; %bb.469:                              ;   in Loop: Header=BB4_126 Depth=2
	s_andn2_saveexec_b64 s[20:21], s[20:21]
; %bb.470:                              ;   in Loop: Header=BB4_126 Depth=2
	v_mov_b32_e32 v18, v52
	v_bfe_u32 v1, v52, 23, 1
	v_mov_b32_e32 v19, v53
; %bb.471:                              ;   in Loop: Header=BB4_126 Depth=2
	s_or_b64 exec, exec, s[20:21]
	v_lshrrev_b64 v[2:3], 20, v[18:19]
	v_cmp_gt_i32_e32 vcc, 16, v1
	v_cndmask_b32_e32 v3, 0, v3, vcc
	v_cndmask_b32_e32 v2, 7, v2, vcc
	v_cmp_eq_u32_e32 vcc, 0, v1
	v_min_i32_e32 v1, 15, v1
	v_cmp_eq_u64_e64 s[20:21], 0, v[2:3]
	v_lshlrev_b32_e32 v1, 3, v1
	v_and_b32_e32 v1, 0xf8, v1
	v_and_or_b32 v1, v2, 7, v1
	s_and_b64 s[20:21], vcc, s[20:21]
	v_cndmask_b32_e64 v1, v1, 0, s[20:21]
	v_or_b32_e32 v30, v1, v0
.LBB4_472:                              ;   in Loop: Header=BB4_126 Depth=2
	s_or_b64 exec, exec, s[94:95]
                                        ; implicit-def: $vgpr0
.LBB4_473:                              ;   in Loop: Header=BB4_126 Depth=2
	s_andn2_saveexec_b64 s[20:21], s[92:93]
; %bb.474:                              ;   in Loop: Header=BB4_126 Depth=2
	v_or_b32_e32 v30, 0x7e, v0
; %bb.475:                              ;   in Loop: Header=BB4_126 Depth=2
	s_or_b64 exec, exec, s[20:21]
                                        ; implicit-def: $vgpr1
.LBB4_476:                              ;   in Loop: Header=BB4_126 Depth=2
	s_andn2_saveexec_b64 s[20:21], s[22:23]
; %bb.477:                              ;   in Loop: Header=BB4_126 Depth=2
	v_or_b32_sdwa v30, v1, s54 dst_sel:DWORD dst_unused:UNUSED_PAD src0_sel:BYTE_3 src1_sel:DWORD
; %bb.478:                              ;   in Loop: Header=BB4_126 Depth=2
	s_or_b64 exec, exec, s[20:21]
	v_cmp_ne_u16_sdwa s[20:21], v24, v53 src0_sel:BYTE_0 src1_sel:DWORD
	s_mov_b64 s[22:23], -1
	s_and_b64 vcc, exec, s[28:29]
                                        ; implicit-def: $vgpr1
	s_cbranch_vccz .LBB4_492
; %bb.479:                              ;   in Loop: Header=BB4_126 Depth=2
	v_mov_b32_e32 v1, 0
	v_mov_b32_e32 v0, 0
	s_and_saveexec_b64 s[22:23], s[20:21]
	s_cbranch_execz .LBB4_485
; %bb.480:                              ;   in Loop: Header=BB4_126 Depth=2
	v_cmp_ne_u16_sdwa s[94:95], v24, s53 src0_sel:BYTE_0 src1_sel:DWORD
	v_bfrev_b32_e32 v0, 1
	s_and_saveexec_b64 s[92:93], s[94:95]
	s_cbranch_execz .LBB4_484
; %bb.481:                              ;   in Loop: Header=BB4_126 Depth=2
	v_and_b32_e32 v2, 0x7f, v24
	v_cmp_ne_u32_e32 vcc, s54, v2
	v_mov_b32_e32 v0, 0x7f800001
	s_and_saveexec_b64 s[94:95], vcc
	s_cbranch_execz .LBB4_483
; %bb.482:                              ;   in Loop: Header=BB4_126 Depth=2
	v_and_b32_e32 v0, 7, v24
	v_ffbh_u32_e32 v0, v0
	v_min_u32_e32 v0, 32, v0
	v_lshrrev_b32_e32 v3, 3, v2
	v_cmp_gt_u32_e32 vcc, 8, v2
	v_subrev_u32_e32 v2, 28, v0
	v_sub_u32_e32 v0, 29, v0
	v_cndmask_b32_e32 v2, 0, v2, vcc
	v_cndmask_b32_e32 v0, v3, v0, vcc
	v_lshlrev_b64 v[2:3], v2, v[24:25]
	v_lshlrev_b32_e32 v3, 24, v24
	v_lshlrev_b32_e32 v2, 20, v2
	v_and_b32_e32 v2, 0x700000, v2
	v_and_b32_e32 v3, 0x80000000, v3
	v_lshl_add_u32 v0, v0, 23, v43
	v_or3_b32 v0, v3, v0, v2
.LBB4_483:                              ;   in Loop: Header=BB4_126 Depth=2
	s_or_b64 exec, exec, s[94:95]
.LBB4_484:                              ;   in Loop: Header=BB4_126 Depth=2
	s_or_b64 exec, exec, s[92:93]
.LBB4_485:                              ;   in Loop: Header=BB4_126 Depth=2
	s_or_b64 exec, exec, s[22:23]
	v_cmp_ne_u16_sdwa s[92:93], v20, v53 src0_sel:BYTE_0 src1_sel:DWORD
	s_and_saveexec_b64 s[22:23], s[92:93]
	s_cbranch_execz .LBB4_491
; %bb.486:                              ;   in Loop: Header=BB4_126 Depth=2
	v_cmp_ne_u16_sdwa s[94:95], v20, s53 src0_sel:BYTE_0 src1_sel:DWORD
	v_bfrev_b32_e32 v1, 1
	s_and_saveexec_b64 s[92:93], s[94:95]
	s_cbranch_execz .LBB4_490
; %bb.487:                              ;   in Loop: Header=BB4_126 Depth=2
	v_and_b32_e32 v2, 0x7f, v20
	v_cmp_ne_u32_e32 vcc, s54, v2
	v_mov_b32_e32 v1, 0x7f800001
	s_and_saveexec_b64 s[94:95], vcc
	s_cbranch_execz .LBB4_489
; %bb.488:                              ;   in Loop: Header=BB4_126 Depth=2
	v_and_b32_e32 v1, 7, v20
	v_ffbh_u32_e32 v1, v1
	v_min_u32_e32 v1, 32, v1
	v_lshrrev_b32_e32 v3, 3, v2
	v_cmp_gt_u32_e32 vcc, 8, v2
	v_subrev_u32_e32 v2, 28, v1
	v_sub_u32_e32 v1, 29, v1
	v_cndmask_b32_e32 v3, v3, v1, vcc
	v_cndmask_b32_e32 v1, 0, v2, vcc
	v_lshlrev_b64 v[1:2], v1, v[20:21]
	v_lshlrev_b32_e32 v2, 24, v20
	v_lshlrev_b32_e32 v1, 20, v1
	v_and_b32_e32 v1, 0x700000, v1
	v_and_b32_e32 v2, 0x80000000, v2
	v_lshl_add_u32 v3, v3, 23, v43
	v_or3_b32 v1, v2, v3, v1
.LBB4_489:                              ;   in Loop: Header=BB4_126 Depth=2
	s_or_b64 exec, exec, s[94:95]
.LBB4_490:                              ;   in Loop: Header=BB4_126 Depth=2
	s_or_b64 exec, exec, s[92:93]
.LBB4_491:                              ;   in Loop: Header=BB4_126 Depth=2
	s_or_b64 exec, exec, s[22:23]
	v_max_f32_e32 v1, v1, v1
	v_max_f32_e32 v0, v0, v0
	v_max_f32_e32 v1, v0, v1
	s_mov_b64 s[22:23], 0
.LBB4_492:                              ;   in Loop: Header=BB4_126 Depth=2
	s_and_b64 vcc, exec, s[22:23]
	s_cbranch_vccz .LBB4_506
; %bb.493:                              ;   in Loop: Header=BB4_126 Depth=2
	v_mov_b32_e32 v1, 0
	v_mov_b32_e32 v0, 0
	s_and_saveexec_b64 s[22:23], s[20:21]
	s_cbranch_execz .LBB4_499
; %bb.494:                              ;   in Loop: Header=BB4_126 Depth=2
	v_cmp_ne_u16_sdwa s[92:93], v24, s53 src0_sel:BYTE_0 src1_sel:DWORD
	v_bfrev_b32_e32 v0, 1
	s_and_saveexec_b64 s[20:21], s[92:93]
	s_cbranch_execz .LBB4_498
; %bb.495:                              ;   in Loop: Header=BB4_126 Depth=2
	v_and_b32_e32 v2, 0x7f, v24
	v_cmp_ne_u32_e32 vcc, s54, v2
	v_mov_b32_e32 v0, 0x7f800001
	s_and_saveexec_b64 s[92:93], vcc
	s_cbranch_execz .LBB4_497
; %bb.496:                              ;   in Loop: Header=BB4_126 Depth=2
	v_and_b32_e32 v0, 7, v24
	v_ffbh_u32_e32 v0, v0
	v_min_u32_e32 v0, 32, v0
	v_lshrrev_b32_e32 v3, 3, v2
	v_cmp_gt_u32_e32 vcc, 8, v2
	v_subrev_u32_e32 v2, 28, v0
	v_sub_u32_e32 v0, 29, v0
	v_cndmask_b32_e32 v2, 0, v2, vcc
	v_cndmask_b32_e32 v0, v3, v0, vcc
	v_lshlrev_b64 v[2:3], v2, v[24:25]
	v_lshlrev_b32_e32 v3, 24, v24
	v_lshlrev_b32_e32 v2, 20, v2
	v_and_b32_e32 v2, 0x700000, v2
	v_and_b32_e32 v3, 0x80000000, v3
	v_lshl_add_u32 v0, v0, 23, v43
	v_or3_b32 v0, v3, v0, v2
.LBB4_497:                              ;   in Loop: Header=BB4_126 Depth=2
	s_or_b64 exec, exec, s[92:93]
.LBB4_498:                              ;   in Loop: Header=BB4_126 Depth=2
	s_or_b64 exec, exec, s[20:21]
.LBB4_499:                              ;   in Loop: Header=BB4_126 Depth=2
	s_or_b64 exec, exec, s[22:23]
	v_cmp_ne_u16_sdwa s[22:23], v20, v53 src0_sel:BYTE_0 src1_sel:DWORD
	s_and_saveexec_b64 s[20:21], s[22:23]
	s_cbranch_execz .LBB4_505
; %bb.500:                              ;   in Loop: Header=BB4_126 Depth=2
	v_cmp_ne_u16_sdwa s[92:93], v20, s53 src0_sel:BYTE_0 src1_sel:DWORD
	v_bfrev_b32_e32 v1, 1
	s_and_saveexec_b64 s[22:23], s[92:93]
	s_cbranch_execz .LBB4_504
; %bb.501:                              ;   in Loop: Header=BB4_126 Depth=2
	v_and_b32_e32 v2, 0x7f, v20
	v_cmp_ne_u32_e32 vcc, s54, v2
	v_mov_b32_e32 v1, 0x7f800001
	s_and_saveexec_b64 s[92:93], vcc
	s_cbranch_execz .LBB4_503
; %bb.502:                              ;   in Loop: Header=BB4_126 Depth=2
	v_and_b32_e32 v1, 7, v20
	v_ffbh_u32_e32 v1, v1
	v_min_u32_e32 v1, 32, v1
	v_lshrrev_b32_e32 v3, 3, v2
	v_cmp_gt_u32_e32 vcc, 8, v2
	v_subrev_u32_e32 v2, 28, v1
	v_sub_u32_e32 v1, 29, v1
	v_cndmask_b32_e32 v3, v3, v1, vcc
	v_cndmask_b32_e32 v1, 0, v2, vcc
	v_lshlrev_b64 v[1:2], v1, v[20:21]
	v_lshlrev_b32_e32 v2, 24, v20
	v_lshlrev_b32_e32 v1, 20, v1
	v_and_b32_e32 v1, 0x700000, v1
	v_and_b32_e32 v2, 0x80000000, v2
	v_lshl_add_u32 v3, v3, 23, v43
	v_or3_b32 v1, v2, v3, v1
.LBB4_503:                              ;   in Loop: Header=BB4_126 Depth=2
	s_or_b64 exec, exec, s[92:93]
.LBB4_504:                              ;   in Loop: Header=BB4_126 Depth=2
	s_or_b64 exec, exec, s[22:23]
.LBB4_505:                              ;   in Loop: Header=BB4_126 Depth=2
	s_or_b64 exec, exec, s[20:21]
	v_max_f32_e32 v1, v1, v1
	v_max_f32_e32 v0, v0, v0
	v_min_f32_e32 v1, v0, v1
.LBB4_506:                              ;   in Loop: Header=BB4_126 Depth=2
	v_and_b32_e32 v52, 0x7f800000, v1
	v_cmp_ne_u64_e32 vcc, s[72:73], v[52:53]
                                        ; implicit-def: $vgpr61
	s_and_saveexec_b64 s[20:21], vcc
	s_xor_b64 s[22:23], exec, s[20:21]
	s_cbranch_execz .LBB4_520
; %bb.507:                              ;   in Loop: Header=BB4_126 Depth=2
	v_and_b32_e32 v52, 0x7fffffff, v1
	v_cmp_gt_u64_e32 vcc, s[74:75], v[52:53]
	v_and_b32_sdwa v0, v1, s53 dst_sel:DWORD dst_unused:UNUSED_PAD src0_sel:BYTE_3 src1_sel:DWORD
                                        ; implicit-def: $vgpr61
	s_and_saveexec_b64 s[20:21], vcc
	s_xor_b64 s[92:93], exec, s[20:21]
	s_cbranch_execz .LBB4_517
; %bb.508:                              ;   in Loop: Header=BB4_126 Depth=2
	v_mov_b32_e32 v61, 0
	v_cmp_ne_u32_e32 vcc, 0, v1
	s_and_saveexec_b64 s[94:95], vcc
	s_cbranch_execz .LBB4_516
; %bb.509:                              ;   in Loop: Header=BB4_126 Depth=2
	v_and_b32_e32 v2, 0x7fffff, v1
	v_bfe_u32 v1, v1, 23, 8
	v_cmp_gt_u32_e64 s[20:21], s64, v1
	v_sub_u32_e32 v3, 0x79, v1
	v_cmp_eq_u32_e32 vcc, 0, v1
	v_cndmask_b32_e64 v3, 0, v3, s[20:21]
	v_mov_b32_e32 v19, 0x78
	v_or_b32_e32 v18, 0x800000, v2
	v_cndmask_b32_e32 v22, v3, v19, vcc
	v_cndmask_b32_e32 v52, v18, v2, vcc
	v_add_u32_e32 v2, 20, v22
	v_lshlrev_b64 v[2:3], v2, -1
	v_add_u32_e32 v18, 19, v22
	v_lshlrev_b64 v[18:19], v18, 1
	v_bfi_b32 v3, v3, 0, 0
	v_bfi_b32 v2, v2, 0, v52
	v_cmp_eq_u64_e64 s[20:21], v[2:3], v[18:19]
	v_lshrrev_b64 v[18:19], v22, v[52:53]
	v_mov_b32_e32 v2, v18
	v_mov_b32_e32 v3, v19
	s_and_saveexec_b64 s[30:31], s[20:21]
; %bb.510:                              ;   in Loop: Header=BB4_126 Depth=2
	v_bfe_u32 v2, v18, 20, 1
	v_add_co_u32_e64 v2, s[20:21], v18, v2
	v_add_co_u32_e64 v2, s[20:21], -1, v2
; %bb.511:                              ;   in Loop: Header=BB4_126 Depth=2
	s_or_b64 exec, exec, s[30:31]
	v_add_u32_e32 v1, 0xffffff81, v1
	v_cndmask_b32_e32 v1, v1, v49, vcc
	v_lshrrev_b32_e32 v3, 23, v18
	v_add3_u32 v22, v22, v1, v3
	v_add_u32_e32 v3, 6, v22
	v_and_b32_e32 v1, 0xfffff, v2
	v_add_u32_e32 v52, v1, v18
	v_cmp_ne_u32_e32 vcc, 0, v3
                                        ; implicit-def: $vgpr18_vgpr19
                                        ; implicit-def: $vgpr1
	s_and_saveexec_b64 s[20:21], vcc
	s_xor_b64 s[20:21], exec, s[20:21]
; %bb.512:                              ;   in Loop: Header=BB4_126 Depth=2
	v_cmp_lt_u64_e32 vcc, s[76:77], v[52:53]
	v_add_u32_e32 v1, 7, v22
	v_cndmask_b32_e64 v2, 0, 1, vcc
	v_cndmask_b32_e32 v1, v3, v1, vcc
	v_lshrrev_b64 v[18:19], v2, v[52:53]
; %bb.513:                              ;   in Loop: Header=BB4_126 Depth=2
	s_andn2_saveexec_b64 s[20:21], s[20:21]
; %bb.514:                              ;   in Loop: Header=BB4_126 Depth=2
	v_mov_b32_e32 v18, v52
	v_bfe_u32 v1, v52, 23, 1
	v_mov_b32_e32 v19, v53
; %bb.515:                              ;   in Loop: Header=BB4_126 Depth=2
	s_or_b64 exec, exec, s[20:21]
	v_lshrrev_b64 v[2:3], 20, v[18:19]
	v_cmp_gt_i32_e32 vcc, 16, v1
	v_cndmask_b32_e32 v3, 0, v3, vcc
	v_cndmask_b32_e32 v2, 7, v2, vcc
	v_cmp_eq_u32_e32 vcc, 0, v1
	v_min_i32_e32 v1, 15, v1
	v_cmp_eq_u64_e64 s[20:21], 0, v[2:3]
	v_lshlrev_b32_e32 v1, 3, v1
	v_and_b32_e32 v1, 0xf8, v1
	v_and_or_b32 v1, v2, 7, v1
	s_and_b64 s[20:21], vcc, s[20:21]
	v_cndmask_b32_e64 v1, v1, 0, s[20:21]
	v_or_b32_e32 v61, v1, v0
.LBB4_516:                              ;   in Loop: Header=BB4_126 Depth=2
	s_or_b64 exec, exec, s[94:95]
                                        ; implicit-def: $vgpr0
.LBB4_517:                              ;   in Loop: Header=BB4_126 Depth=2
	s_andn2_saveexec_b64 s[20:21], s[92:93]
; %bb.518:                              ;   in Loop: Header=BB4_126 Depth=2
	v_or_b32_e32 v61, 0x7e, v0
; %bb.519:                              ;   in Loop: Header=BB4_126 Depth=2
	s_or_b64 exec, exec, s[20:21]
                                        ; implicit-def: $vgpr1
.LBB4_520:                              ;   in Loop: Header=BB4_126 Depth=2
	s_andn2_saveexec_b64 s[20:21], s[22:23]
; %bb.521:                              ;   in Loop: Header=BB4_126 Depth=2
	v_or_b32_sdwa v61, v1, s54 dst_sel:DWORD dst_unused:UNUSED_PAD src0_sel:BYTE_3 src1_sel:DWORD
; %bb.522:                              ;   in Loop: Header=BB4_126 Depth=2
	s_or_b64 exec, exec, s[20:21]
	v_lshrrev_b16_e32 v19, 8, v24
	v_lshrrev_b16_e32 v18, 8, v20
	v_cmp_ne_u16_e64 s[20:21], 0, v19
	s_mov_b64 s[22:23], -1
	s_and_b64 vcc, exec, s[28:29]
                                        ; implicit-def: $vgpr1
	s_cbranch_vccz .LBB4_536
; %bb.523:                              ;   in Loop: Header=BB4_126 Depth=2
	v_mov_b32_e32 v1, 0
	v_mov_b32_e32 v0, 0
	s_and_saveexec_b64 s[22:23], s[20:21]
	s_cbranch_execz .LBB4_529
; %bb.524:                              ;   in Loop: Header=BB4_126 Depth=2
	v_cmp_ne_u16_e32 vcc, s53, v19
	v_bfrev_b32_e32 v0, 1
	s_and_saveexec_b64 s[92:93], vcc
	s_cbranch_execz .LBB4_528
; %bb.525:                              ;   in Loop: Header=BB4_126 Depth=2
	v_and_b32_e32 v2, 0x7f, v19
	v_cmp_ne_u32_e32 vcc, s54, v2
	v_mov_b32_e32 v0, 0x7f800001
	s_and_saveexec_b64 s[94:95], vcc
	s_cbranch_execz .LBB4_527
; %bb.526:                              ;   in Loop: Header=BB4_126 Depth=2
	v_and_b32_e32 v0, 7, v19
	v_lshrrev_b32_e32 v22, 3, v2
	v_cmp_gt_u32_e32 vcc, 8, v2
	v_ffbh_u32_e32 v2, v0
	v_min_u32_e32 v23, 32, v2
	v_subrev_u32_e32 v2, 28, v23
	v_lshlrev_b64 v[2:3], v2, v[19:20]
	v_sub_u32_e32 v3, 29, v23
	v_and_b32_e32 v2, 7, v2
	v_cndmask_b32_e32 v3, v22, v3, vcc
	v_cndmask_b32_e32 v0, v0, v2, vcc
	v_lshlrev_b32_e32 v2, 16, v24
	v_lshlrev_b32_e32 v0, 20, v0
	v_and_b32_e32 v2, 0x80000000, v2
	v_lshl_add_u32 v3, v3, 23, v43
	v_or3_b32 v0, v2, v3, v0
.LBB4_527:                              ;   in Loop: Header=BB4_126 Depth=2
	s_or_b64 exec, exec, s[94:95]
.LBB4_528:                              ;   in Loop: Header=BB4_126 Depth=2
	s_or_b64 exec, exec, s[92:93]
.LBB4_529:                              ;   in Loop: Header=BB4_126 Depth=2
	s_or_b64 exec, exec, s[22:23]
	v_cmp_ne_u16_e32 vcc, 0, v18
	s_and_saveexec_b64 s[22:23], vcc
	s_cbranch_execz .LBB4_535
; %bb.530:                              ;   in Loop: Header=BB4_126 Depth=2
	v_cmp_ne_u16_e32 vcc, s53, v18
	v_bfrev_b32_e32 v1, 1
	s_and_saveexec_b64 s[92:93], vcc
	s_cbranch_execz .LBB4_534
; %bb.531:                              ;   in Loop: Header=BB4_126 Depth=2
	v_and_b32_e32 v2, 0x7f, v18
	v_cmp_ne_u32_e32 vcc, s54, v2
	v_mov_b32_e32 v1, 0x7f800001
	s_and_saveexec_b64 s[94:95], vcc
	s_cbranch_execz .LBB4_533
; %bb.532:                              ;   in Loop: Header=BB4_126 Depth=2
	v_and_b32_e32 v3, 7, v18
	v_ffbh_u32_e32 v1, v3
	v_min_u32_e32 v23, 32, v1
	v_subrev_u32_e32 v1, 28, v23
	v_lshrrev_b32_e32 v22, 3, v2
	v_cmp_gt_u32_e32 vcc, 8, v2
	v_lshlrev_b64 v[1:2], v1, v[18:19]
	v_sub_u32_e32 v2, 29, v23
	v_and_b32_e32 v1, 7, v1
	v_cndmask_b32_e32 v2, v22, v2, vcc
	v_cndmask_b32_e32 v1, v3, v1, vcc
	v_lshlrev_b32_e32 v3, 16, v20
	v_lshlrev_b32_e32 v1, 20, v1
	v_and_b32_e32 v3, 0x80000000, v3
	v_lshl_add_u32 v2, v2, 23, v43
	v_or3_b32 v1, v3, v2, v1
.LBB4_533:                              ;   in Loop: Header=BB4_126 Depth=2
	s_or_b64 exec, exec, s[94:95]
.LBB4_534:                              ;   in Loop: Header=BB4_126 Depth=2
	s_or_b64 exec, exec, s[92:93]
.LBB4_535:                              ;   in Loop: Header=BB4_126 Depth=2
	s_or_b64 exec, exec, s[22:23]
	v_max_f32_e32 v1, v1, v1
	v_max_f32_e32 v0, v0, v0
	;; [unrolled: 1-line block ×3, first 2 shown]
	s_mov_b64 s[22:23], 0
.LBB4_536:                              ;   in Loop: Header=BB4_126 Depth=2
	s_and_b64 vcc, exec, s[22:23]
	s_cbranch_vccz .LBB4_550
; %bb.537:                              ;   in Loop: Header=BB4_126 Depth=2
	v_mov_b32_e32 v1, 0
	v_mov_b32_e32 v0, 0
	s_and_saveexec_b64 s[22:23], s[20:21]
	s_cbranch_execz .LBB4_543
; %bb.538:                              ;   in Loop: Header=BB4_126 Depth=2
	v_cmp_ne_u16_e32 vcc, s53, v19
	v_bfrev_b32_e32 v0, 1
	s_and_saveexec_b64 s[20:21], vcc
	s_cbranch_execz .LBB4_542
; %bb.539:                              ;   in Loop: Header=BB4_126 Depth=2
	v_and_b32_e32 v2, 0x7f, v19
	v_cmp_ne_u32_e32 vcc, s54, v2
	v_mov_b32_e32 v0, 0x7f800001
	s_and_saveexec_b64 s[92:93], vcc
	s_cbranch_execz .LBB4_541
; %bb.540:                              ;   in Loop: Header=BB4_126 Depth=2
	v_and_b32_e32 v0, 7, v19
	v_lshrrev_b32_e32 v22, 3, v2
	v_cmp_gt_u32_e32 vcc, 8, v2
	v_ffbh_u32_e32 v2, v0
	v_min_u32_e32 v23, 32, v2
	v_subrev_u32_e32 v2, 28, v23
	v_lshlrev_b64 v[2:3], v2, v[19:20]
	v_sub_u32_e32 v3, 29, v23
	v_and_b32_e32 v2, 7, v2
	v_cndmask_b32_e32 v3, v22, v3, vcc
	v_cndmask_b32_e32 v0, v0, v2, vcc
	v_lshlrev_b32_e32 v2, 16, v24
	v_lshlrev_b32_e32 v0, 20, v0
	v_and_b32_e32 v2, 0x80000000, v2
	v_lshl_add_u32 v3, v3, 23, v43
	v_or3_b32 v0, v2, v3, v0
.LBB4_541:                              ;   in Loop: Header=BB4_126 Depth=2
	s_or_b64 exec, exec, s[92:93]
.LBB4_542:                              ;   in Loop: Header=BB4_126 Depth=2
	s_or_b64 exec, exec, s[20:21]
.LBB4_543:                              ;   in Loop: Header=BB4_126 Depth=2
	s_or_b64 exec, exec, s[22:23]
	v_cmp_ne_u16_e32 vcc, 0, v18
	s_and_saveexec_b64 s[20:21], vcc
	s_cbranch_execz .LBB4_549
; %bb.544:                              ;   in Loop: Header=BB4_126 Depth=2
	v_cmp_ne_u16_e32 vcc, s53, v18
	v_bfrev_b32_e32 v1, 1
	s_and_saveexec_b64 s[22:23], vcc
	s_cbranch_execz .LBB4_548
; %bb.545:                              ;   in Loop: Header=BB4_126 Depth=2
	v_and_b32_e32 v2, 0x7f, v18
	v_cmp_ne_u32_e32 vcc, s54, v2
	v_mov_b32_e32 v1, 0x7f800001
	s_and_saveexec_b64 s[92:93], vcc
	s_cbranch_execz .LBB4_547
; %bb.546:                              ;   in Loop: Header=BB4_126 Depth=2
	v_and_b32_e32 v3, 7, v18
	v_ffbh_u32_e32 v1, v3
	v_min_u32_e32 v22, 32, v1
	v_lshrrev_b32_e32 v19, 3, v2
	v_subrev_u32_e32 v1, 28, v22
	v_cmp_gt_u32_e32 vcc, 8, v2
	v_lshlrev_b64 v[1:2], v1, v[18:19]
	v_sub_u32_e32 v2, 29, v22
	v_and_b32_e32 v1, 7, v1
	v_cndmask_b32_e32 v2, v19, v2, vcc
	v_cndmask_b32_e32 v1, v3, v1, vcc
	v_lshlrev_b32_e32 v3, 16, v20
	v_lshlrev_b32_e32 v1, 20, v1
	v_and_b32_e32 v3, 0x80000000, v3
	v_lshl_add_u32 v2, v2, 23, v43
	v_or3_b32 v1, v3, v2, v1
.LBB4_547:                              ;   in Loop: Header=BB4_126 Depth=2
	s_or_b64 exec, exec, s[92:93]
.LBB4_548:                              ;   in Loop: Header=BB4_126 Depth=2
	s_or_b64 exec, exec, s[22:23]
.LBB4_549:                              ;   in Loop: Header=BB4_126 Depth=2
	s_or_b64 exec, exec, s[20:21]
	v_max_f32_e32 v1, v1, v1
	v_max_f32_e32 v0, v0, v0
	v_min_f32_e32 v1, v0, v1
.LBB4_550:                              ;   in Loop: Header=BB4_126 Depth=2
	v_and_b32_e32 v52, 0x7f800000, v1
	v_cmp_ne_u64_e32 vcc, s[72:73], v[52:53]
                                        ; implicit-def: $vgpr29
	s_and_saveexec_b64 s[20:21], vcc
	s_xor_b64 s[22:23], exec, s[20:21]
	s_cbranch_execz .LBB4_564
; %bb.551:                              ;   in Loop: Header=BB4_126 Depth=2
	v_and_b32_e32 v52, 0x7fffffff, v1
	v_cmp_gt_u64_e32 vcc, s[74:75], v[52:53]
	v_and_b32_sdwa v0, v1, s53 dst_sel:DWORD dst_unused:UNUSED_PAD src0_sel:BYTE_3 src1_sel:DWORD
                                        ; implicit-def: $vgpr29
	s_and_saveexec_b64 s[20:21], vcc
	s_xor_b64 s[92:93], exec, s[20:21]
	s_cbranch_execz .LBB4_561
; %bb.552:                              ;   in Loop: Header=BB4_126 Depth=2
	v_mov_b32_e32 v29, 0
	v_cmp_ne_u32_e32 vcc, 0, v1
	s_and_saveexec_b64 s[94:95], vcc
	s_cbranch_execz .LBB4_560
; %bb.553:                              ;   in Loop: Header=BB4_126 Depth=2
	v_and_b32_e32 v2, 0x7fffff, v1
	v_bfe_u32 v1, v1, 23, 8
	v_cmp_gt_u32_e64 s[20:21], s64, v1
	v_sub_u32_e32 v3, 0x79, v1
	v_cmp_eq_u32_e32 vcc, 0, v1
	v_cndmask_b32_e64 v3, 0, v3, s[20:21]
	v_mov_b32_e32 v19, 0x78
	v_or_b32_e32 v18, 0x800000, v2
	v_cndmask_b32_e32 v22, v3, v19, vcc
	v_cndmask_b32_e32 v52, v18, v2, vcc
	v_add_u32_e32 v2, 20, v22
	v_lshlrev_b64 v[2:3], v2, -1
	v_add_u32_e32 v18, 19, v22
	v_lshlrev_b64 v[18:19], v18, 1
	v_bfi_b32 v3, v3, 0, 0
	v_bfi_b32 v2, v2, 0, v52
	v_cmp_eq_u64_e64 s[20:21], v[2:3], v[18:19]
	v_lshrrev_b64 v[18:19], v22, v[52:53]
	v_mov_b32_e32 v2, v18
	v_mov_b32_e32 v3, v19
	s_and_saveexec_b64 s[30:31], s[20:21]
; %bb.554:                              ;   in Loop: Header=BB4_126 Depth=2
	v_bfe_u32 v2, v18, 20, 1
	v_add_co_u32_e64 v2, s[20:21], v18, v2
	v_add_co_u32_e64 v2, s[20:21], -1, v2
; %bb.555:                              ;   in Loop: Header=BB4_126 Depth=2
	s_or_b64 exec, exec, s[30:31]
	v_add_u32_e32 v1, 0xffffff81, v1
	v_cndmask_b32_e32 v1, v1, v49, vcc
	v_lshrrev_b32_e32 v3, 23, v18
	v_add3_u32 v22, v22, v1, v3
	v_add_u32_e32 v3, 6, v22
	v_and_b32_e32 v1, 0xfffff, v2
	v_add_u32_e32 v52, v1, v18
	v_cmp_ne_u32_e32 vcc, 0, v3
                                        ; implicit-def: $vgpr18_vgpr19
                                        ; implicit-def: $vgpr1
	s_and_saveexec_b64 s[20:21], vcc
	s_xor_b64 s[20:21], exec, s[20:21]
; %bb.556:                              ;   in Loop: Header=BB4_126 Depth=2
	v_cmp_lt_u64_e32 vcc, s[76:77], v[52:53]
	v_add_u32_e32 v1, 7, v22
	v_cndmask_b32_e64 v2, 0, 1, vcc
	v_cndmask_b32_e32 v1, v3, v1, vcc
	v_lshrrev_b64 v[18:19], v2, v[52:53]
; %bb.557:                              ;   in Loop: Header=BB4_126 Depth=2
	s_andn2_saveexec_b64 s[20:21], s[20:21]
; %bb.558:                              ;   in Loop: Header=BB4_126 Depth=2
	v_mov_b32_e32 v18, v52
	v_bfe_u32 v1, v52, 23, 1
	v_mov_b32_e32 v19, v53
; %bb.559:                              ;   in Loop: Header=BB4_126 Depth=2
	s_or_b64 exec, exec, s[20:21]
	v_lshrrev_b64 v[2:3], 20, v[18:19]
	v_cmp_gt_i32_e32 vcc, 16, v1
	v_cndmask_b32_e32 v3, 0, v3, vcc
	v_cndmask_b32_e32 v2, 7, v2, vcc
	v_cmp_eq_u32_e32 vcc, 0, v1
	v_min_i32_e32 v1, 15, v1
	v_cmp_eq_u64_e64 s[20:21], 0, v[2:3]
	v_lshlrev_b32_e32 v1, 3, v1
	v_and_b32_e32 v1, 0xf8, v1
	v_and_or_b32 v1, v2, 7, v1
	s_and_b64 s[20:21], vcc, s[20:21]
	v_cndmask_b32_e64 v1, v1, 0, s[20:21]
	v_or_b32_e32 v29, v1, v0
.LBB4_560:                              ;   in Loop: Header=BB4_126 Depth=2
	s_or_b64 exec, exec, s[94:95]
                                        ; implicit-def: $vgpr0
.LBB4_561:                              ;   in Loop: Header=BB4_126 Depth=2
	s_andn2_saveexec_b64 s[20:21], s[92:93]
; %bb.562:                              ;   in Loop: Header=BB4_126 Depth=2
	v_or_b32_e32 v29, 0x7e, v0
; %bb.563:                              ;   in Loop: Header=BB4_126 Depth=2
	s_or_b64 exec, exec, s[20:21]
                                        ; implicit-def: $vgpr1
.LBB4_564:                              ;   in Loop: Header=BB4_126 Depth=2
	s_andn2_saveexec_b64 s[20:21], s[22:23]
; %bb.565:                              ;   in Loop: Header=BB4_126 Depth=2
	v_or_b32_sdwa v29, v1, s54 dst_sel:DWORD dst_unused:UNUSED_PAD src0_sel:BYTE_3 src1_sel:DWORD
; %bb.566:                              ;   in Loop: Header=BB4_126 Depth=2
	s_or_b64 exec, exec, s[20:21]
	v_lshrrev_b32_e32 v19, 16, v24
	v_lshrrev_b32_e32 v18, 16, v20
	v_cmp_ne_u16_sdwa s[20:21], v19, v53 src0_sel:BYTE_0 src1_sel:DWORD
	s_mov_b64 s[22:23], -1
	s_and_b64 vcc, exec, s[28:29]
                                        ; implicit-def: $vgpr1
	s_cbranch_vccz .LBB4_580
; %bb.567:                              ;   in Loop: Header=BB4_126 Depth=2
	v_mov_b32_e32 v1, 0
	v_mov_b32_e32 v0, 0
	s_and_saveexec_b64 s[22:23], s[20:21]
	s_cbranch_execz .LBB4_573
; %bb.568:                              ;   in Loop: Header=BB4_126 Depth=2
	v_cmp_ne_u16_sdwa s[94:95], v19, s53 src0_sel:BYTE_0 src1_sel:DWORD
	v_bfrev_b32_e32 v0, 1
	s_and_saveexec_b64 s[92:93], s[94:95]
	s_cbranch_execz .LBB4_572
; %bb.569:                              ;   in Loop: Header=BB4_126 Depth=2
	v_bfe_u32 v2, v24, 16, 7
	v_cmp_ne_u32_e32 vcc, s54, v2
	v_mov_b32_e32 v0, 0x7f800001
	s_and_saveexec_b64 s[94:95], vcc
	s_cbranch_execz .LBB4_571
; %bb.570:                              ;   in Loop: Header=BB4_126 Depth=2
	v_and_b32_e32 v0, 7, v19
	v_lshrrev_b32_e32 v22, 3, v2
	v_cmp_gt_u32_e32 vcc, 8, v2
	v_ffbh_u32_e32 v2, v0
	v_min_u32_e32 v23, 32, v2
	v_subrev_u32_e32 v2, 28, v23
	v_lshlrev_b64 v[2:3], v2, v[19:20]
	v_sub_u32_e32 v3, 29, v23
	v_and_b32_e32 v2, 7, v2
	v_cndmask_b32_e32 v3, v22, v3, vcc
	v_cndmask_b32_e32 v0, v0, v2, vcc
	v_lshlrev_b32_e32 v2, 24, v19
	v_lshlrev_b32_e32 v0, 20, v0
	v_and_b32_e32 v2, 0x80000000, v2
	v_lshl_add_u32 v3, v3, 23, v43
	v_or3_b32 v0, v2, v3, v0
.LBB4_571:                              ;   in Loop: Header=BB4_126 Depth=2
	s_or_b64 exec, exec, s[94:95]
.LBB4_572:                              ;   in Loop: Header=BB4_126 Depth=2
	s_or_b64 exec, exec, s[92:93]
.LBB4_573:                              ;   in Loop: Header=BB4_126 Depth=2
	s_or_b64 exec, exec, s[22:23]
	v_cmp_ne_u16_sdwa s[92:93], v18, v53 src0_sel:BYTE_0 src1_sel:DWORD
	s_and_saveexec_b64 s[22:23], s[92:93]
	s_cbranch_execz .LBB4_579
; %bb.574:                              ;   in Loop: Header=BB4_126 Depth=2
	v_cmp_ne_u16_sdwa s[94:95], v18, s53 src0_sel:BYTE_0 src1_sel:DWORD
	v_bfrev_b32_e32 v1, 1
	s_and_saveexec_b64 s[92:93], s[94:95]
	s_cbranch_execz .LBB4_578
; %bb.575:                              ;   in Loop: Header=BB4_126 Depth=2
	v_bfe_u32 v2, v20, 16, 7
	v_cmp_ne_u32_e32 vcc, s54, v2
	v_mov_b32_e32 v1, 0x7f800001
	s_and_saveexec_b64 s[94:95], vcc
	s_cbranch_execz .LBB4_577
; %bb.576:                              ;   in Loop: Header=BB4_126 Depth=2
	v_and_b32_e32 v3, 7, v18
	v_ffbh_u32_e32 v1, v3
	v_min_u32_e32 v23, 32, v1
	v_subrev_u32_e32 v1, 28, v23
	v_lshrrev_b32_e32 v22, 3, v2
	v_cmp_gt_u32_e32 vcc, 8, v2
	v_lshlrev_b64 v[1:2], v1, v[18:19]
	v_sub_u32_e32 v2, 29, v23
	v_and_b32_e32 v1, 7, v1
	v_cndmask_b32_e32 v2, v22, v2, vcc
	v_cndmask_b32_e32 v1, v3, v1, vcc
	v_lshlrev_b32_e32 v3, 24, v18
	v_lshlrev_b32_e32 v1, 20, v1
	v_and_b32_e32 v3, 0x80000000, v3
	v_lshl_add_u32 v2, v2, 23, v43
	v_or3_b32 v1, v3, v2, v1
.LBB4_577:                              ;   in Loop: Header=BB4_126 Depth=2
	s_or_b64 exec, exec, s[94:95]
.LBB4_578:                              ;   in Loop: Header=BB4_126 Depth=2
	s_or_b64 exec, exec, s[92:93]
.LBB4_579:                              ;   in Loop: Header=BB4_126 Depth=2
	s_or_b64 exec, exec, s[22:23]
	v_max_f32_e32 v1, v1, v1
	v_max_f32_e32 v0, v0, v0
	v_max_f32_e32 v1, v0, v1
	s_mov_b64 s[22:23], 0
.LBB4_580:                              ;   in Loop: Header=BB4_126 Depth=2
	s_and_b64 vcc, exec, s[22:23]
	s_cbranch_vccz .LBB4_594
; %bb.581:                              ;   in Loop: Header=BB4_126 Depth=2
	v_mov_b32_e32 v1, 0
	v_mov_b32_e32 v0, 0
	s_and_saveexec_b64 s[22:23], s[20:21]
	s_cbranch_execz .LBB4_587
; %bb.582:                              ;   in Loop: Header=BB4_126 Depth=2
	v_cmp_ne_u16_sdwa s[92:93], v19, s53 src0_sel:BYTE_0 src1_sel:DWORD
	v_bfrev_b32_e32 v0, 1
	s_and_saveexec_b64 s[20:21], s[92:93]
	s_cbranch_execz .LBB4_586
; %bb.583:                              ;   in Loop: Header=BB4_126 Depth=2
	v_bfe_u32 v2, v24, 16, 7
	v_cmp_ne_u32_e32 vcc, s54, v2
	v_mov_b32_e32 v0, 0x7f800001
	s_and_saveexec_b64 s[92:93], vcc
	s_cbranch_execz .LBB4_585
; %bb.584:                              ;   in Loop: Header=BB4_126 Depth=2
	v_and_b32_e32 v0, 7, v19
	v_lshrrev_b32_e32 v22, 3, v2
	v_cmp_gt_u32_e32 vcc, 8, v2
	v_ffbh_u32_e32 v2, v0
	v_min_u32_e32 v23, 32, v2
	v_subrev_u32_e32 v2, 28, v23
	v_lshlrev_b64 v[2:3], v2, v[19:20]
	v_sub_u32_e32 v3, 29, v23
	v_and_b32_e32 v2, 7, v2
	v_cndmask_b32_e32 v3, v22, v3, vcc
	v_cndmask_b32_e32 v0, v0, v2, vcc
	v_lshlrev_b32_e32 v2, 24, v19
	v_lshlrev_b32_e32 v0, 20, v0
	v_and_b32_e32 v2, 0x80000000, v2
	v_lshl_add_u32 v3, v3, 23, v43
	v_or3_b32 v0, v2, v3, v0
.LBB4_585:                              ;   in Loop: Header=BB4_126 Depth=2
	s_or_b64 exec, exec, s[92:93]
.LBB4_586:                              ;   in Loop: Header=BB4_126 Depth=2
	s_or_b64 exec, exec, s[20:21]
.LBB4_587:                              ;   in Loop: Header=BB4_126 Depth=2
	s_or_b64 exec, exec, s[22:23]
	v_cmp_ne_u16_sdwa s[22:23], v18, v53 src0_sel:BYTE_0 src1_sel:DWORD
	s_and_saveexec_b64 s[20:21], s[22:23]
	s_cbranch_execz .LBB4_593
; %bb.588:                              ;   in Loop: Header=BB4_126 Depth=2
	v_cmp_ne_u16_sdwa s[92:93], v18, s53 src0_sel:BYTE_0 src1_sel:DWORD
	v_bfrev_b32_e32 v1, 1
	s_and_saveexec_b64 s[22:23], s[92:93]
	s_cbranch_execz .LBB4_592
; %bb.589:                              ;   in Loop: Header=BB4_126 Depth=2
	v_bfe_u32 v2, v20, 16, 7
	v_cmp_ne_u32_e32 vcc, s54, v2
	v_mov_b32_e32 v1, 0x7f800001
	s_and_saveexec_b64 s[92:93], vcc
	s_cbranch_execz .LBB4_591
; %bb.590:                              ;   in Loop: Header=BB4_126 Depth=2
	v_and_b32_e32 v3, 7, v18
	v_ffbh_u32_e32 v1, v3
	v_min_u32_e32 v22, 32, v1
	v_lshrrev_b32_e32 v19, 3, v2
	v_subrev_u32_e32 v1, 28, v22
	v_cmp_gt_u32_e32 vcc, 8, v2
	v_lshlrev_b64 v[1:2], v1, v[18:19]
	v_sub_u32_e32 v2, 29, v22
	v_and_b32_e32 v1, 7, v1
	v_cndmask_b32_e32 v2, v19, v2, vcc
	v_cndmask_b32_e32 v1, v3, v1, vcc
	v_lshlrev_b32_e32 v3, 24, v18
	v_lshlrev_b32_e32 v1, 20, v1
	v_and_b32_e32 v3, 0x80000000, v3
	v_lshl_add_u32 v2, v2, 23, v43
	v_or3_b32 v1, v3, v2, v1
.LBB4_591:                              ;   in Loop: Header=BB4_126 Depth=2
	s_or_b64 exec, exec, s[92:93]
.LBB4_592:                              ;   in Loop: Header=BB4_126 Depth=2
	s_or_b64 exec, exec, s[22:23]
.LBB4_593:                              ;   in Loop: Header=BB4_126 Depth=2
	s_or_b64 exec, exec, s[20:21]
	v_max_f32_e32 v1, v1, v1
	v_max_f32_e32 v0, v0, v0
	v_min_f32_e32 v1, v0, v1
.LBB4_594:                              ;   in Loop: Header=BB4_126 Depth=2
	v_and_b32_e32 v52, 0x7f800000, v1
	v_cmp_ne_u64_e32 vcc, s[72:73], v[52:53]
                                        ; implicit-def: $vgpr34
	s_and_saveexec_b64 s[20:21], vcc
	s_xor_b64 s[22:23], exec, s[20:21]
	s_cbranch_execz .LBB4_608
; %bb.595:                              ;   in Loop: Header=BB4_126 Depth=2
	v_and_b32_e32 v52, 0x7fffffff, v1
	v_cmp_gt_u64_e32 vcc, s[74:75], v[52:53]
	v_and_b32_sdwa v0, v1, s53 dst_sel:DWORD dst_unused:UNUSED_PAD src0_sel:BYTE_3 src1_sel:DWORD
                                        ; implicit-def: $vgpr34
	s_and_saveexec_b64 s[20:21], vcc
	s_xor_b64 s[92:93], exec, s[20:21]
	s_cbranch_execz .LBB4_605
; %bb.596:                              ;   in Loop: Header=BB4_126 Depth=2
	v_mov_b32_e32 v34, 0
	v_cmp_ne_u32_e32 vcc, 0, v1
	s_and_saveexec_b64 s[94:95], vcc
	s_cbranch_execz .LBB4_604
; %bb.597:                              ;   in Loop: Header=BB4_126 Depth=2
	v_and_b32_e32 v2, 0x7fffff, v1
	v_bfe_u32 v1, v1, 23, 8
	v_cmp_gt_u32_e64 s[20:21], s64, v1
	v_sub_u32_e32 v3, 0x79, v1
	v_cmp_eq_u32_e32 vcc, 0, v1
	v_cndmask_b32_e64 v3, 0, v3, s[20:21]
	v_mov_b32_e32 v19, 0x78
	v_or_b32_e32 v18, 0x800000, v2
	v_cndmask_b32_e32 v22, v3, v19, vcc
	v_cndmask_b32_e32 v52, v18, v2, vcc
	v_add_u32_e32 v2, 20, v22
	v_lshlrev_b64 v[2:3], v2, -1
	v_add_u32_e32 v18, 19, v22
	v_lshlrev_b64 v[18:19], v18, 1
	v_bfi_b32 v3, v3, 0, 0
	v_bfi_b32 v2, v2, 0, v52
	v_cmp_eq_u64_e64 s[20:21], v[2:3], v[18:19]
	v_lshrrev_b64 v[18:19], v22, v[52:53]
	v_mov_b32_e32 v2, v18
	v_mov_b32_e32 v3, v19
	s_and_saveexec_b64 s[30:31], s[20:21]
; %bb.598:                              ;   in Loop: Header=BB4_126 Depth=2
	v_bfe_u32 v2, v18, 20, 1
	v_add_co_u32_e64 v2, s[20:21], v18, v2
	v_add_co_u32_e64 v2, s[20:21], -1, v2
; %bb.599:                              ;   in Loop: Header=BB4_126 Depth=2
	s_or_b64 exec, exec, s[30:31]
	v_add_u32_e32 v1, 0xffffff81, v1
	v_cndmask_b32_e32 v1, v1, v49, vcc
	v_lshrrev_b32_e32 v3, 23, v18
	v_add3_u32 v22, v22, v1, v3
	v_add_u32_e32 v3, 6, v22
	v_and_b32_e32 v1, 0xfffff, v2
	v_add_u32_e32 v52, v1, v18
	v_cmp_ne_u32_e32 vcc, 0, v3
                                        ; implicit-def: $vgpr18_vgpr19
                                        ; implicit-def: $vgpr1
	s_and_saveexec_b64 s[20:21], vcc
	s_xor_b64 s[20:21], exec, s[20:21]
; %bb.600:                              ;   in Loop: Header=BB4_126 Depth=2
	v_cmp_lt_u64_e32 vcc, s[76:77], v[52:53]
	v_add_u32_e32 v1, 7, v22
	v_cndmask_b32_e64 v2, 0, 1, vcc
	v_cndmask_b32_e32 v1, v3, v1, vcc
	v_lshrrev_b64 v[18:19], v2, v[52:53]
; %bb.601:                              ;   in Loop: Header=BB4_126 Depth=2
	s_andn2_saveexec_b64 s[20:21], s[20:21]
; %bb.602:                              ;   in Loop: Header=BB4_126 Depth=2
	v_mov_b32_e32 v18, v52
	v_bfe_u32 v1, v52, 23, 1
	v_mov_b32_e32 v19, v53
; %bb.603:                              ;   in Loop: Header=BB4_126 Depth=2
	s_or_b64 exec, exec, s[20:21]
	v_lshrrev_b64 v[2:3], 20, v[18:19]
	v_cmp_gt_i32_e32 vcc, 16, v1
	v_cndmask_b32_e32 v3, 0, v3, vcc
	v_cndmask_b32_e32 v2, 7, v2, vcc
	v_cmp_eq_u32_e32 vcc, 0, v1
	v_min_i32_e32 v1, 15, v1
	v_cmp_eq_u64_e64 s[20:21], 0, v[2:3]
	v_lshlrev_b32_e32 v1, 3, v1
	v_and_b32_e32 v1, 0xf8, v1
	v_and_or_b32 v1, v2, 7, v1
	s_and_b64 s[20:21], vcc, s[20:21]
	v_cndmask_b32_e64 v1, v1, 0, s[20:21]
	v_or_b32_e32 v34, v1, v0
.LBB4_604:                              ;   in Loop: Header=BB4_126 Depth=2
	s_or_b64 exec, exec, s[94:95]
                                        ; implicit-def: $vgpr0
.LBB4_605:                              ;   in Loop: Header=BB4_126 Depth=2
	s_andn2_saveexec_b64 s[20:21], s[92:93]
; %bb.606:                              ;   in Loop: Header=BB4_126 Depth=2
	v_or_b32_e32 v34, 0x7e, v0
; %bb.607:                              ;   in Loop: Header=BB4_126 Depth=2
	s_or_b64 exec, exec, s[20:21]
                                        ; implicit-def: $vgpr1
.LBB4_608:                              ;   in Loop: Header=BB4_126 Depth=2
	s_andn2_saveexec_b64 s[20:21], s[22:23]
; %bb.609:                              ;   in Loop: Header=BB4_126 Depth=2
	v_or_b32_sdwa v34, v1, s54 dst_sel:DWORD dst_unused:UNUSED_PAD src0_sel:BYTE_3 src1_sel:DWORD
; %bb.610:                              ;   in Loop: Header=BB4_126 Depth=2
	s_or_b64 exec, exec, s[20:21]
	v_lshrrev_b32_e32 v19, 24, v24
	v_lshrrev_b32_e32 v18, 24, v20
	v_cmp_lt_u32_e64 s[20:21], s79, v24
	s_mov_b64 s[22:23], -1
	s_and_b64 vcc, exec, s[28:29]
                                        ; implicit-def: $vgpr1
	s_cbranch_vccz .LBB4_624
; %bb.611:                              ;   in Loop: Header=BB4_126 Depth=2
	v_mov_b32_e32 v1, 0
	v_mov_b32_e32 v0, 0
	s_and_saveexec_b64 s[22:23], s[20:21]
	s_cbranch_execz .LBB4_617
; %bb.612:                              ;   in Loop: Header=BB4_126 Depth=2
	v_cmp_ne_u32_e32 vcc, s53, v19
	v_bfrev_b32_e32 v0, 1
	s_and_saveexec_b64 s[92:93], vcc
	s_cbranch_execz .LBB4_616
; %bb.613:                              ;   in Loop: Header=BB4_126 Depth=2
	v_bfe_u32 v2, v24, 24, 7
	v_cmp_ne_u32_e32 vcc, s54, v2
	v_mov_b32_e32 v0, 0x7f800001
	s_and_saveexec_b64 s[94:95], vcc
	s_cbranch_execz .LBB4_615
; %bb.614:                              ;   in Loop: Header=BB4_126 Depth=2
	v_and_b32_e32 v0, 7, v19
	v_lshrrev_b32_e32 v22, 3, v2
	v_cmp_gt_u32_e32 vcc, 8, v2
	v_ffbh_u32_e32 v2, v0
	v_min_u32_e32 v23, 32, v2
	v_subrev_u32_e32 v2, 28, v23
	v_lshlrev_b64 v[2:3], v2, v[19:20]
	v_sub_u32_e32 v3, 29, v23
	v_and_b32_e32 v2, 7, v2
	v_cndmask_b32_e32 v3, v22, v3, vcc
	v_cndmask_b32_e32 v0, v0, v2, vcc
	v_lshlrev_b32_e32 v2, 24, v19
	v_lshlrev_b32_e32 v0, 20, v0
	v_and_b32_e32 v2, 0x80000000, v2
	v_lshl_add_u32 v3, v3, 23, v43
	v_or3_b32 v0, v2, v3, v0
.LBB4_615:                              ;   in Loop: Header=BB4_126 Depth=2
	s_or_b64 exec, exec, s[94:95]
.LBB4_616:                              ;   in Loop: Header=BB4_126 Depth=2
	s_or_b64 exec, exec, s[92:93]
.LBB4_617:                              ;   in Loop: Header=BB4_126 Depth=2
	s_or_b64 exec, exec, s[22:23]
	v_cmp_lt_u32_e32 vcc, s79, v20
	s_and_saveexec_b64 s[22:23], vcc
	s_cbranch_execz .LBB4_623
; %bb.618:                              ;   in Loop: Header=BB4_126 Depth=2
	v_cmp_ne_u32_e32 vcc, s53, v18
	v_bfrev_b32_e32 v1, 1
	s_and_saveexec_b64 s[92:93], vcc
	s_cbranch_execz .LBB4_622
; %bb.619:                              ;   in Loop: Header=BB4_126 Depth=2
	v_bfe_u32 v2, v20, 24, 7
	v_cmp_ne_u32_e32 vcc, s54, v2
	v_mov_b32_e32 v1, 0x7f800001
	s_and_saveexec_b64 s[94:95], vcc
	s_cbranch_execz .LBB4_621
; %bb.620:                              ;   in Loop: Header=BB4_126 Depth=2
	v_and_b32_e32 v3, 7, v18
	v_ffbh_u32_e32 v1, v3
	v_min_u32_e32 v23, 32, v1
	v_subrev_u32_e32 v1, 28, v23
	v_lshrrev_b32_e32 v22, 3, v2
	v_cmp_gt_u32_e32 vcc, 8, v2
	v_lshlrev_b64 v[1:2], v1, v[18:19]
	v_sub_u32_e32 v2, 29, v23
	v_and_b32_e32 v1, 7, v1
	v_cndmask_b32_e32 v2, v22, v2, vcc
	v_cndmask_b32_e32 v1, v3, v1, vcc
	v_lshlrev_b32_e32 v3, 24, v18
	v_lshlrev_b32_e32 v1, 20, v1
	v_and_b32_e32 v3, 0x80000000, v3
	v_lshl_add_u32 v2, v2, 23, v43
	v_or3_b32 v1, v3, v2, v1
.LBB4_621:                              ;   in Loop: Header=BB4_126 Depth=2
	s_or_b64 exec, exec, s[94:95]
.LBB4_622:                              ;   in Loop: Header=BB4_126 Depth=2
	s_or_b64 exec, exec, s[92:93]
.LBB4_623:                              ;   in Loop: Header=BB4_126 Depth=2
	s_or_b64 exec, exec, s[22:23]
	v_max_f32_e32 v1, v1, v1
	v_max_f32_e32 v0, v0, v0
	;; [unrolled: 1-line block ×3, first 2 shown]
	s_mov_b64 s[22:23], 0
.LBB4_624:                              ;   in Loop: Header=BB4_126 Depth=2
	s_and_b64 vcc, exec, s[22:23]
	s_cbranch_vccz .LBB4_638
; %bb.625:                              ;   in Loop: Header=BB4_126 Depth=2
	v_mov_b32_e32 v1, 0
	v_mov_b32_e32 v0, 0
	s_and_saveexec_b64 s[22:23], s[20:21]
	s_cbranch_execz .LBB4_631
; %bb.626:                              ;   in Loop: Header=BB4_126 Depth=2
	v_cmp_ne_u32_e32 vcc, s53, v19
	v_bfrev_b32_e32 v0, 1
	s_and_saveexec_b64 s[20:21], vcc
	s_cbranch_execz .LBB4_630
; %bb.627:                              ;   in Loop: Header=BB4_126 Depth=2
	v_bfe_u32 v2, v24, 24, 7
	v_cmp_ne_u32_e32 vcc, s54, v2
	v_mov_b32_e32 v0, 0x7f800001
	s_and_saveexec_b64 s[92:93], vcc
	s_cbranch_execz .LBB4_629
; %bb.628:                              ;   in Loop: Header=BB4_126 Depth=2
	v_and_b32_e32 v0, 7, v19
	v_lshrrev_b32_e32 v22, 3, v2
	v_cmp_gt_u32_e32 vcc, 8, v2
	v_ffbh_u32_e32 v2, v0
	v_min_u32_e32 v23, 32, v2
	v_subrev_u32_e32 v2, 28, v23
	v_lshlrev_b64 v[2:3], v2, v[19:20]
	v_sub_u32_e32 v3, 29, v23
	v_and_b32_e32 v2, 7, v2
	v_cndmask_b32_e32 v3, v22, v3, vcc
	v_cndmask_b32_e32 v0, v0, v2, vcc
	v_lshlrev_b32_e32 v2, 24, v19
	v_lshlrev_b32_e32 v0, 20, v0
	v_and_b32_e32 v2, 0x80000000, v2
	v_lshl_add_u32 v3, v3, 23, v43
	v_or3_b32 v0, v2, v3, v0
.LBB4_629:                              ;   in Loop: Header=BB4_126 Depth=2
	s_or_b64 exec, exec, s[92:93]
.LBB4_630:                              ;   in Loop: Header=BB4_126 Depth=2
	s_or_b64 exec, exec, s[20:21]
.LBB4_631:                              ;   in Loop: Header=BB4_126 Depth=2
	s_or_b64 exec, exec, s[22:23]
	v_cmp_lt_u32_e32 vcc, s79, v20
	s_and_saveexec_b64 s[20:21], vcc
	s_cbranch_execz .LBB4_637
; %bb.632:                              ;   in Loop: Header=BB4_126 Depth=2
	v_cmp_ne_u32_e32 vcc, s53, v18
	v_bfrev_b32_e32 v1, 1
	s_and_saveexec_b64 s[22:23], vcc
	s_cbranch_execz .LBB4_636
; %bb.633:                              ;   in Loop: Header=BB4_126 Depth=2
	v_bfe_u32 v2, v20, 24, 7
	v_cmp_ne_u32_e32 vcc, s54, v2
	v_mov_b32_e32 v1, 0x7f800001
	s_and_saveexec_b64 s[92:93], vcc
	s_cbranch_execz .LBB4_635
; %bb.634:                              ;   in Loop: Header=BB4_126 Depth=2
	v_and_b32_e32 v3, 7, v18
	v_ffbh_u32_e32 v1, v3
	v_min_u32_e32 v22, 32, v1
	v_lshrrev_b32_e32 v19, 3, v2
	v_subrev_u32_e32 v1, 28, v22
	v_cmp_gt_u32_e32 vcc, 8, v2
	v_lshlrev_b64 v[1:2], v1, v[18:19]
	v_sub_u32_e32 v2, 29, v22
	v_and_b32_e32 v1, 7, v1
	v_cndmask_b32_e32 v2, v19, v2, vcc
	v_cndmask_b32_e32 v1, v3, v1, vcc
	v_lshlrev_b32_e32 v3, 24, v18
	v_lshlrev_b32_e32 v1, 20, v1
	v_and_b32_e32 v3, 0x80000000, v3
	v_lshl_add_u32 v2, v2, 23, v43
	v_or3_b32 v1, v3, v2, v1
.LBB4_635:                              ;   in Loop: Header=BB4_126 Depth=2
	s_or_b64 exec, exec, s[92:93]
.LBB4_636:                              ;   in Loop: Header=BB4_126 Depth=2
	s_or_b64 exec, exec, s[22:23]
.LBB4_637:                              ;   in Loop: Header=BB4_126 Depth=2
	s_or_b64 exec, exec, s[20:21]
	v_max_f32_e32 v1, v1, v1
	v_max_f32_e32 v0, v0, v0
	v_min_f32_e32 v1, v0, v1
.LBB4_638:                              ;   in Loop: Header=BB4_126 Depth=2
	v_and_b32_e32 v52, 0x7f800000, v1
	v_cmp_ne_u64_e32 vcc, s[72:73], v[52:53]
                                        ; implicit-def: $vgpr35
	s_and_saveexec_b64 s[20:21], vcc
	s_xor_b64 s[22:23], exec, s[20:21]
	s_cbranch_execz .LBB4_652
; %bb.639:                              ;   in Loop: Header=BB4_126 Depth=2
	v_and_b32_e32 v52, 0x7fffffff, v1
	v_cmp_gt_u64_e32 vcc, s[74:75], v[52:53]
	v_and_b32_sdwa v0, v1, s53 dst_sel:DWORD dst_unused:UNUSED_PAD src0_sel:BYTE_3 src1_sel:DWORD
                                        ; implicit-def: $vgpr35
	s_and_saveexec_b64 s[20:21], vcc
	s_xor_b64 s[92:93], exec, s[20:21]
	s_cbranch_execz .LBB4_649
; %bb.640:                              ;   in Loop: Header=BB4_126 Depth=2
	v_mov_b32_e32 v35, 0
	v_cmp_ne_u32_e32 vcc, 0, v1
	s_and_saveexec_b64 s[94:95], vcc
	s_cbranch_execz .LBB4_648
; %bb.641:                              ;   in Loop: Header=BB4_126 Depth=2
	v_and_b32_e32 v2, 0x7fffff, v1
	v_bfe_u32 v1, v1, 23, 8
	v_cmp_gt_u32_e64 s[20:21], s64, v1
	v_sub_u32_e32 v3, 0x79, v1
	v_cmp_eq_u32_e32 vcc, 0, v1
	v_cndmask_b32_e64 v3, 0, v3, s[20:21]
	v_mov_b32_e32 v19, 0x78
	v_or_b32_e32 v18, 0x800000, v2
	v_cndmask_b32_e32 v22, v3, v19, vcc
	v_cndmask_b32_e32 v52, v18, v2, vcc
	v_add_u32_e32 v2, 20, v22
	v_lshlrev_b64 v[2:3], v2, -1
	v_add_u32_e32 v18, 19, v22
	v_lshlrev_b64 v[18:19], v18, 1
	v_bfi_b32 v3, v3, 0, 0
	v_bfi_b32 v2, v2, 0, v52
	v_cmp_eq_u64_e64 s[20:21], v[2:3], v[18:19]
	v_lshrrev_b64 v[18:19], v22, v[52:53]
	v_mov_b32_e32 v2, v18
	v_mov_b32_e32 v3, v19
	s_and_saveexec_b64 s[30:31], s[20:21]
; %bb.642:                              ;   in Loop: Header=BB4_126 Depth=2
	v_bfe_u32 v2, v18, 20, 1
	v_add_co_u32_e64 v2, s[20:21], v18, v2
	v_add_co_u32_e64 v2, s[20:21], -1, v2
; %bb.643:                              ;   in Loop: Header=BB4_126 Depth=2
	s_or_b64 exec, exec, s[30:31]
	v_add_u32_e32 v1, 0xffffff81, v1
	v_cndmask_b32_e32 v1, v1, v49, vcc
	v_lshrrev_b32_e32 v3, 23, v18
	v_add3_u32 v22, v22, v1, v3
	v_add_u32_e32 v3, 6, v22
	v_and_b32_e32 v1, 0xfffff, v2
	v_add_u32_e32 v52, v1, v18
	v_cmp_ne_u32_e32 vcc, 0, v3
                                        ; implicit-def: $vgpr18_vgpr19
                                        ; implicit-def: $vgpr1
	s_and_saveexec_b64 s[20:21], vcc
	s_xor_b64 s[20:21], exec, s[20:21]
; %bb.644:                              ;   in Loop: Header=BB4_126 Depth=2
	v_cmp_lt_u64_e32 vcc, s[76:77], v[52:53]
	v_add_u32_e32 v1, 7, v22
	v_cndmask_b32_e64 v2, 0, 1, vcc
	v_cndmask_b32_e32 v1, v3, v1, vcc
	v_lshrrev_b64 v[18:19], v2, v[52:53]
; %bb.645:                              ;   in Loop: Header=BB4_126 Depth=2
	s_andn2_saveexec_b64 s[20:21], s[20:21]
; %bb.646:                              ;   in Loop: Header=BB4_126 Depth=2
	v_mov_b32_e32 v18, v52
	v_bfe_u32 v1, v52, 23, 1
	v_mov_b32_e32 v19, v53
; %bb.647:                              ;   in Loop: Header=BB4_126 Depth=2
	s_or_b64 exec, exec, s[20:21]
	v_lshrrev_b64 v[2:3], 20, v[18:19]
	v_cmp_gt_i32_e32 vcc, 16, v1
	v_cndmask_b32_e32 v3, 0, v3, vcc
	v_cndmask_b32_e32 v2, 7, v2, vcc
	v_cmp_eq_u32_e32 vcc, 0, v1
	v_min_i32_e32 v1, 15, v1
	v_cmp_eq_u64_e64 s[20:21], 0, v[2:3]
	v_lshlrev_b32_e32 v1, 3, v1
	v_and_b32_e32 v1, 0xf8, v1
	v_and_or_b32 v1, v2, 7, v1
	s_and_b64 s[20:21], vcc, s[20:21]
	v_cndmask_b32_e64 v1, v1, 0, s[20:21]
	v_or_b32_e32 v35, v1, v0
.LBB4_648:                              ;   in Loop: Header=BB4_126 Depth=2
	s_or_b64 exec, exec, s[94:95]
                                        ; implicit-def: $vgpr0
.LBB4_649:                              ;   in Loop: Header=BB4_126 Depth=2
	s_andn2_saveexec_b64 s[20:21], s[92:93]
; %bb.650:                              ;   in Loop: Header=BB4_126 Depth=2
	v_or_b32_e32 v35, 0x7e, v0
; %bb.651:                              ;   in Loop: Header=BB4_126 Depth=2
	s_or_b64 exec, exec, s[20:21]
                                        ; implicit-def: $vgpr1
.LBB4_652:                              ;   in Loop: Header=BB4_126 Depth=2
	s_andn2_saveexec_b64 s[20:21], s[22:23]
; %bb.653:                              ;   in Loop: Header=BB4_126 Depth=2
	v_or_b32_sdwa v35, v1, s54 dst_sel:DWORD dst_unused:UNUSED_PAD src0_sel:BYTE_3 src1_sel:DWORD
; %bb.654:                              ;   in Loop: Header=BB4_126 Depth=2
	s_or_b64 exec, exec, s[20:21]
	v_mov_b32_e32 v52, v25
	v_mov_b32_e32 v18, v21
	;; [unrolled: 1-line block ×3, first 2 shown]
	v_cmp_ne_u16_sdwa s[20:21], v25, v53 src0_sel:BYTE_0 src1_sel:DWORD
	s_mov_b64 s[22:23], -1
	s_and_b64 vcc, exec, s[28:29]
                                        ; implicit-def: $vgpr1
	s_cbranch_vccz .LBB4_668
; %bb.655:                              ;   in Loop: Header=BB4_126 Depth=2
	v_mov_b32_e32 v1, 0
	v_mov_b32_e32 v0, 0
	s_and_saveexec_b64 s[22:23], s[20:21]
	s_cbranch_execz .LBB4_661
; %bb.656:                              ;   in Loop: Header=BB4_126 Depth=2
	v_cmp_ne_u16_sdwa s[94:95], v25, s53 src0_sel:BYTE_0 src1_sel:DWORD
	v_bfrev_b32_e32 v0, 1
	s_and_saveexec_b64 s[92:93], s[94:95]
	s_cbranch_execz .LBB4_660
; %bb.657:                              ;   in Loop: Header=BB4_126 Depth=2
	v_and_b32_e32 v2, 0x7f, v25
	v_cmp_ne_u32_e32 vcc, s54, v2
	v_mov_b32_e32 v0, 0x7f800001
	s_and_saveexec_b64 s[94:95], vcc
	s_cbranch_execz .LBB4_659
; %bb.658:                              ;   in Loop: Header=BB4_126 Depth=2
	v_and_b32_e32 v0, 7, v25
	v_ffbh_u32_e32 v0, v0
	v_min_u32_e32 v0, 32, v0
	v_lshrrev_b32_e32 v3, 3, v2
	v_cmp_gt_u32_e32 vcc, 8, v2
	v_subrev_u32_e32 v2, 28, v0
	v_sub_u32_e32 v0, 29, v0
	v_cndmask_b32_e32 v2, 0, v2, vcc
	v_cndmask_b32_e32 v0, v3, v0, vcc
	v_lshlrev_b64 v[2:3], v2, v[52:53]
	v_lshlrev_b32_e32 v3, 24, v52
	v_lshlrev_b32_e32 v2, 20, v2
	v_and_b32_e32 v2, 0x700000, v2
	v_and_b32_e32 v3, 0x80000000, v3
	v_lshl_add_u32 v0, v0, 23, v43
	v_or3_b32 v0, v3, v0, v2
.LBB4_659:                              ;   in Loop: Header=BB4_126 Depth=2
	s_or_b64 exec, exec, s[94:95]
.LBB4_660:                              ;   in Loop: Header=BB4_126 Depth=2
	s_or_b64 exec, exec, s[92:93]
.LBB4_661:                              ;   in Loop: Header=BB4_126 Depth=2
	s_or_b64 exec, exec, s[22:23]
	v_cmp_ne_u16_sdwa s[92:93], v21, v53 src0_sel:BYTE_0 src1_sel:DWORD
	s_and_saveexec_b64 s[22:23], s[92:93]
	s_cbranch_execz .LBB4_667
; %bb.662:                              ;   in Loop: Header=BB4_126 Depth=2
	v_cmp_ne_u16_sdwa s[94:95], v21, s53 src0_sel:BYTE_0 src1_sel:DWORD
	v_bfrev_b32_e32 v1, 1
	s_and_saveexec_b64 s[92:93], s[94:95]
	s_cbranch_execz .LBB4_666
; %bb.663:                              ;   in Loop: Header=BB4_126 Depth=2
	v_and_b32_e32 v2, 0x7f, v21
	v_cmp_ne_u32_e32 vcc, s54, v2
	v_mov_b32_e32 v1, 0x7f800001
	s_and_saveexec_b64 s[94:95], vcc
	s_cbranch_execz .LBB4_665
; %bb.664:                              ;   in Loop: Header=BB4_126 Depth=2
	v_and_b32_e32 v1, 7, v21
	v_ffbh_u32_e32 v1, v1
	v_min_u32_e32 v1, 32, v1
	v_lshrrev_b32_e32 v3, 3, v2
	v_cmp_gt_u32_e32 vcc, 8, v2
	v_subrev_u32_e32 v2, 28, v1
	v_sub_u32_e32 v1, 29, v1
	v_cndmask_b32_e32 v3, v3, v1, vcc
	v_cndmask_b32_e32 v1, 0, v2, vcc
	v_lshlrev_b64 v[1:2], v1, v[18:19]
	v_lshlrev_b32_e32 v2, 24, v18
	v_lshlrev_b32_e32 v1, 20, v1
	v_and_b32_e32 v1, 0x700000, v1
	v_and_b32_e32 v2, 0x80000000, v2
	v_lshl_add_u32 v3, v3, 23, v43
	v_or3_b32 v1, v2, v3, v1
.LBB4_665:                              ;   in Loop: Header=BB4_126 Depth=2
	s_or_b64 exec, exec, s[94:95]
.LBB4_666:                              ;   in Loop: Header=BB4_126 Depth=2
	s_or_b64 exec, exec, s[92:93]
.LBB4_667:                              ;   in Loop: Header=BB4_126 Depth=2
	s_or_b64 exec, exec, s[22:23]
	v_max_f32_e32 v1, v1, v1
	v_max_f32_e32 v0, v0, v0
	;; [unrolled: 1-line block ×3, first 2 shown]
	s_mov_b64 s[22:23], 0
.LBB4_668:                              ;   in Loop: Header=BB4_126 Depth=2
	s_and_b64 vcc, exec, s[22:23]
	s_cbranch_vccz .LBB4_682
; %bb.669:                              ;   in Loop: Header=BB4_126 Depth=2
	v_mov_b32_e32 v1, 0
	v_mov_b32_e32 v0, 0
	s_and_saveexec_b64 s[22:23], s[20:21]
	s_cbranch_execz .LBB4_675
; %bb.670:                              ;   in Loop: Header=BB4_126 Depth=2
	v_cmp_ne_u16_sdwa s[92:93], v25, s53 src0_sel:BYTE_0 src1_sel:DWORD
	v_bfrev_b32_e32 v0, 1
	s_and_saveexec_b64 s[20:21], s[92:93]
	s_cbranch_execz .LBB4_674
; %bb.671:                              ;   in Loop: Header=BB4_126 Depth=2
	v_and_b32_e32 v2, 0x7f, v25
	v_cmp_ne_u32_e32 vcc, s54, v2
	v_mov_b32_e32 v0, 0x7f800001
	s_and_saveexec_b64 s[92:93], vcc
	s_cbranch_execz .LBB4_673
; %bb.672:                              ;   in Loop: Header=BB4_126 Depth=2
	v_and_b32_e32 v0, 7, v25
	v_ffbh_u32_e32 v0, v0
	v_min_u32_e32 v0, 32, v0
	v_lshrrev_b32_e32 v3, 3, v2
	v_cmp_gt_u32_e32 vcc, 8, v2
	v_subrev_u32_e32 v2, 28, v0
	v_sub_u32_e32 v0, 29, v0
	v_cndmask_b32_e32 v2, 0, v2, vcc
	v_cndmask_b32_e32 v0, v3, v0, vcc
	v_lshlrev_b64 v[2:3], v2, v[52:53]
	v_lshlrev_b32_e32 v3, 24, v52
	v_lshlrev_b32_e32 v2, 20, v2
	v_and_b32_e32 v2, 0x700000, v2
	v_and_b32_e32 v3, 0x80000000, v3
	v_lshl_add_u32 v0, v0, 23, v43
	v_or3_b32 v0, v3, v0, v2
.LBB4_673:                              ;   in Loop: Header=BB4_126 Depth=2
	s_or_b64 exec, exec, s[92:93]
.LBB4_674:                              ;   in Loop: Header=BB4_126 Depth=2
	s_or_b64 exec, exec, s[20:21]
.LBB4_675:                              ;   in Loop: Header=BB4_126 Depth=2
	s_or_b64 exec, exec, s[22:23]
	v_cmp_ne_u16_sdwa s[22:23], v21, v53 src0_sel:BYTE_0 src1_sel:DWORD
	s_and_saveexec_b64 s[20:21], s[22:23]
	s_cbranch_execz .LBB4_681
; %bb.676:                              ;   in Loop: Header=BB4_126 Depth=2
	v_cmp_ne_u16_sdwa s[92:93], v21, s53 src0_sel:BYTE_0 src1_sel:DWORD
	v_bfrev_b32_e32 v1, 1
	s_and_saveexec_b64 s[22:23], s[92:93]
	s_cbranch_execz .LBB4_680
; %bb.677:                              ;   in Loop: Header=BB4_126 Depth=2
	v_and_b32_e32 v2, 0x7f, v21
	v_cmp_ne_u32_e32 vcc, s54, v2
	v_mov_b32_e32 v1, 0x7f800001
	s_and_saveexec_b64 s[92:93], vcc
	s_cbranch_execz .LBB4_679
; %bb.678:                              ;   in Loop: Header=BB4_126 Depth=2
	v_and_b32_e32 v1, 7, v21
	v_ffbh_u32_e32 v1, v1
	v_min_u32_e32 v1, 32, v1
	v_lshrrev_b32_e32 v3, 3, v2
	v_cmp_gt_u32_e32 vcc, 8, v2
	v_subrev_u32_e32 v2, 28, v1
	v_sub_u32_e32 v1, 29, v1
	v_cndmask_b32_e32 v3, v3, v1, vcc
	v_cndmask_b32_e32 v1, 0, v2, vcc
	v_lshlrev_b64 v[1:2], v1, v[18:19]
	v_lshlrev_b32_e32 v2, 24, v18
	v_lshlrev_b32_e32 v1, 20, v1
	v_and_b32_e32 v1, 0x700000, v1
	v_and_b32_e32 v2, 0x80000000, v2
	v_lshl_add_u32 v3, v3, 23, v43
	v_or3_b32 v1, v2, v3, v1
.LBB4_679:                              ;   in Loop: Header=BB4_126 Depth=2
	s_or_b64 exec, exec, s[92:93]
.LBB4_680:                              ;   in Loop: Header=BB4_126 Depth=2
	s_or_b64 exec, exec, s[22:23]
.LBB4_681:                              ;   in Loop: Header=BB4_126 Depth=2
	s_or_b64 exec, exec, s[20:21]
	v_max_f32_e32 v1, v1, v1
	v_max_f32_e32 v0, v0, v0
	v_min_f32_e32 v1, v0, v1
.LBB4_682:                              ;   in Loop: Header=BB4_126 Depth=2
	v_and_b32_e32 v2, 0x7f800000, v1
	v_mov_b32_e32 v3, v53
	v_cmp_ne_u64_e32 vcc, s[72:73], v[2:3]
                                        ; implicit-def: $vgpr23
	s_and_saveexec_b64 s[20:21], vcc
	s_xor_b64 s[22:23], exec, s[20:21]
	s_cbranch_execz .LBB4_696
; %bb.683:                              ;   in Loop: Header=BB4_126 Depth=2
	v_and_b32_e32 v2, 0x7fffffff, v1
	v_mov_b32_e32 v3, v53
	v_cmp_gt_u64_e32 vcc, s[74:75], v[2:3]
	v_and_b32_sdwa v0, v1, s53 dst_sel:DWORD dst_unused:UNUSED_PAD src0_sel:BYTE_3 src1_sel:DWORD
                                        ; implicit-def: $vgpr23
	s_and_saveexec_b64 s[20:21], vcc
	s_xor_b64 s[92:93], exec, s[20:21]
	s_cbranch_execz .LBB4_693
; %bb.684:                              ;   in Loop: Header=BB4_126 Depth=2
	v_mov_b32_e32 v23, 0
	v_cmp_ne_u32_e32 vcc, 0, v1
	s_and_saveexec_b64 s[94:95], vcc
	s_cbranch_execz .LBB4_692
; %bb.685:                              ;   in Loop: Header=BB4_126 Depth=2
	v_and_b32_e32 v2, 0x7fffff, v1
	v_bfe_u32 v1, v1, 23, 8
	v_cmp_gt_u32_e64 s[20:21], s64, v1
	v_sub_u32_e32 v3, 0x79, v1
	v_cmp_eq_u32_e32 vcc, 0, v1
	v_cndmask_b32_e64 v3, 0, v3, s[20:21]
	v_mov_b32_e32 v19, 0x78
	v_or_b32_e32 v22, 0x800000, v2
	v_cndmask_b32_e32 v19, v3, v19, vcc
	v_cndmask_b32_e32 v2, v22, v2, vcc
	v_add_u32_e32 v22, 20, v19
	v_lshlrev_b64 v[22:23], v22, -1
	v_add_u32_e32 v26, 19, v19
	v_lshlrev_b64 v[26:27], v26, 1
	v_mov_b32_e32 v3, v53
	v_bfi_b32 v23, v23, 0, 0
	v_bfi_b32 v22, v22, 0, v2
	v_cmp_eq_u64_e64 s[20:21], v[22:23], v[26:27]
	v_lshrrev_b64 v[22:23], v19, v[2:3]
	v_mov_b32_e32 v2, v22
	v_mov_b32_e32 v3, v23
	s_and_saveexec_b64 s[30:31], s[20:21]
; %bb.686:                              ;   in Loop: Header=BB4_126 Depth=2
	v_bfe_u32 v2, v22, 20, 1
	v_add_co_u32_e64 v2, s[20:21], v22, v2
	v_add_co_u32_e64 v2, s[20:21], -1, v2
; %bb.687:                              ;   in Loop: Header=BB4_126 Depth=2
	s_or_b64 exec, exec, s[30:31]
	v_add_u32_e32 v1, 0xffffff81, v1
	v_cndmask_b32_e32 v1, v1, v49, vcc
	v_lshrrev_b32_e32 v3, 23, v22
	v_add3_u32 v19, v19, v1, v3
	v_add_u32_e32 v3, 6, v19
	v_and_b32_e32 v1, 0xfffff, v2
	v_add_u32_e32 v22, v1, v22
	v_mov_b32_e32 v23, v53
	v_cmp_ne_u32_e32 vcc, 0, v3
                                        ; implicit-def: $vgpr1
	s_and_saveexec_b64 s[20:21], vcc
	s_xor_b64 s[20:21], exec, s[20:21]
; %bb.688:                              ;   in Loop: Header=BB4_126 Depth=2
	v_cmp_lt_u64_e32 vcc, s[76:77], v[22:23]
	v_add_u32_e32 v1, 7, v19
	v_cndmask_b32_e64 v2, 0, 1, vcc
	v_cndmask_b32_e32 v1, v3, v1, vcc
	v_lshrrev_b64 v[22:23], v2, v[22:23]
; %bb.689:                              ;   in Loop: Header=BB4_126 Depth=2
	s_andn2_saveexec_b64 s[20:21], s[20:21]
; %bb.690:                              ;   in Loop: Header=BB4_126 Depth=2
	v_bfe_u32 v1, v22, 23, 1
; %bb.691:                              ;   in Loop: Header=BB4_126 Depth=2
	s_or_b64 exec, exec, s[20:21]
	v_lshrrev_b64 v[2:3], 20, v[22:23]
	v_cmp_gt_i32_e32 vcc, 16, v1
	v_cndmask_b32_e32 v3, 0, v3, vcc
	v_cndmask_b32_e32 v2, 7, v2, vcc
	v_cmp_eq_u32_e32 vcc, 0, v1
	v_min_i32_e32 v1, 15, v1
	v_cmp_eq_u64_e64 s[20:21], 0, v[2:3]
	v_lshlrev_b32_e32 v1, 3, v1
	v_and_b32_e32 v1, 0xf8, v1
	v_and_or_b32 v1, v2, 7, v1
	s_and_b64 s[20:21], vcc, s[20:21]
	v_cndmask_b32_e64 v1, v1, 0, s[20:21]
	v_or_b32_e32 v23, v1, v0
.LBB4_692:                              ;   in Loop: Header=BB4_126 Depth=2
	s_or_b64 exec, exec, s[94:95]
                                        ; implicit-def: $vgpr0
.LBB4_693:                              ;   in Loop: Header=BB4_126 Depth=2
	s_andn2_saveexec_b64 s[20:21], s[92:93]
; %bb.694:                              ;   in Loop: Header=BB4_126 Depth=2
	v_or_b32_e32 v23, 0x7e, v0
; %bb.695:                              ;   in Loop: Header=BB4_126 Depth=2
	s_or_b64 exec, exec, s[20:21]
                                        ; implicit-def: $vgpr1
.LBB4_696:                              ;   in Loop: Header=BB4_126 Depth=2
	s_andn2_saveexec_b64 s[20:21], s[22:23]
; %bb.697:                              ;   in Loop: Header=BB4_126 Depth=2
	v_or_b32_sdwa v23, v1, s54 dst_sel:DWORD dst_unused:UNUSED_PAD src0_sel:BYTE_3 src1_sel:DWORD
; %bb.698:                              ;   in Loop: Header=BB4_126 Depth=2
	s_or_b64 exec, exec, s[20:21]
	v_lshrrev_b16_e32 v22, 8, v52
	v_lshrrev_b16_e32 v19, 8, v18
	v_cmp_ne_u16_e64 s[20:21], 0, v22
	s_mov_b64 s[22:23], -1
	s_and_b64 vcc, exec, s[28:29]
                                        ; implicit-def: $vgpr1
	s_cbranch_vccz .LBB4_712
; %bb.699:                              ;   in Loop: Header=BB4_126 Depth=2
	v_mov_b32_e32 v1, 0
	v_mov_b32_e32 v0, 0
	s_and_saveexec_b64 s[22:23], s[20:21]
	s_cbranch_execz .LBB4_705
; %bb.700:                              ;   in Loop: Header=BB4_126 Depth=2
	v_cmp_ne_u16_e32 vcc, s53, v22
	v_bfrev_b32_e32 v0, 1
	s_and_saveexec_b64 s[92:93], vcc
	s_cbranch_execz .LBB4_704
; %bb.701:                              ;   in Loop: Header=BB4_126 Depth=2
	v_and_b32_e32 v2, 0x7f, v22
	v_cmp_ne_u32_e32 vcc, s54, v2
	v_mov_b32_e32 v0, 0x7f800001
	s_and_saveexec_b64 s[94:95], vcc
	s_cbranch_execz .LBB4_703
; %bb.702:                              ;   in Loop: Header=BB4_126 Depth=2
	v_and_b32_e32 v0, 7, v22
	v_lshrrev_b32_e32 v26, 3, v2
	v_cmp_gt_u32_e32 vcc, 8, v2
	v_ffbh_u32_e32 v2, v0
	v_min_u32_e32 v27, 32, v2
	v_subrev_u32_e32 v2, 28, v27
	v_lshlrev_b64 v[2:3], v2, v[22:23]
	v_sub_u32_e32 v3, 29, v27
	v_and_b32_e32 v2, 7, v2
	v_cndmask_b32_e32 v3, v26, v3, vcc
	v_cndmask_b32_e32 v0, v0, v2, vcc
	v_lshlrev_b32_e32 v2, 16, v52
	v_lshlrev_b32_e32 v0, 20, v0
	v_and_b32_e32 v2, 0x80000000, v2
	v_lshl_add_u32 v3, v3, 23, v43
	v_or3_b32 v0, v2, v3, v0
.LBB4_703:                              ;   in Loop: Header=BB4_126 Depth=2
	s_or_b64 exec, exec, s[94:95]
.LBB4_704:                              ;   in Loop: Header=BB4_126 Depth=2
	s_or_b64 exec, exec, s[92:93]
.LBB4_705:                              ;   in Loop: Header=BB4_126 Depth=2
	s_or_b64 exec, exec, s[22:23]
	v_cmp_ne_u16_e32 vcc, 0, v19
	s_and_saveexec_b64 s[22:23], vcc
	s_cbranch_execz .LBB4_711
; %bb.706:                              ;   in Loop: Header=BB4_126 Depth=2
	v_cmp_ne_u16_e32 vcc, s53, v19
	v_bfrev_b32_e32 v1, 1
	s_and_saveexec_b64 s[92:93], vcc
	s_cbranch_execz .LBB4_710
; %bb.707:                              ;   in Loop: Header=BB4_126 Depth=2
	v_and_b32_e32 v2, 0x7f, v19
	v_cmp_ne_u32_e32 vcc, s54, v2
	v_mov_b32_e32 v1, 0x7f800001
	s_and_saveexec_b64 s[94:95], vcc
	s_cbranch_execz .LBB4_709
; %bb.708:                              ;   in Loop: Header=BB4_126 Depth=2
	v_and_b32_e32 v3, 7, v19
	v_ffbh_u32_e32 v1, v3
	v_min_u32_e32 v27, 32, v1
	v_subrev_u32_e32 v1, 28, v27
	v_lshrrev_b32_e32 v26, 3, v2
	v_cmp_gt_u32_e32 vcc, 8, v2
	v_lshlrev_b64 v[1:2], v1, v[19:20]
	v_sub_u32_e32 v2, 29, v27
	v_and_b32_e32 v1, 7, v1
	v_cndmask_b32_e32 v2, v26, v2, vcc
	v_cndmask_b32_e32 v1, v3, v1, vcc
	v_lshlrev_b32_e32 v3, 16, v18
	v_lshlrev_b32_e32 v1, 20, v1
	v_and_b32_e32 v3, 0x80000000, v3
	v_lshl_add_u32 v2, v2, 23, v43
	v_or3_b32 v1, v3, v2, v1
.LBB4_709:                              ;   in Loop: Header=BB4_126 Depth=2
	s_or_b64 exec, exec, s[94:95]
.LBB4_710:                              ;   in Loop: Header=BB4_126 Depth=2
	s_or_b64 exec, exec, s[92:93]
.LBB4_711:                              ;   in Loop: Header=BB4_126 Depth=2
	s_or_b64 exec, exec, s[22:23]
	v_max_f32_e32 v1, v1, v1
	v_max_f32_e32 v0, v0, v0
	;; [unrolled: 1-line block ×3, first 2 shown]
	s_mov_b64 s[22:23], 0
.LBB4_712:                              ;   in Loop: Header=BB4_126 Depth=2
	s_and_b64 vcc, exec, s[22:23]
	s_cbranch_vccz .LBB4_726
; %bb.713:                              ;   in Loop: Header=BB4_126 Depth=2
	v_mov_b32_e32 v1, 0
	v_mov_b32_e32 v0, 0
	s_and_saveexec_b64 s[22:23], s[20:21]
	s_cbranch_execz .LBB4_719
; %bb.714:                              ;   in Loop: Header=BB4_126 Depth=2
	v_cmp_ne_u16_e32 vcc, s53, v22
	v_bfrev_b32_e32 v0, 1
	s_and_saveexec_b64 s[20:21], vcc
	s_cbranch_execz .LBB4_718
; %bb.715:                              ;   in Loop: Header=BB4_126 Depth=2
	v_and_b32_e32 v2, 0x7f, v22
	v_cmp_ne_u32_e32 vcc, s54, v2
	v_mov_b32_e32 v0, 0x7f800001
	s_and_saveexec_b64 s[92:93], vcc
	s_cbranch_execz .LBB4_717
; %bb.716:                              ;   in Loop: Header=BB4_126 Depth=2
	v_and_b32_e32 v0, 7, v22
	v_lshrrev_b32_e32 v26, 3, v2
	v_cmp_gt_u32_e32 vcc, 8, v2
	v_ffbh_u32_e32 v2, v0
	v_min_u32_e32 v27, 32, v2
	v_subrev_u32_e32 v2, 28, v27
	v_lshlrev_b64 v[2:3], v2, v[22:23]
	v_sub_u32_e32 v3, 29, v27
	v_and_b32_e32 v2, 7, v2
	v_cndmask_b32_e32 v3, v26, v3, vcc
	v_cndmask_b32_e32 v0, v0, v2, vcc
	v_lshlrev_b32_e32 v2, 16, v52
	v_lshlrev_b32_e32 v0, 20, v0
	v_and_b32_e32 v2, 0x80000000, v2
	v_lshl_add_u32 v3, v3, 23, v43
	v_or3_b32 v0, v2, v3, v0
.LBB4_717:                              ;   in Loop: Header=BB4_126 Depth=2
	s_or_b64 exec, exec, s[92:93]
.LBB4_718:                              ;   in Loop: Header=BB4_126 Depth=2
	s_or_b64 exec, exec, s[20:21]
.LBB4_719:                              ;   in Loop: Header=BB4_126 Depth=2
	s_or_b64 exec, exec, s[22:23]
	v_cmp_ne_u16_e32 vcc, 0, v19
	s_and_saveexec_b64 s[20:21], vcc
	s_cbranch_execz .LBB4_725
; %bb.720:                              ;   in Loop: Header=BB4_126 Depth=2
	v_cmp_ne_u16_e32 vcc, s53, v19
	v_bfrev_b32_e32 v1, 1
	s_and_saveexec_b64 s[22:23], vcc
	s_cbranch_execz .LBB4_724
; %bb.721:                              ;   in Loop: Header=BB4_126 Depth=2
	v_and_b32_e32 v2, 0x7f, v19
	v_cmp_ne_u32_e32 vcc, s54, v2
	v_mov_b32_e32 v1, 0x7f800001
	s_and_saveexec_b64 s[92:93], vcc
	s_cbranch_execz .LBB4_723
; %bb.722:                              ;   in Loop: Header=BB4_126 Depth=2
	v_and_b32_e32 v3, 7, v19
	v_ffbh_u32_e32 v1, v3
	v_min_u32_e32 v26, 32, v1
	v_subrev_u32_e32 v1, 28, v26
	v_lshrrev_b32_e32 v22, 3, v2
	v_cmp_gt_u32_e32 vcc, 8, v2
	v_lshlrev_b64 v[1:2], v1, v[19:20]
	v_sub_u32_e32 v2, 29, v26
	v_and_b32_e32 v1, 7, v1
	v_cndmask_b32_e32 v2, v22, v2, vcc
	v_cndmask_b32_e32 v1, v3, v1, vcc
	v_lshlrev_b32_e32 v3, 16, v18
	v_lshlrev_b32_e32 v1, 20, v1
	v_and_b32_e32 v3, 0x80000000, v3
	v_lshl_add_u32 v2, v2, 23, v43
	v_or3_b32 v1, v3, v2, v1
.LBB4_723:                              ;   in Loop: Header=BB4_126 Depth=2
	s_or_b64 exec, exec, s[92:93]
.LBB4_724:                              ;   in Loop: Header=BB4_126 Depth=2
	s_or_b64 exec, exec, s[22:23]
.LBB4_725:                              ;   in Loop: Header=BB4_126 Depth=2
	s_or_b64 exec, exec, s[20:21]
	v_max_f32_e32 v1, v1, v1
	v_max_f32_e32 v0, v0, v0
	v_min_f32_e32 v1, v0, v1
.LBB4_726:                              ;   in Loop: Header=BB4_126 Depth=2
	v_and_b32_e32 v52, 0x7f800000, v1
	v_cmp_ne_u64_e32 vcc, s[72:73], v[52:53]
                                        ; implicit-def: $vgpr22
	s_and_saveexec_b64 s[20:21], vcc
	s_xor_b64 s[22:23], exec, s[20:21]
	s_cbranch_execz .LBB4_740
; %bb.727:                              ;   in Loop: Header=BB4_126 Depth=2
	v_and_b32_e32 v52, 0x7fffffff, v1
	v_cmp_gt_u64_e32 vcc, s[74:75], v[52:53]
	v_and_b32_sdwa v0, v1, s53 dst_sel:DWORD dst_unused:UNUSED_PAD src0_sel:BYTE_3 src1_sel:DWORD
                                        ; implicit-def: $vgpr22
	s_and_saveexec_b64 s[20:21], vcc
	s_xor_b64 s[92:93], exec, s[20:21]
	s_cbranch_execz .LBB4_737
; %bb.728:                              ;   in Loop: Header=BB4_126 Depth=2
	v_mov_b32_e32 v22, 0
	v_cmp_ne_u32_e32 vcc, 0, v1
	s_and_saveexec_b64 s[94:95], vcc
	s_cbranch_execz .LBB4_736
; %bb.729:                              ;   in Loop: Header=BB4_126 Depth=2
	v_and_b32_e32 v2, 0x7fffff, v1
	v_bfe_u32 v1, v1, 23, 8
	v_cmp_gt_u32_e64 s[20:21], s64, v1
	v_sub_u32_e32 v3, 0x79, v1
	v_cmp_eq_u32_e32 vcc, 0, v1
	v_cndmask_b32_e64 v3, 0, v3, s[20:21]
	v_mov_b32_e32 v19, 0x78
	v_or_b32_e32 v18, 0x800000, v2
	v_cndmask_b32_e32 v22, v3, v19, vcc
	v_cndmask_b32_e32 v52, v18, v2, vcc
	v_add_u32_e32 v2, 20, v22
	v_lshlrev_b64 v[2:3], v2, -1
	v_add_u32_e32 v18, 19, v22
	v_lshlrev_b64 v[18:19], v18, 1
	v_bfi_b32 v3, v3, 0, 0
	v_bfi_b32 v2, v2, 0, v52
	v_cmp_eq_u64_e64 s[20:21], v[2:3], v[18:19]
	v_lshrrev_b64 v[18:19], v22, v[52:53]
	v_mov_b32_e32 v2, v18
	v_mov_b32_e32 v3, v19
	s_and_saveexec_b64 s[30:31], s[20:21]
; %bb.730:                              ;   in Loop: Header=BB4_126 Depth=2
	v_bfe_u32 v2, v18, 20, 1
	v_add_co_u32_e64 v2, s[20:21], v18, v2
	v_add_co_u32_e64 v2, s[20:21], -1, v2
; %bb.731:                              ;   in Loop: Header=BB4_126 Depth=2
	s_or_b64 exec, exec, s[30:31]
	v_add_u32_e32 v1, 0xffffff81, v1
	v_cndmask_b32_e32 v1, v1, v49, vcc
	v_lshrrev_b32_e32 v3, 23, v18
	v_add3_u32 v22, v22, v1, v3
	v_add_u32_e32 v3, 6, v22
	v_and_b32_e32 v1, 0xfffff, v2
	v_add_u32_e32 v52, v1, v18
	v_cmp_ne_u32_e32 vcc, 0, v3
                                        ; implicit-def: $vgpr18_vgpr19
                                        ; implicit-def: $vgpr1
	s_and_saveexec_b64 s[20:21], vcc
	s_xor_b64 s[20:21], exec, s[20:21]
; %bb.732:                              ;   in Loop: Header=BB4_126 Depth=2
	v_cmp_lt_u64_e32 vcc, s[76:77], v[52:53]
	v_add_u32_e32 v1, 7, v22
	v_cndmask_b32_e64 v2, 0, 1, vcc
	v_cndmask_b32_e32 v1, v3, v1, vcc
	v_lshrrev_b64 v[18:19], v2, v[52:53]
; %bb.733:                              ;   in Loop: Header=BB4_126 Depth=2
	s_andn2_saveexec_b64 s[20:21], s[20:21]
; %bb.734:                              ;   in Loop: Header=BB4_126 Depth=2
	v_mov_b32_e32 v18, v52
	v_bfe_u32 v1, v52, 23, 1
	v_mov_b32_e32 v19, v53
; %bb.735:                              ;   in Loop: Header=BB4_126 Depth=2
	s_or_b64 exec, exec, s[20:21]
	v_lshrrev_b64 v[2:3], 20, v[18:19]
	v_cmp_gt_i32_e32 vcc, 16, v1
	v_cndmask_b32_e32 v3, 0, v3, vcc
	v_cndmask_b32_e32 v2, 7, v2, vcc
	v_cmp_eq_u32_e32 vcc, 0, v1
	v_min_i32_e32 v1, 15, v1
	v_cmp_eq_u64_e64 s[20:21], 0, v[2:3]
	v_lshlrev_b32_e32 v1, 3, v1
	v_and_b32_e32 v1, 0xf8, v1
	v_and_or_b32 v1, v2, 7, v1
	s_and_b64 s[20:21], vcc, s[20:21]
	v_cndmask_b32_e64 v1, v1, 0, s[20:21]
	v_or_b32_e32 v22, v1, v0
.LBB4_736:                              ;   in Loop: Header=BB4_126 Depth=2
	s_or_b64 exec, exec, s[94:95]
                                        ; implicit-def: $vgpr0
.LBB4_737:                              ;   in Loop: Header=BB4_126 Depth=2
	s_andn2_saveexec_b64 s[20:21], s[92:93]
; %bb.738:                              ;   in Loop: Header=BB4_126 Depth=2
	v_or_b32_e32 v22, 0x7e, v0
; %bb.739:                              ;   in Loop: Header=BB4_126 Depth=2
	s_or_b64 exec, exec, s[20:21]
                                        ; implicit-def: $vgpr1
.LBB4_740:                              ;   in Loop: Header=BB4_126 Depth=2
	s_andn2_saveexec_b64 s[20:21], s[22:23]
; %bb.741:                              ;   in Loop: Header=BB4_126 Depth=2
	v_or_b32_sdwa v22, v1, s54 dst_sel:DWORD dst_unused:UNUSED_PAD src0_sel:BYTE_3 src1_sel:DWORD
; %bb.742:                              ;   in Loop: Header=BB4_126 Depth=2
	s_or_b64 exec, exec, s[20:21]
	v_lshrrev_b32_e32 v19, 16, v25
	v_lshrrev_b32_e32 v18, 16, v21
	v_cmp_ne_u16_sdwa s[20:21], v19, v53 src0_sel:BYTE_0 src1_sel:DWORD
	s_mov_b64 s[22:23], -1
	s_and_b64 vcc, exec, s[28:29]
                                        ; implicit-def: $vgpr1
	s_cbranch_vccz .LBB4_756
; %bb.743:                              ;   in Loop: Header=BB4_126 Depth=2
	v_mov_b32_e32 v1, 0
	v_mov_b32_e32 v0, 0
	s_and_saveexec_b64 s[22:23], s[20:21]
	s_cbranch_execz .LBB4_749
; %bb.744:                              ;   in Loop: Header=BB4_126 Depth=2
	v_cmp_ne_u16_sdwa s[94:95], v19, s53 src0_sel:BYTE_0 src1_sel:DWORD
	v_bfrev_b32_e32 v0, 1
	s_and_saveexec_b64 s[92:93], s[94:95]
	s_cbranch_execz .LBB4_748
; %bb.745:                              ;   in Loop: Header=BB4_126 Depth=2
	v_bfe_u32 v2, v25, 16, 7
	v_cmp_ne_u32_e32 vcc, s54, v2
	v_mov_b32_e32 v0, 0x7f800001
	s_and_saveexec_b64 s[94:95], vcc
	s_cbranch_execz .LBB4_747
; %bb.746:                              ;   in Loop: Header=BB4_126 Depth=2
	v_and_b32_e32 v0, 7, v19
	v_lshrrev_b32_e32 v26, 3, v2
	v_cmp_gt_u32_e32 vcc, 8, v2
	v_ffbh_u32_e32 v2, v0
	v_min_u32_e32 v27, 32, v2
	v_subrev_u32_e32 v2, 28, v27
	v_lshlrev_b64 v[2:3], v2, v[19:20]
	v_sub_u32_e32 v3, 29, v27
	v_and_b32_e32 v2, 7, v2
	v_cndmask_b32_e32 v3, v26, v3, vcc
	v_cndmask_b32_e32 v0, v0, v2, vcc
	v_lshlrev_b32_e32 v2, 24, v19
	v_lshlrev_b32_e32 v0, 20, v0
	v_and_b32_e32 v2, 0x80000000, v2
	v_lshl_add_u32 v3, v3, 23, v43
	v_or3_b32 v0, v2, v3, v0
.LBB4_747:                              ;   in Loop: Header=BB4_126 Depth=2
	s_or_b64 exec, exec, s[94:95]
.LBB4_748:                              ;   in Loop: Header=BB4_126 Depth=2
	s_or_b64 exec, exec, s[92:93]
.LBB4_749:                              ;   in Loop: Header=BB4_126 Depth=2
	s_or_b64 exec, exec, s[22:23]
	v_cmp_ne_u16_sdwa s[92:93], v18, v53 src0_sel:BYTE_0 src1_sel:DWORD
	s_and_saveexec_b64 s[22:23], s[92:93]
	s_cbranch_execz .LBB4_755
; %bb.750:                              ;   in Loop: Header=BB4_126 Depth=2
	v_cmp_ne_u16_sdwa s[94:95], v18, s53 src0_sel:BYTE_0 src1_sel:DWORD
	v_bfrev_b32_e32 v1, 1
	s_and_saveexec_b64 s[92:93], s[94:95]
	s_cbranch_execz .LBB4_754
; %bb.751:                              ;   in Loop: Header=BB4_126 Depth=2
	v_bfe_u32 v2, v21, 16, 7
	v_cmp_ne_u32_e32 vcc, s54, v2
	v_mov_b32_e32 v1, 0x7f800001
	s_and_saveexec_b64 s[94:95], vcc
	s_cbranch_execz .LBB4_753
; %bb.752:                              ;   in Loop: Header=BB4_126 Depth=2
	v_and_b32_e32 v3, 7, v18
	v_ffbh_u32_e32 v1, v3
	v_min_u32_e32 v27, 32, v1
	v_subrev_u32_e32 v1, 28, v27
	v_lshrrev_b32_e32 v26, 3, v2
	v_cmp_gt_u32_e32 vcc, 8, v2
	v_lshlrev_b64 v[1:2], v1, v[18:19]
	v_sub_u32_e32 v2, 29, v27
	v_and_b32_e32 v1, 7, v1
	v_cndmask_b32_e32 v2, v26, v2, vcc
	v_cndmask_b32_e32 v1, v3, v1, vcc
	v_lshlrev_b32_e32 v3, 24, v18
	v_lshlrev_b32_e32 v1, 20, v1
	v_and_b32_e32 v3, 0x80000000, v3
	v_lshl_add_u32 v2, v2, 23, v43
	v_or3_b32 v1, v3, v2, v1
.LBB4_753:                              ;   in Loop: Header=BB4_126 Depth=2
	s_or_b64 exec, exec, s[94:95]
.LBB4_754:                              ;   in Loop: Header=BB4_126 Depth=2
	s_or_b64 exec, exec, s[92:93]
.LBB4_755:                              ;   in Loop: Header=BB4_126 Depth=2
	s_or_b64 exec, exec, s[22:23]
	v_max_f32_e32 v1, v1, v1
	v_max_f32_e32 v0, v0, v0
	;; [unrolled: 1-line block ×3, first 2 shown]
	s_mov_b64 s[22:23], 0
.LBB4_756:                              ;   in Loop: Header=BB4_126 Depth=2
	s_and_b64 vcc, exec, s[22:23]
	s_cbranch_vccz .LBB4_770
; %bb.757:                              ;   in Loop: Header=BB4_126 Depth=2
	v_mov_b32_e32 v1, 0
	v_mov_b32_e32 v0, 0
	s_and_saveexec_b64 s[22:23], s[20:21]
	s_cbranch_execz .LBB4_763
; %bb.758:                              ;   in Loop: Header=BB4_126 Depth=2
	v_cmp_ne_u16_sdwa s[92:93], v19, s53 src0_sel:BYTE_0 src1_sel:DWORD
	v_bfrev_b32_e32 v0, 1
	s_and_saveexec_b64 s[20:21], s[92:93]
	s_cbranch_execz .LBB4_762
; %bb.759:                              ;   in Loop: Header=BB4_126 Depth=2
	v_bfe_u32 v2, v25, 16, 7
	v_cmp_ne_u32_e32 vcc, s54, v2
	v_mov_b32_e32 v0, 0x7f800001
	s_and_saveexec_b64 s[92:93], vcc
	s_cbranch_execz .LBB4_761
; %bb.760:                              ;   in Loop: Header=BB4_126 Depth=2
	v_and_b32_e32 v0, 7, v19
	v_lshrrev_b32_e32 v26, 3, v2
	v_cmp_gt_u32_e32 vcc, 8, v2
	v_ffbh_u32_e32 v2, v0
	v_min_u32_e32 v27, 32, v2
	v_subrev_u32_e32 v2, 28, v27
	v_lshlrev_b64 v[2:3], v2, v[19:20]
	v_sub_u32_e32 v3, 29, v27
	v_and_b32_e32 v2, 7, v2
	v_cndmask_b32_e32 v3, v26, v3, vcc
	v_cndmask_b32_e32 v0, v0, v2, vcc
	v_lshlrev_b32_e32 v2, 24, v19
	v_lshlrev_b32_e32 v0, 20, v0
	v_and_b32_e32 v2, 0x80000000, v2
	v_lshl_add_u32 v3, v3, 23, v43
	v_or3_b32 v0, v2, v3, v0
.LBB4_761:                              ;   in Loop: Header=BB4_126 Depth=2
	s_or_b64 exec, exec, s[92:93]
.LBB4_762:                              ;   in Loop: Header=BB4_126 Depth=2
	s_or_b64 exec, exec, s[20:21]
.LBB4_763:                              ;   in Loop: Header=BB4_126 Depth=2
	s_or_b64 exec, exec, s[22:23]
	v_cmp_ne_u16_sdwa s[22:23], v18, v53 src0_sel:BYTE_0 src1_sel:DWORD
	s_and_saveexec_b64 s[20:21], s[22:23]
	s_cbranch_execz .LBB4_769
; %bb.764:                              ;   in Loop: Header=BB4_126 Depth=2
	v_cmp_ne_u16_sdwa s[92:93], v18, s53 src0_sel:BYTE_0 src1_sel:DWORD
	v_bfrev_b32_e32 v1, 1
	s_and_saveexec_b64 s[22:23], s[92:93]
	s_cbranch_execz .LBB4_768
; %bb.765:                              ;   in Loop: Header=BB4_126 Depth=2
	v_bfe_u32 v2, v21, 16, 7
	v_cmp_ne_u32_e32 vcc, s54, v2
	v_mov_b32_e32 v1, 0x7f800001
	s_and_saveexec_b64 s[92:93], vcc
	s_cbranch_execz .LBB4_767
; %bb.766:                              ;   in Loop: Header=BB4_126 Depth=2
	v_and_b32_e32 v3, 7, v18
	v_ffbh_u32_e32 v1, v3
	v_min_u32_e32 v26, 32, v1
	v_lshrrev_b32_e32 v19, 3, v2
	v_subrev_u32_e32 v1, 28, v26
	v_cmp_gt_u32_e32 vcc, 8, v2
	v_lshlrev_b64 v[1:2], v1, v[18:19]
	v_sub_u32_e32 v2, 29, v26
	v_and_b32_e32 v1, 7, v1
	v_cndmask_b32_e32 v2, v19, v2, vcc
	v_cndmask_b32_e32 v1, v3, v1, vcc
	v_lshlrev_b32_e32 v3, 24, v18
	v_lshlrev_b32_e32 v1, 20, v1
	v_and_b32_e32 v3, 0x80000000, v3
	v_lshl_add_u32 v2, v2, 23, v43
	v_or3_b32 v1, v3, v2, v1
.LBB4_767:                              ;   in Loop: Header=BB4_126 Depth=2
	s_or_b64 exec, exec, s[92:93]
.LBB4_768:                              ;   in Loop: Header=BB4_126 Depth=2
	s_or_b64 exec, exec, s[22:23]
.LBB4_769:                              ;   in Loop: Header=BB4_126 Depth=2
	s_or_b64 exec, exec, s[20:21]
	v_max_f32_e32 v1, v1, v1
	v_max_f32_e32 v0, v0, v0
	v_min_f32_e32 v1, v0, v1
.LBB4_770:                              ;   in Loop: Header=BB4_126 Depth=2
	v_and_b32_e32 v52, 0x7f800000, v1
	v_cmp_ne_u64_e32 vcc, s[72:73], v[52:53]
                                        ; implicit-def: $vgpr26
	s_and_saveexec_b64 s[20:21], vcc
	s_xor_b64 s[22:23], exec, s[20:21]
	s_cbranch_execz .LBB4_784
; %bb.771:                              ;   in Loop: Header=BB4_126 Depth=2
	v_and_b32_e32 v52, 0x7fffffff, v1
	v_cmp_gt_u64_e32 vcc, s[74:75], v[52:53]
	v_and_b32_sdwa v0, v1, s53 dst_sel:DWORD dst_unused:UNUSED_PAD src0_sel:BYTE_3 src1_sel:DWORD
                                        ; implicit-def: $vgpr26
	s_and_saveexec_b64 s[20:21], vcc
	s_xor_b64 s[92:93], exec, s[20:21]
	s_cbranch_execz .LBB4_781
; %bb.772:                              ;   in Loop: Header=BB4_126 Depth=2
	v_mov_b32_e32 v26, 0
	v_cmp_ne_u32_e32 vcc, 0, v1
	s_and_saveexec_b64 s[94:95], vcc
	s_cbranch_execz .LBB4_780
; %bb.773:                              ;   in Loop: Header=BB4_126 Depth=2
	v_and_b32_e32 v2, 0x7fffff, v1
	v_bfe_u32 v1, v1, 23, 8
	v_cmp_gt_u32_e64 s[20:21], s64, v1
	v_sub_u32_e32 v3, 0x79, v1
	v_cmp_eq_u32_e32 vcc, 0, v1
	v_cndmask_b32_e64 v3, 0, v3, s[20:21]
	v_mov_b32_e32 v19, 0x78
	v_or_b32_e32 v18, 0x800000, v2
	v_cndmask_b32_e32 v26, v3, v19, vcc
	v_cndmask_b32_e32 v52, v18, v2, vcc
	v_add_u32_e32 v2, 20, v26
	v_lshlrev_b64 v[2:3], v2, -1
	v_add_u32_e32 v18, 19, v26
	v_lshlrev_b64 v[18:19], v18, 1
	v_bfi_b32 v3, v3, 0, 0
	v_bfi_b32 v2, v2, 0, v52
	v_cmp_eq_u64_e64 s[20:21], v[2:3], v[18:19]
	v_lshrrev_b64 v[18:19], v26, v[52:53]
	v_mov_b32_e32 v2, v18
	v_mov_b32_e32 v3, v19
	s_and_saveexec_b64 s[30:31], s[20:21]
; %bb.774:                              ;   in Loop: Header=BB4_126 Depth=2
	v_bfe_u32 v2, v18, 20, 1
	v_add_co_u32_e64 v2, s[20:21], v18, v2
	v_add_co_u32_e64 v2, s[20:21], -1, v2
; %bb.775:                              ;   in Loop: Header=BB4_126 Depth=2
	s_or_b64 exec, exec, s[30:31]
	v_add_u32_e32 v1, 0xffffff81, v1
	v_cndmask_b32_e32 v1, v1, v49, vcc
	v_lshrrev_b32_e32 v3, 23, v18
	v_add3_u32 v26, v26, v1, v3
	v_add_u32_e32 v3, 6, v26
	v_and_b32_e32 v1, 0xfffff, v2
	v_add_u32_e32 v52, v1, v18
	v_cmp_ne_u32_e32 vcc, 0, v3
                                        ; implicit-def: $vgpr18_vgpr19
                                        ; implicit-def: $vgpr1
	s_and_saveexec_b64 s[20:21], vcc
	s_xor_b64 s[20:21], exec, s[20:21]
; %bb.776:                              ;   in Loop: Header=BB4_126 Depth=2
	v_cmp_lt_u64_e32 vcc, s[76:77], v[52:53]
	v_add_u32_e32 v1, 7, v26
	v_cndmask_b32_e64 v2, 0, 1, vcc
	v_cndmask_b32_e32 v1, v3, v1, vcc
	v_lshrrev_b64 v[18:19], v2, v[52:53]
; %bb.777:                              ;   in Loop: Header=BB4_126 Depth=2
	s_andn2_saveexec_b64 s[20:21], s[20:21]
; %bb.778:                              ;   in Loop: Header=BB4_126 Depth=2
	v_mov_b32_e32 v18, v52
	v_bfe_u32 v1, v52, 23, 1
	v_mov_b32_e32 v19, v53
; %bb.779:                              ;   in Loop: Header=BB4_126 Depth=2
	s_or_b64 exec, exec, s[20:21]
	v_lshrrev_b64 v[2:3], 20, v[18:19]
	v_cmp_gt_i32_e32 vcc, 16, v1
	v_cndmask_b32_e32 v3, 0, v3, vcc
	v_cndmask_b32_e32 v2, 7, v2, vcc
	v_cmp_eq_u32_e32 vcc, 0, v1
	v_min_i32_e32 v1, 15, v1
	v_cmp_eq_u64_e64 s[20:21], 0, v[2:3]
	v_lshlrev_b32_e32 v1, 3, v1
	v_and_b32_e32 v1, 0xf8, v1
	v_and_or_b32 v1, v2, 7, v1
	s_and_b64 s[20:21], vcc, s[20:21]
	v_cndmask_b32_e64 v1, v1, 0, s[20:21]
	v_or_b32_e32 v26, v1, v0
.LBB4_780:                              ;   in Loop: Header=BB4_126 Depth=2
	s_or_b64 exec, exec, s[94:95]
                                        ; implicit-def: $vgpr0
.LBB4_781:                              ;   in Loop: Header=BB4_126 Depth=2
	s_andn2_saveexec_b64 s[20:21], s[92:93]
; %bb.782:                              ;   in Loop: Header=BB4_126 Depth=2
	v_or_b32_e32 v26, 0x7e, v0
; %bb.783:                              ;   in Loop: Header=BB4_126 Depth=2
	s_or_b64 exec, exec, s[20:21]
                                        ; implicit-def: $vgpr1
.LBB4_784:                              ;   in Loop: Header=BB4_126 Depth=2
	s_andn2_saveexec_b64 s[20:21], s[22:23]
; %bb.785:                              ;   in Loop: Header=BB4_126 Depth=2
	v_or_b32_sdwa v26, v1, s54 dst_sel:DWORD dst_unused:UNUSED_PAD src0_sel:BYTE_3 src1_sel:DWORD
; %bb.786:                              ;   in Loop: Header=BB4_126 Depth=2
	s_or_b64 exec, exec, s[20:21]
	v_cmp_lt_u64_e64 s[20:21], s[78:79], v[24:25]
	v_lshrrev_b32_e32 v19, 24, v25
	v_lshrrev_b32_e32 v18, 24, v21
	s_mov_b64 s[22:23], -1
	s_and_b64 vcc, exec, s[28:29]
                                        ; implicit-def: $vgpr1
	s_cbranch_vccz .LBB4_800
; %bb.787:                              ;   in Loop: Header=BB4_126 Depth=2
	v_mov_b32_e32 v1, 0
	v_mov_b32_e32 v0, 0
	s_and_saveexec_b64 s[22:23], s[20:21]
	s_cbranch_execz .LBB4_793
; %bb.788:                              ;   in Loop: Header=BB4_126 Depth=2
	v_cmp_ne_u32_e32 vcc, s53, v19
	v_bfrev_b32_e32 v0, 1
	s_and_saveexec_b64 s[92:93], vcc
	s_cbranch_execz .LBB4_792
; %bb.789:                              ;   in Loop: Header=BB4_126 Depth=2
	v_bfe_u32 v2, v25, 24, 7
	v_cmp_ne_u32_e32 vcc, s54, v2
	v_mov_b32_e32 v0, 0x7f800001
	s_and_saveexec_b64 s[94:95], vcc
	s_cbranch_execz .LBB4_791
; %bb.790:                              ;   in Loop: Header=BB4_126 Depth=2
	v_and_b32_e32 v0, 7, v19
	v_lshrrev_b32_e32 v24, 3, v2
	v_cmp_gt_u32_e32 vcc, 8, v2
	v_ffbh_u32_e32 v2, v0
	v_min_u32_e32 v27, 32, v2
	v_subrev_u32_e32 v2, 28, v27
	v_lshlrev_b64 v[2:3], v2, v[19:20]
	v_sub_u32_e32 v3, 29, v27
	v_and_b32_e32 v2, 7, v2
	v_cndmask_b32_e32 v3, v24, v3, vcc
	v_cndmask_b32_e32 v0, v0, v2, vcc
	v_lshlrev_b32_e32 v2, 24, v19
	v_lshlrev_b32_e32 v0, 20, v0
	v_and_b32_e32 v2, 0x80000000, v2
	v_lshl_add_u32 v3, v3, 23, v43
	v_or3_b32 v0, v2, v3, v0
.LBB4_791:                              ;   in Loop: Header=BB4_126 Depth=2
	s_or_b64 exec, exec, s[94:95]
.LBB4_792:                              ;   in Loop: Header=BB4_126 Depth=2
	s_or_b64 exec, exec, s[92:93]
.LBB4_793:                              ;   in Loop: Header=BB4_126 Depth=2
	s_or_b64 exec, exec, s[22:23]
	v_cmp_lt_u64_e32 vcc, s[78:79], v[20:21]
	s_and_saveexec_b64 s[22:23], vcc
	s_cbranch_execz .LBB4_799
; %bb.794:                              ;   in Loop: Header=BB4_126 Depth=2
	v_cmp_ne_u32_e32 vcc, s53, v18
	v_bfrev_b32_e32 v1, 1
	s_and_saveexec_b64 s[92:93], vcc
	s_cbranch_execz .LBB4_798
; %bb.795:                              ;   in Loop: Header=BB4_126 Depth=2
	v_bfe_u32 v2, v21, 24, 7
	v_cmp_ne_u32_e32 vcc, s54, v2
	v_mov_b32_e32 v1, 0x7f800001
	s_and_saveexec_b64 s[94:95], vcc
	s_cbranch_execz .LBB4_797
; %bb.796:                              ;   in Loop: Header=BB4_126 Depth=2
	v_and_b32_e32 v3, 7, v18
	v_ffbh_u32_e32 v1, v3
	v_min_u32_e32 v27, 32, v1
	v_subrev_u32_e32 v1, 28, v27
	v_lshrrev_b32_e32 v24, 3, v2
	v_cmp_gt_u32_e32 vcc, 8, v2
	v_lshlrev_b64 v[1:2], v1, v[18:19]
	v_sub_u32_e32 v2, 29, v27
	v_and_b32_e32 v1, 7, v1
	v_cndmask_b32_e32 v2, v24, v2, vcc
	v_cndmask_b32_e32 v1, v3, v1, vcc
	v_lshlrev_b32_e32 v3, 24, v18
	v_lshlrev_b32_e32 v1, 20, v1
	v_and_b32_e32 v3, 0x80000000, v3
	v_lshl_add_u32 v2, v2, 23, v43
	v_or3_b32 v1, v3, v2, v1
.LBB4_797:                              ;   in Loop: Header=BB4_126 Depth=2
	s_or_b64 exec, exec, s[94:95]
.LBB4_798:                              ;   in Loop: Header=BB4_126 Depth=2
	s_or_b64 exec, exec, s[92:93]
.LBB4_799:                              ;   in Loop: Header=BB4_126 Depth=2
	s_or_b64 exec, exec, s[22:23]
	v_max_f32_e32 v1, v1, v1
	v_max_f32_e32 v0, v0, v0
	;; [unrolled: 1-line block ×3, first 2 shown]
	s_mov_b64 s[22:23], 0
.LBB4_800:                              ;   in Loop: Header=BB4_126 Depth=2
	s_and_b64 vcc, exec, s[22:23]
	s_cbranch_vccz .LBB4_814
; %bb.801:                              ;   in Loop: Header=BB4_126 Depth=2
	v_mov_b32_e32 v1, 0
	v_mov_b32_e32 v0, 0
	s_and_saveexec_b64 s[22:23], s[20:21]
	s_cbranch_execz .LBB4_807
; %bb.802:                              ;   in Loop: Header=BB4_126 Depth=2
	v_cmp_ne_u32_e32 vcc, s53, v19
	v_bfrev_b32_e32 v0, 1
	s_and_saveexec_b64 s[20:21], vcc
	s_cbranch_execz .LBB4_806
; %bb.803:                              ;   in Loop: Header=BB4_126 Depth=2
	v_bfe_u32 v2, v25, 24, 7
	v_cmp_ne_u32_e32 vcc, s54, v2
	v_mov_b32_e32 v0, 0x7f800001
	s_and_saveexec_b64 s[92:93], vcc
	s_cbranch_execz .LBB4_805
; %bb.804:                              ;   in Loop: Header=BB4_126 Depth=2
	v_and_b32_e32 v0, 7, v19
	v_lshrrev_b32_e32 v24, 3, v2
	v_cmp_gt_u32_e32 vcc, 8, v2
	v_ffbh_u32_e32 v2, v0
	v_min_u32_e32 v25, 32, v2
	v_subrev_u32_e32 v2, 28, v25
	v_lshlrev_b64 v[2:3], v2, v[19:20]
	v_sub_u32_e32 v3, 29, v25
	v_and_b32_e32 v2, 7, v2
	v_cndmask_b32_e32 v3, v24, v3, vcc
	v_cndmask_b32_e32 v0, v0, v2, vcc
	v_lshlrev_b32_e32 v2, 24, v19
	v_lshlrev_b32_e32 v0, 20, v0
	v_and_b32_e32 v2, 0x80000000, v2
	v_lshl_add_u32 v3, v3, 23, v43
	v_or3_b32 v0, v2, v3, v0
.LBB4_805:                              ;   in Loop: Header=BB4_126 Depth=2
	s_or_b64 exec, exec, s[92:93]
.LBB4_806:                              ;   in Loop: Header=BB4_126 Depth=2
	s_or_b64 exec, exec, s[20:21]
.LBB4_807:                              ;   in Loop: Header=BB4_126 Depth=2
	s_or_b64 exec, exec, s[22:23]
	v_cmp_lt_u64_e32 vcc, s[78:79], v[20:21]
	s_and_saveexec_b64 s[20:21], vcc
	s_cbranch_execz .LBB4_813
; %bb.808:                              ;   in Loop: Header=BB4_126 Depth=2
	v_cmp_ne_u32_e32 vcc, s53, v18
	v_bfrev_b32_e32 v1, 1
	s_and_saveexec_b64 s[22:23], vcc
	s_cbranch_execz .LBB4_812
; %bb.809:                              ;   in Loop: Header=BB4_126 Depth=2
	v_bfe_u32 v2, v21, 24, 7
	v_cmp_ne_u32_e32 vcc, s54, v2
	v_mov_b32_e32 v1, 0x7f800001
	s_and_saveexec_b64 s[92:93], vcc
	s_cbranch_execz .LBB4_811
; %bb.810:                              ;   in Loop: Header=BB4_126 Depth=2
	v_and_b32_e32 v3, 7, v18
	v_ffbh_u32_e32 v1, v3
	v_min_u32_e32 v20, 32, v1
	v_lshrrev_b32_e32 v19, 3, v2
	v_subrev_u32_e32 v1, 28, v20
	v_cmp_gt_u32_e32 vcc, 8, v2
	v_lshlrev_b64 v[1:2], v1, v[18:19]
	v_sub_u32_e32 v2, 29, v20
	v_and_b32_e32 v1, 7, v1
	v_cndmask_b32_e32 v2, v19, v2, vcc
	v_cndmask_b32_e32 v1, v3, v1, vcc
	v_lshlrev_b32_e32 v3, 24, v18
	v_lshlrev_b32_e32 v1, 20, v1
	v_and_b32_e32 v3, 0x80000000, v3
	v_lshl_add_u32 v2, v2, 23, v43
	v_or3_b32 v1, v3, v2, v1
.LBB4_811:                              ;   in Loop: Header=BB4_126 Depth=2
	s_or_b64 exec, exec, s[92:93]
.LBB4_812:                              ;   in Loop: Header=BB4_126 Depth=2
	s_or_b64 exec, exec, s[22:23]
.LBB4_813:                              ;   in Loop: Header=BB4_126 Depth=2
	s_or_b64 exec, exec, s[20:21]
	v_max_f32_e32 v1, v1, v1
	v_max_f32_e32 v0, v0, v0
	v_min_f32_e32 v1, v0, v1
.LBB4_814:                              ;   in Loop: Header=BB4_126 Depth=2
	v_and_b32_e32 v52, 0x7f800000, v1
	v_cmp_ne_u64_e32 vcc, s[72:73], v[52:53]
                                        ; implicit-def: $vgpr21
	s_and_saveexec_b64 s[20:21], vcc
	s_xor_b64 s[22:23], exec, s[20:21]
	s_cbranch_execz .LBB4_828
; %bb.815:                              ;   in Loop: Header=BB4_126 Depth=2
	v_and_b32_e32 v52, 0x7fffffff, v1
	v_cmp_gt_u64_e32 vcc, s[74:75], v[52:53]
	v_and_b32_sdwa v0, v1, s53 dst_sel:DWORD dst_unused:UNUSED_PAD src0_sel:BYTE_3 src1_sel:DWORD
                                        ; implicit-def: $vgpr21
	s_and_saveexec_b64 s[20:21], vcc
	s_xor_b64 s[92:93], exec, s[20:21]
	s_cbranch_execz .LBB4_825
; %bb.816:                              ;   in Loop: Header=BB4_126 Depth=2
	v_mov_b32_e32 v21, 0
	v_cmp_ne_u32_e32 vcc, 0, v1
	s_and_saveexec_b64 s[94:95], vcc
	s_cbranch_execz .LBB4_824
; %bb.817:                              ;   in Loop: Header=BB4_126 Depth=2
	v_and_b32_e32 v2, 0x7fffff, v1
	v_bfe_u32 v1, v1, 23, 8
	v_cmp_gt_u32_e64 s[20:21], s64, v1
	v_sub_u32_e32 v3, 0x79, v1
	v_cmp_eq_u32_e32 vcc, 0, v1
	v_cndmask_b32_e64 v3, 0, v3, s[20:21]
	v_mov_b32_e32 v19, 0x78
	v_or_b32_e32 v18, 0x800000, v2
	v_cndmask_b32_e32 v20, v3, v19, vcc
	v_cndmask_b32_e32 v52, v18, v2, vcc
	v_add_u32_e32 v2, 20, v20
	v_lshlrev_b64 v[2:3], v2, -1
	v_add_u32_e32 v18, 19, v20
	v_lshlrev_b64 v[18:19], v18, 1
	v_bfi_b32 v3, v3, 0, 0
	v_bfi_b32 v2, v2, 0, v52
	v_cmp_eq_u64_e64 s[20:21], v[2:3], v[18:19]
	v_lshrrev_b64 v[18:19], v20, v[52:53]
	v_mov_b32_e32 v2, v18
	v_mov_b32_e32 v3, v19
	s_and_saveexec_b64 s[30:31], s[20:21]
; %bb.818:                              ;   in Loop: Header=BB4_126 Depth=2
	v_bfe_u32 v2, v18, 20, 1
	v_add_co_u32_e64 v2, s[20:21], v18, v2
	v_add_co_u32_e64 v2, s[20:21], -1, v2
; %bb.819:                              ;   in Loop: Header=BB4_126 Depth=2
	s_or_b64 exec, exec, s[30:31]
	v_add_u32_e32 v1, 0xffffff81, v1
	v_cndmask_b32_e32 v1, v1, v49, vcc
	v_lshrrev_b32_e32 v3, 23, v18
	v_add3_u32 v20, v20, v1, v3
	v_add_u32_e32 v3, 6, v20
	v_and_b32_e32 v1, 0xfffff, v2
	v_add_u32_e32 v52, v1, v18
	v_cmp_ne_u32_e32 vcc, 0, v3
                                        ; implicit-def: $vgpr18_vgpr19
                                        ; implicit-def: $vgpr1
	s_and_saveexec_b64 s[20:21], vcc
	s_xor_b64 s[20:21], exec, s[20:21]
; %bb.820:                              ;   in Loop: Header=BB4_126 Depth=2
	v_cmp_lt_u64_e32 vcc, s[76:77], v[52:53]
	v_add_u32_e32 v1, 7, v20
	v_cndmask_b32_e64 v2, 0, 1, vcc
	v_cndmask_b32_e32 v1, v3, v1, vcc
	v_lshrrev_b64 v[18:19], v2, v[52:53]
; %bb.821:                              ;   in Loop: Header=BB4_126 Depth=2
	s_andn2_saveexec_b64 s[20:21], s[20:21]
; %bb.822:                              ;   in Loop: Header=BB4_126 Depth=2
	v_mov_b32_e32 v18, v52
	v_bfe_u32 v1, v52, 23, 1
	v_mov_b32_e32 v19, v53
; %bb.823:                              ;   in Loop: Header=BB4_126 Depth=2
	s_or_b64 exec, exec, s[20:21]
	v_lshrrev_b64 v[2:3], 20, v[18:19]
	v_cmp_gt_i32_e32 vcc, 16, v1
	v_cndmask_b32_e32 v3, 0, v3, vcc
	v_cndmask_b32_e32 v2, 7, v2, vcc
	v_cmp_eq_u32_e32 vcc, 0, v1
	v_min_i32_e32 v1, 15, v1
	v_cmp_eq_u64_e64 s[20:21], 0, v[2:3]
	v_lshlrev_b32_e32 v1, 3, v1
	v_and_b32_e32 v1, 0xf8, v1
	v_and_or_b32 v1, v2, 7, v1
	s_and_b64 s[20:21], vcc, s[20:21]
	v_cndmask_b32_e64 v1, v1, 0, s[20:21]
	v_or_b32_e32 v21, v1, v0
.LBB4_824:                              ;   in Loop: Header=BB4_126 Depth=2
	s_or_b64 exec, exec, s[94:95]
                                        ; implicit-def: $vgpr0
.LBB4_825:                              ;   in Loop: Header=BB4_126 Depth=2
	s_andn2_saveexec_b64 s[20:21], s[92:93]
; %bb.826:                              ;   in Loop: Header=BB4_126 Depth=2
	v_or_b32_e32 v21, 0x7e, v0
; %bb.827:                              ;   in Loop: Header=BB4_126 Depth=2
	s_or_b64 exec, exec, s[20:21]
                                        ; implicit-def: $vgpr1
.LBB4_828:                              ;   in Loop: Header=BB4_126 Depth=2
	s_andn2_saveexec_b64 s[20:21], s[22:23]
; %bb.829:                              ;   in Loop: Header=BB4_126 Depth=2
	v_or_b32_sdwa v21, v1, s54 dst_sel:DWORD dst_unused:UNUSED_PAD src0_sel:BYTE_3 src1_sel:DWORD
; %bb.830:                              ;   in Loop: Header=BB4_126 Depth=2
	s_or_b64 exec, exec, s[20:21]
	v_cndmask_b32_e64 v0, 0, 1, s[28:29]
	v_cmp_ne_u16_sdwa s[22:23], v14, v53 src0_sel:BYTE_0 src1_sel:DWORD
	v_cmp_ne_u32_e64 s[20:21], 1, v0
	s_andn2_b64 vcc, exec, s[28:29]
	s_mov_b64 s[92:93], -1
                                        ; implicit-def: $vgpr1
	s_cbranch_vccnz .LBB4_844
; %bb.831:                              ;   in Loop: Header=BB4_126 Depth=2
	v_mov_b32_e32 v1, 0
	v_mov_b32_e32 v0, 0
	s_and_saveexec_b64 s[92:93], s[22:23]
	s_cbranch_execz .LBB4_837
; %bb.832:                              ;   in Loop: Header=BB4_126 Depth=2
	v_cmp_ne_u16_sdwa vcc, v14, s53 src0_sel:BYTE_0 src1_sel:DWORD
	v_bfrev_b32_e32 v0, 1
	s_and_saveexec_b64 s[94:95], vcc
	s_cbranch_execz .LBB4_836
; %bb.833:                              ;   in Loop: Header=BB4_126 Depth=2
	v_and_b32_e32 v2, 0x7f, v14
	v_cmp_ne_u32_e32 vcc, s54, v2
	v_mov_b32_e32 v0, 0x7f800001
	s_and_saveexec_b64 s[30:31], vcc
	s_cbranch_execz .LBB4_835
; %bb.834:                              ;   in Loop: Header=BB4_126 Depth=2
	v_and_b32_e32 v0, 7, v14
	v_ffbh_u32_e32 v0, v0
	v_min_u32_e32 v0, 32, v0
	v_lshrrev_b32_e32 v3, 3, v2
	v_cmp_gt_u32_e32 vcc, 8, v2
	v_subrev_u32_e32 v2, 28, v0
	v_sub_u32_e32 v0, 29, v0
	v_cndmask_b32_e32 v2, 0, v2, vcc
	v_cndmask_b32_e32 v0, v3, v0, vcc
	v_lshlrev_b64 v[2:3], v2, v[14:15]
	v_lshlrev_b32_e32 v3, 24, v14
	v_lshlrev_b32_e32 v2, 20, v2
	v_and_b32_e32 v2, 0x700000, v2
	v_and_b32_e32 v3, 0x80000000, v3
	v_lshl_add_u32 v0, v0, 23, v43
	v_or3_b32 v0, v3, v0, v2
.LBB4_835:                              ;   in Loop: Header=BB4_126 Depth=2
	s_or_b64 exec, exec, s[30:31]
.LBB4_836:                              ;   in Loop: Header=BB4_126 Depth=2
	s_or_b64 exec, exec, s[94:95]
.LBB4_837:                              ;   in Loop: Header=BB4_126 Depth=2
	s_or_b64 exec, exec, s[92:93]
	s_waitcnt vmcnt(1)
	v_cmp_ne_u16_sdwa s[94:95], v10, v53 src0_sel:BYTE_0 src1_sel:DWORD
	s_and_saveexec_b64 s[92:93], s[94:95]
	s_cbranch_execz .LBB4_843
; %bb.838:                              ;   in Loop: Header=BB4_126 Depth=2
	v_cmp_ne_u16_sdwa vcc, v10, s53 src0_sel:BYTE_0 src1_sel:DWORD
	v_bfrev_b32_e32 v1, 1
	s_and_saveexec_b64 s[94:95], vcc
	s_cbranch_execz .LBB4_842
; %bb.839:                              ;   in Loop: Header=BB4_126 Depth=2
	v_and_b32_e32 v2, 0x7f, v10
	v_cmp_ne_u32_e32 vcc, s54, v2
	v_mov_b32_e32 v1, 0x7f800001
	s_and_saveexec_b64 s[30:31], vcc
	s_cbranch_execz .LBB4_841
; %bb.840:                              ;   in Loop: Header=BB4_126 Depth=2
	v_and_b32_e32 v1, 7, v10
	v_ffbh_u32_e32 v1, v1
	v_min_u32_e32 v1, 32, v1
	v_lshrrev_b32_e32 v3, 3, v2
	v_cmp_gt_u32_e32 vcc, 8, v2
	v_subrev_u32_e32 v2, 28, v1
	v_sub_u32_e32 v1, 29, v1
	v_cndmask_b32_e32 v3, v3, v1, vcc
	v_cndmask_b32_e32 v1, 0, v2, vcc
	v_lshlrev_b64 v[1:2], v1, v[10:11]
	v_lshlrev_b32_e32 v2, 24, v10
	v_lshlrev_b32_e32 v1, 20, v1
	v_and_b32_e32 v1, 0x700000, v1
	v_and_b32_e32 v2, 0x80000000, v2
	v_lshl_add_u32 v3, v3, 23, v43
	v_or3_b32 v1, v2, v3, v1
.LBB4_841:                              ;   in Loop: Header=BB4_126 Depth=2
	s_or_b64 exec, exec, s[30:31]
.LBB4_842:                              ;   in Loop: Header=BB4_126 Depth=2
	s_or_b64 exec, exec, s[94:95]
.LBB4_843:                              ;   in Loop: Header=BB4_126 Depth=2
	s_or_b64 exec, exec, s[92:93]
	v_max_f32_e32 v1, v1, v1
	v_max_f32_e32 v0, v0, v0
	;; [unrolled: 1-line block ×3, first 2 shown]
	s_mov_b64 s[92:93], 0
.LBB4_844:                              ;   in Loop: Header=BB4_126 Depth=2
	s_and_b64 vcc, exec, s[92:93]
	s_cbranch_vccz .LBB4_858
; %bb.845:                              ;   in Loop: Header=BB4_126 Depth=2
	v_mov_b32_e32 v1, 0
	v_mov_b32_e32 v0, 0
	s_and_saveexec_b64 s[92:93], s[22:23]
	s_cbranch_execz .LBB4_851
; %bb.846:                              ;   in Loop: Header=BB4_126 Depth=2
	v_cmp_ne_u16_sdwa s[94:95], v14, s53 src0_sel:BYTE_0 src1_sel:DWORD
	v_bfrev_b32_e32 v0, 1
	s_and_saveexec_b64 s[22:23], s[94:95]
	s_cbranch_execz .LBB4_850
; %bb.847:                              ;   in Loop: Header=BB4_126 Depth=2
	v_and_b32_e32 v2, 0x7f, v14
	v_cmp_ne_u32_e32 vcc, s54, v2
	v_mov_b32_e32 v0, 0x7f800001
	s_and_saveexec_b64 s[94:95], vcc
	s_cbranch_execz .LBB4_849
; %bb.848:                              ;   in Loop: Header=BB4_126 Depth=2
	v_and_b32_e32 v0, 7, v14
	v_ffbh_u32_e32 v0, v0
	v_min_u32_e32 v0, 32, v0
	v_lshrrev_b32_e32 v3, 3, v2
	v_cmp_gt_u32_e32 vcc, 8, v2
	v_subrev_u32_e32 v2, 28, v0
	v_sub_u32_e32 v0, 29, v0
	v_cndmask_b32_e32 v2, 0, v2, vcc
	v_cndmask_b32_e32 v0, v3, v0, vcc
	v_lshlrev_b64 v[2:3], v2, v[14:15]
	v_lshlrev_b32_e32 v3, 24, v14
	v_lshlrev_b32_e32 v2, 20, v2
	v_and_b32_e32 v2, 0x700000, v2
	v_and_b32_e32 v3, 0x80000000, v3
	v_lshl_add_u32 v0, v0, 23, v43
	v_or3_b32 v0, v3, v0, v2
.LBB4_849:                              ;   in Loop: Header=BB4_126 Depth=2
	s_or_b64 exec, exec, s[94:95]
.LBB4_850:                              ;   in Loop: Header=BB4_126 Depth=2
	s_or_b64 exec, exec, s[22:23]
.LBB4_851:                              ;   in Loop: Header=BB4_126 Depth=2
	s_or_b64 exec, exec, s[92:93]
	s_waitcnt vmcnt(1)
	v_cmp_ne_u16_sdwa s[92:93], v10, v53 src0_sel:BYTE_0 src1_sel:DWORD
	s_and_saveexec_b64 s[22:23], s[92:93]
	s_cbranch_execz .LBB4_857
; %bb.852:                              ;   in Loop: Header=BB4_126 Depth=2
	v_cmp_ne_u16_sdwa s[94:95], v10, s53 src0_sel:BYTE_0 src1_sel:DWORD
	v_bfrev_b32_e32 v1, 1
	s_and_saveexec_b64 s[92:93], s[94:95]
	s_cbranch_execz .LBB4_856
; %bb.853:                              ;   in Loop: Header=BB4_126 Depth=2
	v_and_b32_e32 v2, 0x7f, v10
	v_cmp_ne_u32_e32 vcc, s54, v2
	v_mov_b32_e32 v1, 0x7f800001
	s_and_saveexec_b64 s[94:95], vcc
	s_cbranch_execz .LBB4_855
; %bb.854:                              ;   in Loop: Header=BB4_126 Depth=2
	v_and_b32_e32 v1, 7, v10
	v_ffbh_u32_e32 v1, v1
	v_min_u32_e32 v1, 32, v1
	v_lshrrev_b32_e32 v3, 3, v2
	v_cmp_gt_u32_e32 vcc, 8, v2
	v_subrev_u32_e32 v2, 28, v1
	v_sub_u32_e32 v1, 29, v1
	v_cndmask_b32_e32 v3, v3, v1, vcc
	v_cndmask_b32_e32 v1, 0, v2, vcc
	v_lshlrev_b64 v[1:2], v1, v[10:11]
	v_lshlrev_b32_e32 v2, 24, v10
	v_lshlrev_b32_e32 v1, 20, v1
	v_and_b32_e32 v1, 0x700000, v1
	v_and_b32_e32 v2, 0x80000000, v2
	v_lshl_add_u32 v3, v3, 23, v43
	v_or3_b32 v1, v2, v3, v1
.LBB4_855:                              ;   in Loop: Header=BB4_126 Depth=2
	s_or_b64 exec, exec, s[94:95]
.LBB4_856:                              ;   in Loop: Header=BB4_126 Depth=2
	s_or_b64 exec, exec, s[92:93]
.LBB4_857:                              ;   in Loop: Header=BB4_126 Depth=2
	s_or_b64 exec, exec, s[22:23]
	v_max_f32_e32 v1, v1, v1
	v_max_f32_e32 v0, v0, v0
	v_min_f32_e32 v1, v0, v1
.LBB4_858:                              ;   in Loop: Header=BB4_126 Depth=2
	v_and_b32_e32 v52, 0x7f800000, v1
	v_cmp_ne_u64_e32 vcc, s[72:73], v[52:53]
                                        ; implicit-def: $vgpr24
	s_and_saveexec_b64 s[22:23], vcc
	s_xor_b64 s[92:93], exec, s[22:23]
	s_cbranch_execz .LBB4_872
; %bb.859:                              ;   in Loop: Header=BB4_126 Depth=2
	v_and_b32_e32 v52, 0x7fffffff, v1
	v_cmp_gt_u64_e32 vcc, s[74:75], v[52:53]
	v_and_b32_sdwa v0, v1, s53 dst_sel:DWORD dst_unused:UNUSED_PAD src0_sel:BYTE_3 src1_sel:DWORD
                                        ; implicit-def: $vgpr24
	s_and_saveexec_b64 s[22:23], vcc
	s_xor_b64 s[94:95], exec, s[22:23]
	s_cbranch_execz .LBB4_869
; %bb.860:                              ;   in Loop: Header=BB4_126 Depth=2
	v_mov_b32_e32 v24, 0
	v_cmp_ne_u32_e32 vcc, 0, v1
	s_and_saveexec_b64 s[30:31], vcc
	s_cbranch_execz .LBB4_868
; %bb.861:                              ;   in Loop: Header=BB4_126 Depth=2
	v_and_b32_e32 v2, 0x7fffff, v1
	v_bfe_u32 v1, v1, 23, 8
	v_cmp_gt_u32_e64 s[22:23], s64, v1
	v_sub_u32_e32 v3, 0x79, v1
	v_cmp_eq_u32_e32 vcc, 0, v1
	v_cndmask_b32_e64 v3, 0, v3, s[22:23]
	v_mov_b32_e32 v19, 0x78
	v_or_b32_e32 v18, 0x800000, v2
	v_cndmask_b32_e32 v20, v3, v19, vcc
	v_cndmask_b32_e32 v52, v18, v2, vcc
	v_add_u32_e32 v2, 20, v20
	v_lshlrev_b64 v[2:3], v2, -1
	v_add_u32_e32 v18, 19, v20
	v_lshlrev_b64 v[18:19], v18, 1
	v_bfi_b32 v3, v3, 0, 0
	v_bfi_b32 v2, v2, 0, v52
	v_cmp_eq_u64_e64 s[22:23], v[2:3], v[18:19]
	v_lshrrev_b64 v[18:19], v20, v[52:53]
	v_mov_b32_e32 v2, v18
	v_mov_b32_e32 v3, v19
	s_and_saveexec_b64 s[34:35], s[22:23]
; %bb.862:                              ;   in Loop: Header=BB4_126 Depth=2
	v_bfe_u32 v2, v18, 20, 1
	v_add_co_u32_e64 v2, s[22:23], v18, v2
	v_add_co_u32_e64 v2, s[22:23], -1, v2
; %bb.863:                              ;   in Loop: Header=BB4_126 Depth=2
	s_or_b64 exec, exec, s[34:35]
	v_add_u32_e32 v1, 0xffffff81, v1
	v_cndmask_b32_e32 v1, v1, v49, vcc
	v_lshrrev_b32_e32 v3, 23, v18
	v_add3_u32 v20, v20, v1, v3
	v_add_u32_e32 v3, 6, v20
	v_and_b32_e32 v1, 0xfffff, v2
	v_add_u32_e32 v52, v1, v18
	v_cmp_ne_u32_e32 vcc, 0, v3
                                        ; implicit-def: $vgpr18_vgpr19
                                        ; implicit-def: $vgpr1
	s_and_saveexec_b64 s[22:23], vcc
	s_xor_b64 s[22:23], exec, s[22:23]
; %bb.864:                              ;   in Loop: Header=BB4_126 Depth=2
	v_cmp_lt_u64_e32 vcc, s[76:77], v[52:53]
	v_add_u32_e32 v1, 7, v20
	v_cndmask_b32_e64 v2, 0, 1, vcc
	v_lshrrev_b64 v[18:19], v2, v[52:53]
	v_cndmask_b32_e32 v1, v3, v1, vcc
; %bb.865:                              ;   in Loop: Header=BB4_126 Depth=2
	s_andn2_saveexec_b64 s[22:23], s[22:23]
; %bb.866:                              ;   in Loop: Header=BB4_126 Depth=2
	v_mov_b32_e32 v18, v52
	v_bfe_u32 v1, v52, 23, 1
	v_mov_b32_e32 v19, v53
; %bb.867:                              ;   in Loop: Header=BB4_126 Depth=2
	s_or_b64 exec, exec, s[22:23]
	v_lshrrev_b64 v[2:3], 20, v[18:19]
	v_cmp_gt_i32_e32 vcc, 16, v1
	v_cndmask_b32_e32 v3, 0, v3, vcc
	v_cndmask_b32_e32 v2, 7, v2, vcc
	v_cmp_eq_u32_e32 vcc, 0, v1
	v_min_i32_e32 v1, 15, v1
	v_cmp_eq_u64_e64 s[22:23], 0, v[2:3]
	v_lshlrev_b32_e32 v1, 3, v1
	v_and_b32_e32 v1, 0xf8, v1
	v_and_or_b32 v1, v2, 7, v1
	s_and_b64 s[22:23], vcc, s[22:23]
	v_cndmask_b32_e64 v1, v1, 0, s[22:23]
	v_or_b32_e32 v24, v1, v0
.LBB4_868:                              ;   in Loop: Header=BB4_126 Depth=2
	s_or_b64 exec, exec, s[30:31]
                                        ; implicit-def: $vgpr0
.LBB4_869:                              ;   in Loop: Header=BB4_126 Depth=2
	s_andn2_saveexec_b64 s[22:23], s[94:95]
; %bb.870:                              ;   in Loop: Header=BB4_126 Depth=2
	v_or_b32_e32 v24, 0x7e, v0
; %bb.871:                              ;   in Loop: Header=BB4_126 Depth=2
	s_or_b64 exec, exec, s[22:23]
                                        ; implicit-def: $vgpr1
.LBB4_872:                              ;   in Loop: Header=BB4_126 Depth=2
	s_andn2_saveexec_b64 s[22:23], s[92:93]
; %bb.873:                              ;   in Loop: Header=BB4_126 Depth=2
	v_or_b32_sdwa v24, v1, s54 dst_sel:DWORD dst_unused:UNUSED_PAD src0_sel:BYTE_3 src1_sel:DWORD
; %bb.874:                              ;   in Loop: Header=BB4_126 Depth=2
	s_or_b64 exec, exec, s[22:23]
	v_lshrrev_b16_e32 v19, 8, v14
	s_waitcnt vmcnt(1)
	v_lshrrev_b16_e32 v18, 8, v10
	v_cmp_ne_u16_e64 s[22:23], 0, v19
	s_and_b64 vcc, exec, s[20:21]
	s_mov_b64 s[92:93], -1
                                        ; implicit-def: $vgpr1
	s_cbranch_vccnz .LBB4_888
; %bb.875:                              ;   in Loop: Header=BB4_126 Depth=2
	v_mov_b32_e32 v1, 0
	v_mov_b32_e32 v0, 0
	s_and_saveexec_b64 s[92:93], s[22:23]
	s_cbranch_execz .LBB4_881
; %bb.876:                              ;   in Loop: Header=BB4_126 Depth=2
	v_cmp_ne_u16_e32 vcc, s53, v19
	v_bfrev_b32_e32 v0, 1
	s_and_saveexec_b64 s[94:95], vcc
	s_cbranch_execz .LBB4_880
; %bb.877:                              ;   in Loop: Header=BB4_126 Depth=2
	v_and_b32_e32 v2, 0x7f, v19
	v_cmp_ne_u32_e32 vcc, s54, v2
	v_mov_b32_e32 v0, 0x7f800001
	s_and_saveexec_b64 s[30:31], vcc
	s_cbranch_execz .LBB4_879
; %bb.878:                              ;   in Loop: Header=BB4_126 Depth=2
	v_and_b32_e32 v0, 7, v19
	v_lshrrev_b32_e32 v20, 3, v2
	v_cmp_gt_u32_e32 vcc, 8, v2
	v_ffbh_u32_e32 v2, v0
	v_min_u32_e32 v25, 32, v2
	v_subrev_u32_e32 v2, 28, v25
	v_lshlrev_b64 v[2:3], v2, v[19:20]
	v_sub_u32_e32 v3, 29, v25
	v_and_b32_e32 v2, 7, v2
	v_cndmask_b32_e32 v3, v20, v3, vcc
	v_cndmask_b32_e32 v0, v0, v2, vcc
	v_lshlrev_b32_e32 v2, 16, v14
	v_lshlrev_b32_e32 v0, 20, v0
	v_and_b32_e32 v2, 0x80000000, v2
	v_lshl_add_u32 v3, v3, 23, v43
	v_or3_b32 v0, v2, v3, v0
.LBB4_879:                              ;   in Loop: Header=BB4_126 Depth=2
	s_or_b64 exec, exec, s[30:31]
.LBB4_880:                              ;   in Loop: Header=BB4_126 Depth=2
	s_or_b64 exec, exec, s[94:95]
.LBB4_881:                              ;   in Loop: Header=BB4_126 Depth=2
	s_or_b64 exec, exec, s[92:93]
	v_cmp_ne_u16_e32 vcc, 0, v18
	s_and_saveexec_b64 s[92:93], vcc
	s_cbranch_execz .LBB4_887
; %bb.882:                              ;   in Loop: Header=BB4_126 Depth=2
	v_cmp_ne_u16_e32 vcc, s53, v18
	v_bfrev_b32_e32 v1, 1
	s_and_saveexec_b64 s[94:95], vcc
	s_cbranch_execz .LBB4_886
; %bb.883:                              ;   in Loop: Header=BB4_126 Depth=2
	v_and_b32_e32 v2, 0x7f, v18
	v_cmp_ne_u32_e32 vcc, s54, v2
	v_mov_b32_e32 v1, 0x7f800001
	s_and_saveexec_b64 s[30:31], vcc
	s_cbranch_execz .LBB4_885
; %bb.884:                              ;   in Loop: Header=BB4_126 Depth=2
	v_and_b32_e32 v3, 7, v18
	v_ffbh_u32_e32 v1, v3
	v_min_u32_e32 v25, 32, v1
	v_subrev_u32_e32 v1, 28, v25
	v_lshrrev_b32_e32 v20, 3, v2
	v_cmp_gt_u32_e32 vcc, 8, v2
	v_lshlrev_b64 v[1:2], v1, v[18:19]
	v_sub_u32_e32 v2, 29, v25
	v_and_b32_e32 v1, 7, v1
	v_cndmask_b32_e32 v2, v20, v2, vcc
	v_cndmask_b32_e32 v1, v3, v1, vcc
	v_lshlrev_b32_e32 v3, 16, v10
	v_lshlrev_b32_e32 v1, 20, v1
	v_and_b32_e32 v3, 0x80000000, v3
	v_lshl_add_u32 v2, v2, 23, v43
	v_or3_b32 v1, v3, v2, v1
.LBB4_885:                              ;   in Loop: Header=BB4_126 Depth=2
	s_or_b64 exec, exec, s[30:31]
.LBB4_886:                              ;   in Loop: Header=BB4_126 Depth=2
	s_or_b64 exec, exec, s[94:95]
.LBB4_887:                              ;   in Loop: Header=BB4_126 Depth=2
	s_or_b64 exec, exec, s[92:93]
	v_max_f32_e32 v1, v1, v1
	v_max_f32_e32 v0, v0, v0
	;; [unrolled: 1-line block ×3, first 2 shown]
	s_mov_b64 s[92:93], 0
.LBB4_888:                              ;   in Loop: Header=BB4_126 Depth=2
	s_and_b64 vcc, exec, s[92:93]
	s_cbranch_vccz .LBB4_902
; %bb.889:                              ;   in Loop: Header=BB4_126 Depth=2
	v_mov_b32_e32 v1, 0
	v_mov_b32_e32 v0, 0
	s_and_saveexec_b64 s[92:93], s[22:23]
	s_cbranch_execz .LBB4_895
; %bb.890:                              ;   in Loop: Header=BB4_126 Depth=2
	v_cmp_ne_u16_e32 vcc, s53, v19
	v_bfrev_b32_e32 v0, 1
	s_and_saveexec_b64 s[22:23], vcc
	s_cbranch_execz .LBB4_894
; %bb.891:                              ;   in Loop: Header=BB4_126 Depth=2
	v_and_b32_e32 v2, 0x7f, v19
	v_cmp_ne_u32_e32 vcc, s54, v2
	v_mov_b32_e32 v0, 0x7f800001
	s_and_saveexec_b64 s[94:95], vcc
	s_cbranch_execz .LBB4_893
; %bb.892:                              ;   in Loop: Header=BB4_126 Depth=2
	v_and_b32_e32 v0, 7, v19
	v_lshrrev_b32_e32 v20, 3, v2
	v_cmp_gt_u32_e32 vcc, 8, v2
	v_ffbh_u32_e32 v2, v0
	v_min_u32_e32 v25, 32, v2
	v_subrev_u32_e32 v2, 28, v25
	v_lshlrev_b64 v[2:3], v2, v[19:20]
	v_sub_u32_e32 v3, 29, v25
	v_and_b32_e32 v2, 7, v2
	v_cndmask_b32_e32 v3, v20, v3, vcc
	v_cndmask_b32_e32 v0, v0, v2, vcc
	v_lshlrev_b32_e32 v2, 16, v14
	v_lshlrev_b32_e32 v0, 20, v0
	v_and_b32_e32 v2, 0x80000000, v2
	v_lshl_add_u32 v3, v3, 23, v43
	v_or3_b32 v0, v2, v3, v0
.LBB4_893:                              ;   in Loop: Header=BB4_126 Depth=2
	s_or_b64 exec, exec, s[94:95]
.LBB4_894:                              ;   in Loop: Header=BB4_126 Depth=2
	s_or_b64 exec, exec, s[22:23]
.LBB4_895:                              ;   in Loop: Header=BB4_126 Depth=2
	s_or_b64 exec, exec, s[92:93]
	v_cmp_ne_u16_e32 vcc, 0, v18
	s_and_saveexec_b64 s[22:23], vcc
	s_cbranch_execz .LBB4_901
; %bb.896:                              ;   in Loop: Header=BB4_126 Depth=2
	v_cmp_ne_u16_e32 vcc, s53, v18
	v_bfrev_b32_e32 v1, 1
	s_and_saveexec_b64 s[92:93], vcc
	s_cbranch_execz .LBB4_900
; %bb.897:                              ;   in Loop: Header=BB4_126 Depth=2
	v_and_b32_e32 v2, 0x7f, v18
	v_cmp_ne_u32_e32 vcc, s54, v2
	v_mov_b32_e32 v1, 0x7f800001
	s_and_saveexec_b64 s[94:95], vcc
	s_cbranch_execz .LBB4_899
; %bb.898:                              ;   in Loop: Header=BB4_126 Depth=2
	v_and_b32_e32 v3, 7, v18
	v_ffbh_u32_e32 v1, v3
	v_min_u32_e32 v20, 32, v1
	v_lshrrev_b32_e32 v19, 3, v2
	v_subrev_u32_e32 v1, 28, v20
	v_cmp_gt_u32_e32 vcc, 8, v2
	v_lshlrev_b64 v[1:2], v1, v[18:19]
	v_sub_u32_e32 v2, 29, v20
	v_and_b32_e32 v1, 7, v1
	v_cndmask_b32_e32 v2, v19, v2, vcc
	v_cndmask_b32_e32 v1, v3, v1, vcc
	v_lshlrev_b32_e32 v3, 16, v10
	v_lshlrev_b32_e32 v1, 20, v1
	v_and_b32_e32 v3, 0x80000000, v3
	v_lshl_add_u32 v2, v2, 23, v43
	v_or3_b32 v1, v3, v2, v1
.LBB4_899:                              ;   in Loop: Header=BB4_126 Depth=2
	s_or_b64 exec, exec, s[94:95]
.LBB4_900:                              ;   in Loop: Header=BB4_126 Depth=2
	s_or_b64 exec, exec, s[92:93]
.LBB4_901:                              ;   in Loop: Header=BB4_126 Depth=2
	s_or_b64 exec, exec, s[22:23]
	v_max_f32_e32 v1, v1, v1
	v_max_f32_e32 v0, v0, v0
	v_min_f32_e32 v1, v0, v1
.LBB4_902:                              ;   in Loop: Header=BB4_126 Depth=2
	v_and_b32_e32 v52, 0x7f800000, v1
	v_cmp_ne_u64_e32 vcc, s[72:73], v[52:53]
                                        ; implicit-def: $vgpr25
	s_and_saveexec_b64 s[22:23], vcc
	s_xor_b64 s[92:93], exec, s[22:23]
	s_cbranch_execz .LBB4_916
; %bb.903:                              ;   in Loop: Header=BB4_126 Depth=2
	v_and_b32_e32 v52, 0x7fffffff, v1
	v_cmp_gt_u64_e32 vcc, s[74:75], v[52:53]
	v_and_b32_sdwa v0, v1, s53 dst_sel:DWORD dst_unused:UNUSED_PAD src0_sel:BYTE_3 src1_sel:DWORD
                                        ; implicit-def: $vgpr25
	s_and_saveexec_b64 s[22:23], vcc
	s_xor_b64 s[94:95], exec, s[22:23]
	s_cbranch_execz .LBB4_913
; %bb.904:                              ;   in Loop: Header=BB4_126 Depth=2
	v_mov_b32_e32 v25, 0
	v_cmp_ne_u32_e32 vcc, 0, v1
	s_and_saveexec_b64 s[30:31], vcc
	s_cbranch_execz .LBB4_912
; %bb.905:                              ;   in Loop: Header=BB4_126 Depth=2
	v_and_b32_e32 v2, 0x7fffff, v1
	v_bfe_u32 v1, v1, 23, 8
	v_cmp_gt_u32_e64 s[22:23], s64, v1
	v_sub_u32_e32 v3, 0x79, v1
	v_cmp_eq_u32_e32 vcc, 0, v1
	v_cndmask_b32_e64 v3, 0, v3, s[22:23]
	v_mov_b32_e32 v19, 0x78
	v_or_b32_e32 v18, 0x800000, v2
	v_cndmask_b32_e32 v20, v3, v19, vcc
	v_cndmask_b32_e32 v52, v18, v2, vcc
	v_add_u32_e32 v2, 20, v20
	v_lshlrev_b64 v[2:3], v2, -1
	v_add_u32_e32 v18, 19, v20
	v_lshlrev_b64 v[18:19], v18, 1
	v_bfi_b32 v3, v3, 0, 0
	v_bfi_b32 v2, v2, 0, v52
	v_cmp_eq_u64_e64 s[22:23], v[2:3], v[18:19]
	v_lshrrev_b64 v[18:19], v20, v[52:53]
	v_mov_b32_e32 v2, v18
	v_mov_b32_e32 v3, v19
	s_and_saveexec_b64 s[34:35], s[22:23]
; %bb.906:                              ;   in Loop: Header=BB4_126 Depth=2
	v_bfe_u32 v2, v18, 20, 1
	v_add_co_u32_e64 v2, s[22:23], v18, v2
	v_add_co_u32_e64 v2, s[22:23], -1, v2
; %bb.907:                              ;   in Loop: Header=BB4_126 Depth=2
	s_or_b64 exec, exec, s[34:35]
	v_add_u32_e32 v1, 0xffffff81, v1
	v_cndmask_b32_e32 v1, v1, v49, vcc
	v_lshrrev_b32_e32 v3, 23, v18
	v_add3_u32 v20, v20, v1, v3
	v_add_u32_e32 v3, 6, v20
	v_and_b32_e32 v1, 0xfffff, v2
	v_add_u32_e32 v52, v1, v18
	v_cmp_ne_u32_e32 vcc, 0, v3
                                        ; implicit-def: $vgpr18_vgpr19
                                        ; implicit-def: $vgpr1
	s_and_saveexec_b64 s[22:23], vcc
	s_xor_b64 s[22:23], exec, s[22:23]
; %bb.908:                              ;   in Loop: Header=BB4_126 Depth=2
	v_cmp_lt_u64_e32 vcc, s[76:77], v[52:53]
	v_add_u32_e32 v1, 7, v20
	v_cndmask_b32_e64 v2, 0, 1, vcc
	v_lshrrev_b64 v[18:19], v2, v[52:53]
	v_cndmask_b32_e32 v1, v3, v1, vcc
; %bb.909:                              ;   in Loop: Header=BB4_126 Depth=2
	s_andn2_saveexec_b64 s[22:23], s[22:23]
; %bb.910:                              ;   in Loop: Header=BB4_126 Depth=2
	v_mov_b32_e32 v18, v52
	v_bfe_u32 v1, v52, 23, 1
	v_mov_b32_e32 v19, v53
; %bb.911:                              ;   in Loop: Header=BB4_126 Depth=2
	s_or_b64 exec, exec, s[22:23]
	v_lshrrev_b64 v[2:3], 20, v[18:19]
	v_cmp_gt_i32_e32 vcc, 16, v1
	v_cndmask_b32_e32 v3, 0, v3, vcc
	v_cndmask_b32_e32 v2, 7, v2, vcc
	v_cmp_eq_u32_e32 vcc, 0, v1
	v_min_i32_e32 v1, 15, v1
	v_cmp_eq_u64_e64 s[22:23], 0, v[2:3]
	v_lshlrev_b32_e32 v1, 3, v1
	v_and_b32_e32 v1, 0xf8, v1
	v_and_or_b32 v1, v2, 7, v1
	s_and_b64 s[22:23], vcc, s[22:23]
	v_cndmask_b32_e64 v1, v1, 0, s[22:23]
	v_or_b32_e32 v25, v1, v0
.LBB4_912:                              ;   in Loop: Header=BB4_126 Depth=2
	s_or_b64 exec, exec, s[30:31]
                                        ; implicit-def: $vgpr0
.LBB4_913:                              ;   in Loop: Header=BB4_126 Depth=2
	s_andn2_saveexec_b64 s[22:23], s[94:95]
; %bb.914:                              ;   in Loop: Header=BB4_126 Depth=2
	v_or_b32_e32 v25, 0x7e, v0
; %bb.915:                              ;   in Loop: Header=BB4_126 Depth=2
	s_or_b64 exec, exec, s[22:23]
                                        ; implicit-def: $vgpr1
.LBB4_916:                              ;   in Loop: Header=BB4_126 Depth=2
	s_andn2_saveexec_b64 s[22:23], s[92:93]
; %bb.917:                              ;   in Loop: Header=BB4_126 Depth=2
	v_or_b32_sdwa v25, v1, s54 dst_sel:DWORD dst_unused:UNUSED_PAD src0_sel:BYTE_3 src1_sel:DWORD
; %bb.918:                              ;   in Loop: Header=BB4_126 Depth=2
	s_or_b64 exec, exec, s[22:23]
	v_lshrrev_b32_e32 v19, 16, v14
	v_lshrrev_b32_e32 v18, 16, v10
	v_cmp_ne_u16_sdwa s[22:23], v19, v53 src0_sel:BYTE_0 src1_sel:DWORD
	s_and_b64 vcc, exec, s[20:21]
	s_mov_b64 s[92:93], -1
                                        ; implicit-def: $vgpr1
	s_cbranch_vccnz .LBB4_932
; %bb.919:                              ;   in Loop: Header=BB4_126 Depth=2
	v_mov_b32_e32 v1, 0
	v_mov_b32_e32 v0, 0
	s_and_saveexec_b64 s[92:93], s[22:23]
	s_cbranch_execz .LBB4_925
; %bb.920:                              ;   in Loop: Header=BB4_126 Depth=2
	v_cmp_ne_u16_sdwa vcc, v19, s53 src0_sel:BYTE_0 src1_sel:DWORD
	v_bfrev_b32_e32 v0, 1
	s_and_saveexec_b64 s[94:95], vcc
	s_cbranch_execz .LBB4_924
; %bb.921:                              ;   in Loop: Header=BB4_126 Depth=2
	v_bfe_u32 v2, v14, 16, 7
	v_cmp_ne_u32_e32 vcc, s54, v2
	v_mov_b32_e32 v0, 0x7f800001
	s_and_saveexec_b64 s[30:31], vcc
	s_cbranch_execz .LBB4_923
; %bb.922:                              ;   in Loop: Header=BB4_126 Depth=2
	v_and_b32_e32 v0, 7, v19
	v_lshrrev_b32_e32 v20, 3, v2
	v_cmp_gt_u32_e32 vcc, 8, v2
	v_ffbh_u32_e32 v2, v0
	v_min_u32_e32 v27, 32, v2
	v_subrev_u32_e32 v2, 28, v27
	v_lshlrev_b64 v[2:3], v2, v[19:20]
	v_sub_u32_e32 v3, 29, v27
	v_and_b32_e32 v2, 7, v2
	v_cndmask_b32_e32 v3, v20, v3, vcc
	v_cndmask_b32_e32 v0, v0, v2, vcc
	v_lshlrev_b32_e32 v2, 24, v19
	v_lshlrev_b32_e32 v0, 20, v0
	v_and_b32_e32 v2, 0x80000000, v2
	v_lshl_add_u32 v3, v3, 23, v43
	v_or3_b32 v0, v2, v3, v0
.LBB4_923:                              ;   in Loop: Header=BB4_126 Depth=2
	s_or_b64 exec, exec, s[30:31]
.LBB4_924:                              ;   in Loop: Header=BB4_126 Depth=2
	s_or_b64 exec, exec, s[94:95]
.LBB4_925:                              ;   in Loop: Header=BB4_126 Depth=2
	s_or_b64 exec, exec, s[92:93]
	v_cmp_ne_u16_sdwa s[94:95], v18, v53 src0_sel:BYTE_0 src1_sel:DWORD
	s_and_saveexec_b64 s[92:93], s[94:95]
	s_cbranch_execz .LBB4_931
; %bb.926:                              ;   in Loop: Header=BB4_126 Depth=2
	v_cmp_ne_u16_sdwa vcc, v18, s53 src0_sel:BYTE_0 src1_sel:DWORD
	v_bfrev_b32_e32 v1, 1
	s_and_saveexec_b64 s[94:95], vcc
	s_cbranch_execz .LBB4_930
; %bb.927:                              ;   in Loop: Header=BB4_126 Depth=2
	v_bfe_u32 v2, v10, 16, 7
	v_cmp_ne_u32_e32 vcc, s54, v2
	v_mov_b32_e32 v1, 0x7f800001
	s_and_saveexec_b64 s[30:31], vcc
	s_cbranch_execz .LBB4_929
; %bb.928:                              ;   in Loop: Header=BB4_126 Depth=2
	v_and_b32_e32 v3, 7, v18
	v_ffbh_u32_e32 v1, v3
	v_min_u32_e32 v27, 32, v1
	v_subrev_u32_e32 v1, 28, v27
	v_lshrrev_b32_e32 v20, 3, v2
	v_cmp_gt_u32_e32 vcc, 8, v2
	v_lshlrev_b64 v[1:2], v1, v[18:19]
	v_sub_u32_e32 v2, 29, v27
	v_and_b32_e32 v1, 7, v1
	v_cndmask_b32_e32 v2, v20, v2, vcc
	v_cndmask_b32_e32 v1, v3, v1, vcc
	v_lshlrev_b32_e32 v3, 24, v18
	v_lshlrev_b32_e32 v1, 20, v1
	v_and_b32_e32 v3, 0x80000000, v3
	v_lshl_add_u32 v2, v2, 23, v43
	v_or3_b32 v1, v3, v2, v1
.LBB4_929:                              ;   in Loop: Header=BB4_126 Depth=2
	s_or_b64 exec, exec, s[30:31]
.LBB4_930:                              ;   in Loop: Header=BB4_126 Depth=2
	s_or_b64 exec, exec, s[94:95]
.LBB4_931:                              ;   in Loop: Header=BB4_126 Depth=2
	s_or_b64 exec, exec, s[92:93]
	v_max_f32_e32 v1, v1, v1
	v_max_f32_e32 v0, v0, v0
	;; [unrolled: 1-line block ×3, first 2 shown]
	s_mov_b64 s[92:93], 0
.LBB4_932:                              ;   in Loop: Header=BB4_126 Depth=2
	s_and_b64 vcc, exec, s[92:93]
	s_cbranch_vccz .LBB4_946
; %bb.933:                              ;   in Loop: Header=BB4_126 Depth=2
	v_mov_b32_e32 v1, 0
	v_mov_b32_e32 v0, 0
	s_and_saveexec_b64 s[92:93], s[22:23]
	s_cbranch_execz .LBB4_939
; %bb.934:                              ;   in Loop: Header=BB4_126 Depth=2
	v_cmp_ne_u16_sdwa s[94:95], v19, s53 src0_sel:BYTE_0 src1_sel:DWORD
	v_bfrev_b32_e32 v0, 1
	s_and_saveexec_b64 s[22:23], s[94:95]
	s_cbranch_execz .LBB4_938
; %bb.935:                              ;   in Loop: Header=BB4_126 Depth=2
	v_bfe_u32 v2, v14, 16, 7
	v_cmp_ne_u32_e32 vcc, s54, v2
	v_mov_b32_e32 v0, 0x7f800001
	s_and_saveexec_b64 s[94:95], vcc
	s_cbranch_execz .LBB4_937
; %bb.936:                              ;   in Loop: Header=BB4_126 Depth=2
	v_and_b32_e32 v0, 7, v19
	v_lshrrev_b32_e32 v20, 3, v2
	v_cmp_gt_u32_e32 vcc, 8, v2
	v_ffbh_u32_e32 v2, v0
	v_min_u32_e32 v27, 32, v2
	v_subrev_u32_e32 v2, 28, v27
	v_lshlrev_b64 v[2:3], v2, v[19:20]
	v_sub_u32_e32 v3, 29, v27
	v_and_b32_e32 v2, 7, v2
	v_cndmask_b32_e32 v3, v20, v3, vcc
	v_cndmask_b32_e32 v0, v0, v2, vcc
	v_lshlrev_b32_e32 v2, 24, v19
	v_lshlrev_b32_e32 v0, 20, v0
	v_and_b32_e32 v2, 0x80000000, v2
	v_lshl_add_u32 v3, v3, 23, v43
	v_or3_b32 v0, v2, v3, v0
.LBB4_937:                              ;   in Loop: Header=BB4_126 Depth=2
	s_or_b64 exec, exec, s[94:95]
.LBB4_938:                              ;   in Loop: Header=BB4_126 Depth=2
	s_or_b64 exec, exec, s[22:23]
.LBB4_939:                              ;   in Loop: Header=BB4_126 Depth=2
	s_or_b64 exec, exec, s[92:93]
	v_cmp_ne_u16_sdwa s[92:93], v18, v53 src0_sel:BYTE_0 src1_sel:DWORD
	s_and_saveexec_b64 s[22:23], s[92:93]
	s_cbranch_execz .LBB4_945
; %bb.940:                              ;   in Loop: Header=BB4_126 Depth=2
	v_cmp_ne_u16_sdwa s[94:95], v18, s53 src0_sel:BYTE_0 src1_sel:DWORD
	v_bfrev_b32_e32 v1, 1
	s_and_saveexec_b64 s[92:93], s[94:95]
	s_cbranch_execz .LBB4_944
; %bb.941:                              ;   in Loop: Header=BB4_126 Depth=2
	v_bfe_u32 v2, v10, 16, 7
	v_cmp_ne_u32_e32 vcc, s54, v2
	v_mov_b32_e32 v1, 0x7f800001
	s_and_saveexec_b64 s[94:95], vcc
	s_cbranch_execz .LBB4_943
; %bb.942:                              ;   in Loop: Header=BB4_126 Depth=2
	v_and_b32_e32 v3, 7, v18
	v_ffbh_u32_e32 v1, v3
	v_min_u32_e32 v20, 32, v1
	v_lshrrev_b32_e32 v19, 3, v2
	v_subrev_u32_e32 v1, 28, v20
	v_cmp_gt_u32_e32 vcc, 8, v2
	v_lshlrev_b64 v[1:2], v1, v[18:19]
	v_sub_u32_e32 v2, 29, v20
	v_and_b32_e32 v1, 7, v1
	v_cndmask_b32_e32 v2, v19, v2, vcc
	v_cndmask_b32_e32 v1, v3, v1, vcc
	v_lshlrev_b32_e32 v3, 24, v18
	v_lshlrev_b32_e32 v1, 20, v1
	v_and_b32_e32 v3, 0x80000000, v3
	v_lshl_add_u32 v2, v2, 23, v43
	v_or3_b32 v1, v3, v2, v1
.LBB4_943:                              ;   in Loop: Header=BB4_126 Depth=2
	s_or_b64 exec, exec, s[94:95]
.LBB4_944:                              ;   in Loop: Header=BB4_126 Depth=2
	s_or_b64 exec, exec, s[92:93]
.LBB4_945:                              ;   in Loop: Header=BB4_126 Depth=2
	s_or_b64 exec, exec, s[22:23]
	v_max_f32_e32 v1, v1, v1
	v_max_f32_e32 v0, v0, v0
	v_min_f32_e32 v1, v0, v1
.LBB4_946:                              ;   in Loop: Header=BB4_126 Depth=2
	v_and_b32_e32 v52, 0x7f800000, v1
	v_cmp_ne_u64_e32 vcc, s[72:73], v[52:53]
                                        ; implicit-def: $vgpr50
	s_and_saveexec_b64 s[22:23], vcc
	s_xor_b64 s[92:93], exec, s[22:23]
	s_cbranch_execz .LBB4_960
; %bb.947:                              ;   in Loop: Header=BB4_126 Depth=2
	v_and_b32_e32 v52, 0x7fffffff, v1
	v_cmp_gt_u64_e32 vcc, s[74:75], v[52:53]
	v_and_b32_sdwa v0, v1, s53 dst_sel:DWORD dst_unused:UNUSED_PAD src0_sel:BYTE_3 src1_sel:DWORD
                                        ; implicit-def: $vgpr50
	s_and_saveexec_b64 s[22:23], vcc
	s_xor_b64 s[94:95], exec, s[22:23]
	s_cbranch_execz .LBB4_957
; %bb.948:                              ;   in Loop: Header=BB4_126 Depth=2
	v_mov_b32_e32 v50, 0
	v_cmp_ne_u32_e32 vcc, 0, v1
	s_and_saveexec_b64 s[30:31], vcc
	s_cbranch_execz .LBB4_956
; %bb.949:                              ;   in Loop: Header=BB4_126 Depth=2
	v_and_b32_e32 v2, 0x7fffff, v1
	v_bfe_u32 v1, v1, 23, 8
	v_cmp_gt_u32_e64 s[22:23], s64, v1
	v_sub_u32_e32 v3, 0x79, v1
	v_cmp_eq_u32_e32 vcc, 0, v1
	v_cndmask_b32_e64 v3, 0, v3, s[22:23]
	v_mov_b32_e32 v19, 0x78
	v_or_b32_e32 v18, 0x800000, v2
	v_cndmask_b32_e32 v20, v3, v19, vcc
	v_cndmask_b32_e32 v52, v18, v2, vcc
	v_add_u32_e32 v2, 20, v20
	v_lshlrev_b64 v[2:3], v2, -1
	v_add_u32_e32 v18, 19, v20
	v_lshlrev_b64 v[18:19], v18, 1
	v_bfi_b32 v3, v3, 0, 0
	v_bfi_b32 v2, v2, 0, v52
	v_cmp_eq_u64_e64 s[22:23], v[2:3], v[18:19]
	v_lshrrev_b64 v[18:19], v20, v[52:53]
	v_mov_b32_e32 v2, v18
	v_mov_b32_e32 v3, v19
	s_and_saveexec_b64 s[34:35], s[22:23]
; %bb.950:                              ;   in Loop: Header=BB4_126 Depth=2
	v_bfe_u32 v2, v18, 20, 1
	v_add_co_u32_e64 v2, s[22:23], v18, v2
	v_add_co_u32_e64 v2, s[22:23], -1, v2
; %bb.951:                              ;   in Loop: Header=BB4_126 Depth=2
	s_or_b64 exec, exec, s[34:35]
	v_add_u32_e32 v1, 0xffffff81, v1
	v_cndmask_b32_e32 v1, v1, v49, vcc
	v_lshrrev_b32_e32 v3, 23, v18
	v_add3_u32 v20, v20, v1, v3
	v_add_u32_e32 v3, 6, v20
	v_and_b32_e32 v1, 0xfffff, v2
	v_add_u32_e32 v52, v1, v18
	v_cmp_ne_u32_e32 vcc, 0, v3
                                        ; implicit-def: $vgpr18_vgpr19
                                        ; implicit-def: $vgpr1
	s_and_saveexec_b64 s[22:23], vcc
	s_xor_b64 s[22:23], exec, s[22:23]
; %bb.952:                              ;   in Loop: Header=BB4_126 Depth=2
	v_cmp_lt_u64_e32 vcc, s[76:77], v[52:53]
	v_add_u32_e32 v1, 7, v20
	v_cndmask_b32_e64 v2, 0, 1, vcc
	v_lshrrev_b64 v[18:19], v2, v[52:53]
	v_cndmask_b32_e32 v1, v3, v1, vcc
; %bb.953:                              ;   in Loop: Header=BB4_126 Depth=2
	s_andn2_saveexec_b64 s[22:23], s[22:23]
; %bb.954:                              ;   in Loop: Header=BB4_126 Depth=2
	v_mov_b32_e32 v18, v52
	v_bfe_u32 v1, v52, 23, 1
	v_mov_b32_e32 v19, v53
; %bb.955:                              ;   in Loop: Header=BB4_126 Depth=2
	s_or_b64 exec, exec, s[22:23]
	v_lshrrev_b64 v[2:3], 20, v[18:19]
	v_cmp_gt_i32_e32 vcc, 16, v1
	v_cndmask_b32_e32 v3, 0, v3, vcc
	v_cndmask_b32_e32 v2, 7, v2, vcc
	v_cmp_eq_u32_e32 vcc, 0, v1
	v_min_i32_e32 v1, 15, v1
	v_cmp_eq_u64_e64 s[22:23], 0, v[2:3]
	v_lshlrev_b32_e32 v1, 3, v1
	v_and_b32_e32 v1, 0xf8, v1
	v_and_or_b32 v1, v2, 7, v1
	s_and_b64 s[22:23], vcc, s[22:23]
	v_cndmask_b32_e64 v1, v1, 0, s[22:23]
	v_or_b32_e32 v50, v1, v0
.LBB4_956:                              ;   in Loop: Header=BB4_126 Depth=2
	s_or_b64 exec, exec, s[30:31]
                                        ; implicit-def: $vgpr0
.LBB4_957:                              ;   in Loop: Header=BB4_126 Depth=2
	s_andn2_saveexec_b64 s[22:23], s[94:95]
; %bb.958:                              ;   in Loop: Header=BB4_126 Depth=2
	v_or_b32_e32 v50, 0x7e, v0
; %bb.959:                              ;   in Loop: Header=BB4_126 Depth=2
	s_or_b64 exec, exec, s[22:23]
                                        ; implicit-def: $vgpr1
.LBB4_960:                              ;   in Loop: Header=BB4_126 Depth=2
	s_andn2_saveexec_b64 s[22:23], s[92:93]
; %bb.961:                              ;   in Loop: Header=BB4_126 Depth=2
	v_or_b32_sdwa v50, v1, s54 dst_sel:DWORD dst_unused:UNUSED_PAD src0_sel:BYTE_3 src1_sel:DWORD
; %bb.962:                              ;   in Loop: Header=BB4_126 Depth=2
	s_or_b64 exec, exec, s[22:23]
	v_lshrrev_b32_e32 v19, 24, v14
	v_lshrrev_b32_e32 v18, 24, v10
	v_cmp_lt_u32_e64 s[22:23], s79, v14
	s_and_b64 vcc, exec, s[20:21]
	s_mov_b64 s[92:93], -1
                                        ; implicit-def: $vgpr1
	s_cbranch_vccnz .LBB4_976
; %bb.963:                              ;   in Loop: Header=BB4_126 Depth=2
	v_mov_b32_e32 v1, 0
	v_mov_b32_e32 v0, 0
	s_and_saveexec_b64 s[92:93], s[22:23]
	s_cbranch_execz .LBB4_969
; %bb.964:                              ;   in Loop: Header=BB4_126 Depth=2
	v_cmp_ne_u32_e32 vcc, s53, v19
	v_bfrev_b32_e32 v0, 1
	s_and_saveexec_b64 s[94:95], vcc
	s_cbranch_execz .LBB4_968
; %bb.965:                              ;   in Loop: Header=BB4_126 Depth=2
	v_bfe_u32 v2, v14, 24, 7
	v_cmp_ne_u32_e32 vcc, s54, v2
	v_mov_b32_e32 v0, 0x7f800001
	s_and_saveexec_b64 s[30:31], vcc
	s_cbranch_execz .LBB4_967
; %bb.966:                              ;   in Loop: Header=BB4_126 Depth=2
	v_and_b32_e32 v0, 7, v19
	v_lshrrev_b32_e32 v20, 3, v2
	v_cmp_gt_u32_e32 vcc, 8, v2
	v_ffbh_u32_e32 v2, v0
	v_min_u32_e32 v27, 32, v2
	v_subrev_u32_e32 v2, 28, v27
	v_lshlrev_b64 v[2:3], v2, v[19:20]
	v_sub_u32_e32 v3, 29, v27
	v_and_b32_e32 v2, 7, v2
	v_cndmask_b32_e32 v3, v20, v3, vcc
	v_cndmask_b32_e32 v0, v0, v2, vcc
	v_lshlrev_b32_e32 v2, 24, v19
	v_lshlrev_b32_e32 v0, 20, v0
	v_and_b32_e32 v2, 0x80000000, v2
	v_lshl_add_u32 v3, v3, 23, v43
	v_or3_b32 v0, v2, v3, v0
.LBB4_967:                              ;   in Loop: Header=BB4_126 Depth=2
	s_or_b64 exec, exec, s[30:31]
.LBB4_968:                              ;   in Loop: Header=BB4_126 Depth=2
	s_or_b64 exec, exec, s[94:95]
.LBB4_969:                              ;   in Loop: Header=BB4_126 Depth=2
	s_or_b64 exec, exec, s[92:93]
	v_cmp_lt_u32_e32 vcc, s79, v10
	s_and_saveexec_b64 s[92:93], vcc
	s_cbranch_execz .LBB4_975
; %bb.970:                              ;   in Loop: Header=BB4_126 Depth=2
	v_cmp_ne_u32_e32 vcc, s53, v18
	v_bfrev_b32_e32 v1, 1
	s_and_saveexec_b64 s[94:95], vcc
	s_cbranch_execz .LBB4_974
; %bb.971:                              ;   in Loop: Header=BB4_126 Depth=2
	v_bfe_u32 v2, v10, 24, 7
	v_cmp_ne_u32_e32 vcc, s54, v2
	v_mov_b32_e32 v1, 0x7f800001
	s_and_saveexec_b64 s[30:31], vcc
	s_cbranch_execz .LBB4_973
; %bb.972:                              ;   in Loop: Header=BB4_126 Depth=2
	v_and_b32_e32 v3, 7, v18
	v_ffbh_u32_e32 v1, v3
	v_min_u32_e32 v27, 32, v1
	v_subrev_u32_e32 v1, 28, v27
	v_lshrrev_b32_e32 v20, 3, v2
	v_cmp_gt_u32_e32 vcc, 8, v2
	v_lshlrev_b64 v[1:2], v1, v[18:19]
	v_sub_u32_e32 v2, 29, v27
	v_and_b32_e32 v1, 7, v1
	v_cndmask_b32_e32 v2, v20, v2, vcc
	v_cndmask_b32_e32 v1, v3, v1, vcc
	v_lshlrev_b32_e32 v3, 24, v18
	v_lshlrev_b32_e32 v1, 20, v1
	v_and_b32_e32 v3, 0x80000000, v3
	v_lshl_add_u32 v2, v2, 23, v43
	v_or3_b32 v1, v3, v2, v1
.LBB4_973:                              ;   in Loop: Header=BB4_126 Depth=2
	s_or_b64 exec, exec, s[30:31]
.LBB4_974:                              ;   in Loop: Header=BB4_126 Depth=2
	s_or_b64 exec, exec, s[94:95]
.LBB4_975:                              ;   in Loop: Header=BB4_126 Depth=2
	s_or_b64 exec, exec, s[92:93]
	v_max_f32_e32 v1, v1, v1
	v_max_f32_e32 v0, v0, v0
	;; [unrolled: 1-line block ×3, first 2 shown]
	s_mov_b64 s[92:93], 0
.LBB4_976:                              ;   in Loop: Header=BB4_126 Depth=2
	s_and_b64 vcc, exec, s[92:93]
	s_cbranch_vccz .LBB4_990
; %bb.977:                              ;   in Loop: Header=BB4_126 Depth=2
	v_mov_b32_e32 v1, 0
	v_mov_b32_e32 v0, 0
	s_and_saveexec_b64 s[92:93], s[22:23]
	s_cbranch_execz .LBB4_983
; %bb.978:                              ;   in Loop: Header=BB4_126 Depth=2
	v_cmp_ne_u32_e32 vcc, s53, v19
	v_bfrev_b32_e32 v0, 1
	s_and_saveexec_b64 s[22:23], vcc
	s_cbranch_execz .LBB4_982
; %bb.979:                              ;   in Loop: Header=BB4_126 Depth=2
	v_bfe_u32 v2, v14, 24, 7
	v_cmp_ne_u32_e32 vcc, s54, v2
	v_mov_b32_e32 v0, 0x7f800001
	s_and_saveexec_b64 s[94:95], vcc
	s_cbranch_execz .LBB4_981
; %bb.980:                              ;   in Loop: Header=BB4_126 Depth=2
	v_and_b32_e32 v0, 7, v19
	v_lshrrev_b32_e32 v20, 3, v2
	v_cmp_gt_u32_e32 vcc, 8, v2
	v_ffbh_u32_e32 v2, v0
	v_min_u32_e32 v27, 32, v2
	v_subrev_u32_e32 v2, 28, v27
	v_lshlrev_b64 v[2:3], v2, v[19:20]
	v_sub_u32_e32 v3, 29, v27
	v_and_b32_e32 v2, 7, v2
	v_cndmask_b32_e32 v3, v20, v3, vcc
	v_cndmask_b32_e32 v0, v0, v2, vcc
	v_lshlrev_b32_e32 v2, 24, v19
	v_lshlrev_b32_e32 v0, 20, v0
	v_and_b32_e32 v2, 0x80000000, v2
	v_lshl_add_u32 v3, v3, 23, v43
	v_or3_b32 v0, v2, v3, v0
.LBB4_981:                              ;   in Loop: Header=BB4_126 Depth=2
	s_or_b64 exec, exec, s[94:95]
.LBB4_982:                              ;   in Loop: Header=BB4_126 Depth=2
	s_or_b64 exec, exec, s[22:23]
.LBB4_983:                              ;   in Loop: Header=BB4_126 Depth=2
	s_or_b64 exec, exec, s[92:93]
	v_cmp_lt_u32_e32 vcc, s79, v10
	s_and_saveexec_b64 s[22:23], vcc
	s_cbranch_execz .LBB4_989
; %bb.984:                              ;   in Loop: Header=BB4_126 Depth=2
	v_cmp_ne_u32_e32 vcc, s53, v18
	v_bfrev_b32_e32 v1, 1
	s_and_saveexec_b64 s[92:93], vcc
	s_cbranch_execz .LBB4_988
; %bb.985:                              ;   in Loop: Header=BB4_126 Depth=2
	v_bfe_u32 v2, v10, 24, 7
	v_cmp_ne_u32_e32 vcc, s54, v2
	v_mov_b32_e32 v1, 0x7f800001
	s_and_saveexec_b64 s[94:95], vcc
	s_cbranch_execz .LBB4_987
; %bb.986:                              ;   in Loop: Header=BB4_126 Depth=2
	v_and_b32_e32 v3, 7, v18
	v_ffbh_u32_e32 v1, v3
	v_min_u32_e32 v20, 32, v1
	v_lshrrev_b32_e32 v19, 3, v2
	v_subrev_u32_e32 v1, 28, v20
	v_cmp_gt_u32_e32 vcc, 8, v2
	v_lshlrev_b64 v[1:2], v1, v[18:19]
	v_sub_u32_e32 v2, 29, v20
	v_and_b32_e32 v1, 7, v1
	v_cndmask_b32_e32 v2, v19, v2, vcc
	v_cndmask_b32_e32 v1, v3, v1, vcc
	v_lshlrev_b32_e32 v3, 24, v18
	v_lshlrev_b32_e32 v1, 20, v1
	v_and_b32_e32 v3, 0x80000000, v3
	v_lshl_add_u32 v2, v2, 23, v43
	v_or3_b32 v1, v3, v2, v1
.LBB4_987:                              ;   in Loop: Header=BB4_126 Depth=2
	s_or_b64 exec, exec, s[94:95]
.LBB4_988:                              ;   in Loop: Header=BB4_126 Depth=2
	s_or_b64 exec, exec, s[92:93]
.LBB4_989:                              ;   in Loop: Header=BB4_126 Depth=2
	s_or_b64 exec, exec, s[22:23]
	v_max_f32_e32 v1, v1, v1
	v_max_f32_e32 v0, v0, v0
	v_min_f32_e32 v1, v0, v1
.LBB4_990:                              ;   in Loop: Header=BB4_126 Depth=2
	v_and_b32_e32 v52, 0x7f800000, v1
	v_cmp_ne_u64_e32 vcc, s[72:73], v[52:53]
                                        ; implicit-def: $vgpr41
	s_and_saveexec_b64 s[22:23], vcc
	s_xor_b64 s[92:93], exec, s[22:23]
	s_cbranch_execz .LBB4_1004
; %bb.991:                              ;   in Loop: Header=BB4_126 Depth=2
	v_and_b32_e32 v52, 0x7fffffff, v1
	v_cmp_gt_u64_e32 vcc, s[74:75], v[52:53]
	v_and_b32_sdwa v0, v1, s53 dst_sel:DWORD dst_unused:UNUSED_PAD src0_sel:BYTE_3 src1_sel:DWORD
                                        ; implicit-def: $vgpr41
	s_and_saveexec_b64 s[22:23], vcc
	s_xor_b64 s[94:95], exec, s[22:23]
	s_cbranch_execz .LBB4_1001
; %bb.992:                              ;   in Loop: Header=BB4_126 Depth=2
	v_mov_b32_e32 v41, 0
	v_cmp_ne_u32_e32 vcc, 0, v1
	s_and_saveexec_b64 s[30:31], vcc
	s_cbranch_execz .LBB4_1000
; %bb.993:                              ;   in Loop: Header=BB4_126 Depth=2
	v_and_b32_e32 v2, 0x7fffff, v1
	v_bfe_u32 v1, v1, 23, 8
	v_cmp_gt_u32_e64 s[22:23], s64, v1
	v_sub_u32_e32 v3, 0x79, v1
	v_cmp_eq_u32_e32 vcc, 0, v1
	v_cndmask_b32_e64 v3, 0, v3, s[22:23]
	v_mov_b32_e32 v19, 0x78
	v_or_b32_e32 v18, 0x800000, v2
	v_cndmask_b32_e32 v20, v3, v19, vcc
	v_cndmask_b32_e32 v52, v18, v2, vcc
	v_add_u32_e32 v2, 20, v20
	v_lshlrev_b64 v[2:3], v2, -1
	v_add_u32_e32 v18, 19, v20
	v_lshlrev_b64 v[18:19], v18, 1
	v_bfi_b32 v3, v3, 0, 0
	v_bfi_b32 v2, v2, 0, v52
	v_cmp_eq_u64_e64 s[22:23], v[2:3], v[18:19]
	v_lshrrev_b64 v[18:19], v20, v[52:53]
	v_mov_b32_e32 v2, v18
	v_mov_b32_e32 v3, v19
	s_and_saveexec_b64 s[34:35], s[22:23]
; %bb.994:                              ;   in Loop: Header=BB4_126 Depth=2
	v_bfe_u32 v2, v18, 20, 1
	v_add_co_u32_e64 v2, s[22:23], v18, v2
	v_add_co_u32_e64 v2, s[22:23], -1, v2
; %bb.995:                              ;   in Loop: Header=BB4_126 Depth=2
	s_or_b64 exec, exec, s[34:35]
	v_add_u32_e32 v1, 0xffffff81, v1
	v_cndmask_b32_e32 v1, v1, v49, vcc
	v_lshrrev_b32_e32 v3, 23, v18
	v_add3_u32 v20, v20, v1, v3
	v_add_u32_e32 v3, 6, v20
	v_and_b32_e32 v1, 0xfffff, v2
	v_add_u32_e32 v52, v1, v18
	v_cmp_ne_u32_e32 vcc, 0, v3
                                        ; implicit-def: $vgpr18_vgpr19
                                        ; implicit-def: $vgpr1
	s_and_saveexec_b64 s[22:23], vcc
	s_xor_b64 s[22:23], exec, s[22:23]
; %bb.996:                              ;   in Loop: Header=BB4_126 Depth=2
	v_cmp_lt_u64_e32 vcc, s[76:77], v[52:53]
	v_add_u32_e32 v1, 7, v20
	v_cndmask_b32_e64 v2, 0, 1, vcc
	v_lshrrev_b64 v[18:19], v2, v[52:53]
	v_cndmask_b32_e32 v1, v3, v1, vcc
; %bb.997:                              ;   in Loop: Header=BB4_126 Depth=2
	s_andn2_saveexec_b64 s[22:23], s[22:23]
; %bb.998:                              ;   in Loop: Header=BB4_126 Depth=2
	v_mov_b32_e32 v18, v52
	v_bfe_u32 v1, v52, 23, 1
	v_mov_b32_e32 v19, v53
; %bb.999:                              ;   in Loop: Header=BB4_126 Depth=2
	s_or_b64 exec, exec, s[22:23]
	v_lshrrev_b64 v[2:3], 20, v[18:19]
	v_cmp_gt_i32_e32 vcc, 16, v1
	v_cndmask_b32_e32 v3, 0, v3, vcc
	v_cndmask_b32_e32 v2, 7, v2, vcc
	v_cmp_eq_u32_e32 vcc, 0, v1
	v_min_i32_e32 v1, 15, v1
	v_cmp_eq_u64_e64 s[22:23], 0, v[2:3]
	v_lshlrev_b32_e32 v1, 3, v1
	v_and_b32_e32 v1, 0xf8, v1
	v_and_or_b32 v1, v2, 7, v1
	s_and_b64 s[22:23], vcc, s[22:23]
	v_cndmask_b32_e64 v1, v1, 0, s[22:23]
	v_or_b32_e32 v41, v1, v0
.LBB4_1000:                             ;   in Loop: Header=BB4_126 Depth=2
	s_or_b64 exec, exec, s[30:31]
                                        ; implicit-def: $vgpr0
.LBB4_1001:                             ;   in Loop: Header=BB4_126 Depth=2
	s_andn2_saveexec_b64 s[22:23], s[94:95]
; %bb.1002:                             ;   in Loop: Header=BB4_126 Depth=2
	v_or_b32_e32 v41, 0x7e, v0
; %bb.1003:                             ;   in Loop: Header=BB4_126 Depth=2
	s_or_b64 exec, exec, s[22:23]
                                        ; implicit-def: $vgpr1
.LBB4_1004:                             ;   in Loop: Header=BB4_126 Depth=2
	s_andn2_saveexec_b64 s[22:23], s[92:93]
; %bb.1005:                             ;   in Loop: Header=BB4_126 Depth=2
	v_or_b32_sdwa v41, v1, s54 dst_sel:DWORD dst_unused:UNUSED_PAD src0_sel:BYTE_3 src1_sel:DWORD
; %bb.1006:                             ;   in Loop: Header=BB4_126 Depth=2
	s_or_b64 exec, exec, s[22:23]
	v_mov_b32_e32 v52, v15
	v_mov_b32_e32 v18, v11
	v_mov_b32_e32 v19, v53
	v_cmp_ne_u16_sdwa s[22:23], v15, v53 src0_sel:BYTE_0 src1_sel:DWORD
	s_and_b64 vcc, exec, s[20:21]
	s_mov_b64 s[92:93], -1
                                        ; implicit-def: $vgpr2
	s_cbranch_vccnz .LBB4_1020
; %bb.1007:                             ;   in Loop: Header=BB4_126 Depth=2
	v_mov_b32_e32 v1, 0
	v_mov_b32_e32 v0, 0
	s_and_saveexec_b64 s[92:93], s[22:23]
	s_cbranch_execz .LBB4_1013
; %bb.1008:                             ;   in Loop: Header=BB4_126 Depth=2
	v_cmp_ne_u16_sdwa vcc, v15, s53 src0_sel:BYTE_0 src1_sel:DWORD
	v_bfrev_b32_e32 v0, 1
	s_and_saveexec_b64 s[94:95], vcc
	s_cbranch_execz .LBB4_1012
; %bb.1009:                             ;   in Loop: Header=BB4_126 Depth=2
	v_and_b32_e32 v2, 0x7f, v15
	v_cmp_ne_u32_e32 vcc, s54, v2
	v_mov_b32_e32 v0, 0x7f800001
	s_and_saveexec_b64 s[30:31], vcc
	s_cbranch_execz .LBB4_1011
; %bb.1010:                             ;   in Loop: Header=BB4_126 Depth=2
	v_and_b32_e32 v0, 7, v15
	v_ffbh_u32_e32 v0, v0
	v_min_u32_e32 v0, 32, v0
	v_lshrrev_b32_e32 v3, 3, v2
	v_cmp_gt_u32_e32 vcc, 8, v2
	v_subrev_u32_e32 v2, 28, v0
	v_sub_u32_e32 v0, 29, v0
	v_cndmask_b32_e32 v2, 0, v2, vcc
	v_cndmask_b32_e32 v0, v3, v0, vcc
	v_lshlrev_b64 v[2:3], v2, v[52:53]
	v_lshlrev_b32_e32 v3, 24, v52
	v_lshlrev_b32_e32 v2, 20, v2
	v_and_b32_e32 v2, 0x700000, v2
	v_and_b32_e32 v3, 0x80000000, v3
	v_lshl_add_u32 v0, v0, 23, v43
	v_or3_b32 v0, v3, v0, v2
.LBB4_1011:                             ;   in Loop: Header=BB4_126 Depth=2
	s_or_b64 exec, exec, s[30:31]
.LBB4_1012:                             ;   in Loop: Header=BB4_126 Depth=2
	s_or_b64 exec, exec, s[94:95]
.LBB4_1013:                             ;   in Loop: Header=BB4_126 Depth=2
	s_or_b64 exec, exec, s[92:93]
	v_cmp_ne_u16_sdwa s[94:95], v11, v53 src0_sel:BYTE_0 src1_sel:DWORD
	s_and_saveexec_b64 s[92:93], s[94:95]
	s_cbranch_execz .LBB4_1019
; %bb.1014:                             ;   in Loop: Header=BB4_126 Depth=2
	v_cmp_ne_u16_sdwa vcc, v11, s53 src0_sel:BYTE_0 src1_sel:DWORD
	v_bfrev_b32_e32 v1, 1
	s_and_saveexec_b64 s[94:95], vcc
	s_cbranch_execz .LBB4_1018
; %bb.1015:                             ;   in Loop: Header=BB4_126 Depth=2
	v_and_b32_e32 v2, 0x7f, v11
	v_cmp_ne_u32_e32 vcc, s54, v2
	v_mov_b32_e32 v1, 0x7f800001
	s_and_saveexec_b64 s[30:31], vcc
	s_cbranch_execz .LBB4_1017
; %bb.1016:                             ;   in Loop: Header=BB4_126 Depth=2
	v_and_b32_e32 v1, 7, v11
	v_ffbh_u32_e32 v1, v1
	v_min_u32_e32 v1, 32, v1
	v_lshrrev_b32_e32 v3, 3, v2
	v_cmp_gt_u32_e32 vcc, 8, v2
	v_subrev_u32_e32 v2, 28, v1
	v_sub_u32_e32 v1, 29, v1
	v_cndmask_b32_e32 v3, v3, v1, vcc
	v_cndmask_b32_e32 v1, 0, v2, vcc
	v_lshlrev_b64 v[1:2], v1, v[18:19]
	v_lshlrev_b32_e32 v2, 24, v18
	v_lshlrev_b32_e32 v1, 20, v1
	v_and_b32_e32 v1, 0x700000, v1
	v_and_b32_e32 v2, 0x80000000, v2
	v_lshl_add_u32 v3, v3, 23, v43
	v_or3_b32 v1, v2, v3, v1
.LBB4_1017:                             ;   in Loop: Header=BB4_126 Depth=2
	s_or_b64 exec, exec, s[30:31]
.LBB4_1018:                             ;   in Loop: Header=BB4_126 Depth=2
	s_or_b64 exec, exec, s[94:95]
.LBB4_1019:                             ;   in Loop: Header=BB4_126 Depth=2
	s_or_b64 exec, exec, s[92:93]
	v_max_f32_e32 v1, v1, v1
	v_max_f32_e32 v0, v0, v0
	;; [unrolled: 1-line block ×3, first 2 shown]
	s_mov_b64 s[92:93], 0
.LBB4_1020:                             ;   in Loop: Header=BB4_126 Depth=2
	s_and_b64 vcc, exec, s[92:93]
	s_cbranch_vccz .LBB4_1034
; %bb.1021:                             ;   in Loop: Header=BB4_126 Depth=2
	v_mov_b32_e32 v1, 0
	v_mov_b32_e32 v0, 0
	s_and_saveexec_b64 s[92:93], s[22:23]
	s_cbranch_execz .LBB4_1027
; %bb.1022:                             ;   in Loop: Header=BB4_126 Depth=2
	v_cmp_ne_u16_sdwa s[94:95], v15, s53 src0_sel:BYTE_0 src1_sel:DWORD
	v_bfrev_b32_e32 v0, 1
	s_and_saveexec_b64 s[22:23], s[94:95]
	s_cbranch_execz .LBB4_1026
; %bb.1023:                             ;   in Loop: Header=BB4_126 Depth=2
	v_and_b32_e32 v2, 0x7f, v15
	v_cmp_ne_u32_e32 vcc, s54, v2
	v_mov_b32_e32 v0, 0x7f800001
	s_and_saveexec_b64 s[94:95], vcc
	s_cbranch_execz .LBB4_1025
; %bb.1024:                             ;   in Loop: Header=BB4_126 Depth=2
	v_and_b32_e32 v0, 7, v15
	v_ffbh_u32_e32 v0, v0
	v_min_u32_e32 v0, 32, v0
	v_lshrrev_b32_e32 v3, 3, v2
	v_cmp_gt_u32_e32 vcc, 8, v2
	v_subrev_u32_e32 v2, 28, v0
	v_sub_u32_e32 v0, 29, v0
	v_cndmask_b32_e32 v2, 0, v2, vcc
	v_cndmask_b32_e32 v0, v3, v0, vcc
	v_lshlrev_b64 v[2:3], v2, v[52:53]
	v_lshlrev_b32_e32 v3, 24, v52
	v_lshlrev_b32_e32 v2, 20, v2
	v_and_b32_e32 v2, 0x700000, v2
	v_and_b32_e32 v3, 0x80000000, v3
	v_lshl_add_u32 v0, v0, 23, v43
	v_or3_b32 v0, v3, v0, v2
.LBB4_1025:                             ;   in Loop: Header=BB4_126 Depth=2
	s_or_b64 exec, exec, s[94:95]
.LBB4_1026:                             ;   in Loop: Header=BB4_126 Depth=2
	s_or_b64 exec, exec, s[22:23]
.LBB4_1027:                             ;   in Loop: Header=BB4_126 Depth=2
	s_or_b64 exec, exec, s[92:93]
	v_cmp_ne_u16_sdwa s[92:93], v11, v53 src0_sel:BYTE_0 src1_sel:DWORD
	s_and_saveexec_b64 s[22:23], s[92:93]
	s_cbranch_execz .LBB4_1033
; %bb.1028:                             ;   in Loop: Header=BB4_126 Depth=2
	v_cmp_ne_u16_sdwa s[94:95], v11, s53 src0_sel:BYTE_0 src1_sel:DWORD
	v_bfrev_b32_e32 v1, 1
	s_and_saveexec_b64 s[92:93], s[94:95]
	s_cbranch_execz .LBB4_1032
; %bb.1029:                             ;   in Loop: Header=BB4_126 Depth=2
	v_and_b32_e32 v2, 0x7f, v11
	v_cmp_ne_u32_e32 vcc, s54, v2
	v_mov_b32_e32 v1, 0x7f800001
	s_and_saveexec_b64 s[94:95], vcc
	s_cbranch_execz .LBB4_1031
; %bb.1030:                             ;   in Loop: Header=BB4_126 Depth=2
	v_and_b32_e32 v1, 7, v11
	v_ffbh_u32_e32 v1, v1
	v_min_u32_e32 v1, 32, v1
	v_lshrrev_b32_e32 v3, 3, v2
	v_cmp_gt_u32_e32 vcc, 8, v2
	v_subrev_u32_e32 v2, 28, v1
	v_sub_u32_e32 v1, 29, v1
	v_cndmask_b32_e32 v3, v3, v1, vcc
	v_cndmask_b32_e32 v1, 0, v2, vcc
	v_lshlrev_b64 v[1:2], v1, v[18:19]
	v_lshlrev_b32_e32 v2, 24, v18
	v_lshlrev_b32_e32 v1, 20, v1
	v_and_b32_e32 v1, 0x700000, v1
	v_and_b32_e32 v2, 0x80000000, v2
	v_lshl_add_u32 v3, v3, 23, v43
	v_or3_b32 v1, v2, v3, v1
.LBB4_1031:                             ;   in Loop: Header=BB4_126 Depth=2
	s_or_b64 exec, exec, s[94:95]
.LBB4_1032:                             ;   in Loop: Header=BB4_126 Depth=2
	s_or_b64 exec, exec, s[92:93]
.LBB4_1033:                             ;   in Loop: Header=BB4_126 Depth=2
	s_or_b64 exec, exec, s[22:23]
	v_max_f32_e32 v1, v1, v1
	v_max_f32_e32 v0, v0, v0
	v_min_f32_e32 v2, v0, v1
.LBB4_1034:                             ;   in Loop: Header=BB4_126 Depth=2
	v_and_b32_e32 v0, 0x7f800000, v2
	v_mov_b32_e32 v1, v53
	v_cmp_ne_u64_e32 vcc, s[72:73], v[0:1]
                                        ; implicit-def: $vgpr0
	s_and_saveexec_b64 s[22:23], vcc
	s_xor_b64 s[92:93], exec, s[22:23]
	s_cbranch_execz .LBB4_1048
; %bb.1035:                             ;   in Loop: Header=BB4_126 Depth=2
	v_and_b32_e32 v0, 0x7fffffff, v2
	v_mov_b32_e32 v1, v53
	v_cmp_gt_u64_e32 vcc, s[74:75], v[0:1]
	v_and_b32_sdwa v1, v2, s53 dst_sel:DWORD dst_unused:UNUSED_PAD src0_sel:BYTE_3 src1_sel:DWORD
                                        ; implicit-def: $vgpr0
	s_and_saveexec_b64 s[22:23], vcc
	s_xor_b64 s[94:95], exec, s[22:23]
	s_cbranch_execz .LBB4_1045
; %bb.1036:                             ;   in Loop: Header=BB4_126 Depth=2
	v_mov_b32_e32 v0, 0
	v_cmp_ne_u32_e32 vcc, 0, v2
	s_and_saveexec_b64 s[30:31], vcc
	s_cbranch_execz .LBB4_1044
; %bb.1037:                             ;   in Loop: Header=BB4_126 Depth=2
	v_bfe_u32 v0, v2, 23, 8
	v_and_b32_e32 v3, 0x7fffff, v2
	v_cmp_gt_u32_e64 s[22:23], s64, v0
	v_sub_u32_e32 v2, 0x79, v0
	v_cmp_eq_u32_e32 vcc, 0, v0
	v_cndmask_b32_e64 v2, 0, v2, s[22:23]
	v_mov_b32_e32 v20, 0x78
	v_or_b32_e32 v19, 0x800000, v3
	v_cndmask_b32_e32 v27, v2, v20, vcc
	v_cndmask_b32_e32 v2, v19, v3, vcc
	v_add_u32_e32 v19, 20, v27
	v_lshlrev_b64 v[19:20], v19, -1
	v_add_u32_e32 v36, 19, v27
	v_lshlrev_b64 v[36:37], v36, 1
	v_mov_b32_e32 v3, v53
	v_bfi_b32 v20, v20, 0, 0
	v_bfi_b32 v19, v19, 0, v2
	v_cmp_eq_u64_e64 s[22:23], v[19:20], v[36:37]
	v_lshrrev_b64 v[19:20], v27, v[2:3]
	v_mov_b32_e32 v2, v19
	v_mov_b32_e32 v3, v20
	s_and_saveexec_b64 s[34:35], s[22:23]
; %bb.1038:                             ;   in Loop: Header=BB4_126 Depth=2
	v_bfe_u32 v2, v19, 20, 1
	v_add_co_u32_e64 v2, s[22:23], v19, v2
	v_add_co_u32_e64 v2, s[22:23], -1, v2
; %bb.1039:                             ;   in Loop: Header=BB4_126 Depth=2
	s_or_b64 exec, exec, s[34:35]
	v_add_u32_e32 v0, 0xffffff81, v0
	v_cndmask_b32_e32 v0, v0, v49, vcc
	v_lshrrev_b32_e32 v3, 23, v19
	v_add3_u32 v27, v27, v0, v3
	v_add_u32_e32 v3, 6, v27
	v_and_b32_e32 v0, 0xfffff, v2
	v_add_u32_e32 v19, v0, v19
	v_mov_b32_e32 v20, v53
	v_cmp_ne_u32_e32 vcc, 0, v3
                                        ; implicit-def: $vgpr0
	s_and_saveexec_b64 s[22:23], vcc
	s_xor_b64 s[22:23], exec, s[22:23]
; %bb.1040:                             ;   in Loop: Header=BB4_126 Depth=2
	v_cmp_lt_u64_e32 vcc, s[76:77], v[19:20]
	v_add_u32_e32 v0, 7, v27
	v_cndmask_b32_e64 v2, 0, 1, vcc
	v_lshrrev_b64 v[19:20], v2, v[19:20]
	v_cndmask_b32_e32 v0, v3, v0, vcc
; %bb.1041:                             ;   in Loop: Header=BB4_126 Depth=2
	s_andn2_saveexec_b64 s[22:23], s[22:23]
; %bb.1042:                             ;   in Loop: Header=BB4_126 Depth=2
	v_bfe_u32 v0, v19, 23, 1
; %bb.1043:                             ;   in Loop: Header=BB4_126 Depth=2
	s_or_b64 exec, exec, s[22:23]
	v_lshrrev_b64 v[2:3], 20, v[19:20]
	v_cmp_gt_i32_e32 vcc, 16, v0
	v_cndmask_b32_e32 v3, 0, v3, vcc
	v_cndmask_b32_e32 v2, 7, v2, vcc
	v_cmp_eq_u32_e32 vcc, 0, v0
	v_min_i32_e32 v0, 15, v0
	v_cmp_eq_u64_e64 s[22:23], 0, v[2:3]
	v_lshlrev_b32_e32 v0, 3, v0
	v_and_b32_e32 v0, 0xf8, v0
	v_and_or_b32 v0, v2, 7, v0
	s_and_b64 s[22:23], vcc, s[22:23]
	v_cndmask_b32_e64 v0, v0, 0, s[22:23]
	v_or_b32_e32 v0, v0, v1
.LBB4_1044:                             ;   in Loop: Header=BB4_126 Depth=2
	s_or_b64 exec, exec, s[30:31]
                                        ; implicit-def: $vgpr1
.LBB4_1045:                             ;   in Loop: Header=BB4_126 Depth=2
	s_andn2_saveexec_b64 s[22:23], s[94:95]
; %bb.1046:                             ;   in Loop: Header=BB4_126 Depth=2
	v_or_b32_e32 v0, 0x7e, v1
; %bb.1047:                             ;   in Loop: Header=BB4_126 Depth=2
	s_or_b64 exec, exec, s[22:23]
                                        ; implicit-def: $vgpr2
.LBB4_1048:                             ;   in Loop: Header=BB4_126 Depth=2
	s_andn2_saveexec_b64 s[22:23], s[92:93]
; %bb.1049:                             ;   in Loop: Header=BB4_126 Depth=2
	v_or_b32_sdwa v0, v2, s54 dst_sel:DWORD dst_unused:UNUSED_PAD src0_sel:BYTE_3 src1_sel:DWORD
; %bb.1050:                             ;   in Loop: Header=BB4_126 Depth=2
	s_or_b64 exec, exec, s[22:23]
	v_lshrrev_b16_e32 v20, 8, v52
	v_lshrrev_b16_e32 v19, 8, v18
	v_cmp_ne_u16_e64 s[22:23], 0, v20
	s_and_b64 vcc, exec, s[20:21]
	s_mov_b64 s[92:93], -1
                                        ; implicit-def: $vgpr2
	s_cbranch_vccnz .LBB4_1064
; %bb.1051:                             ;   in Loop: Header=BB4_126 Depth=2
	v_mov_b32_e32 v2, 0
	v_mov_b32_e32 v1, 0
	s_and_saveexec_b64 s[92:93], s[22:23]
	s_cbranch_execz .LBB4_1057
; %bb.1052:                             ;   in Loop: Header=BB4_126 Depth=2
	v_cmp_ne_u16_e32 vcc, s53, v20
	v_bfrev_b32_e32 v1, 1
	s_and_saveexec_b64 s[94:95], vcc
	s_cbranch_execz .LBB4_1056
; %bb.1053:                             ;   in Loop: Header=BB4_126 Depth=2
	v_and_b32_e32 v3, 0x7f, v20
	v_cmp_ne_u32_e32 vcc, s54, v3
	v_mov_b32_e32 v1, 0x7f800001
	s_and_saveexec_b64 s[30:31], vcc
	s_cbranch_execz .LBB4_1055
; %bb.1054:                             ;   in Loop: Header=BB4_126 Depth=2
	v_and_b32_e32 v1, 7, v20
	v_lshrrev_b32_e32 v27, 3, v3
	v_cmp_gt_u32_e32 vcc, 8, v3
	v_ffbh_u32_e32 v3, v1
	v_min_u32_e32 v3, 32, v3
	v_subrev_u32_e32 v36, 28, v3
	v_lshlrev_b64 v[36:37], v36, v[20:21]
	v_sub_u32_e32 v3, 29, v3
	v_and_b32_e32 v36, 7, v36
	v_cndmask_b32_e32 v3, v27, v3, vcc
	v_cndmask_b32_e32 v1, v1, v36, vcc
	v_lshlrev_b32_e32 v27, 16, v52
	v_lshlrev_b32_e32 v1, 20, v1
	v_and_b32_e32 v27, 0x80000000, v27
	v_lshl_add_u32 v3, v3, 23, v43
	v_or3_b32 v1, v27, v3, v1
.LBB4_1055:                             ;   in Loop: Header=BB4_126 Depth=2
	s_or_b64 exec, exec, s[30:31]
.LBB4_1056:                             ;   in Loop: Header=BB4_126 Depth=2
	s_or_b64 exec, exec, s[94:95]
.LBB4_1057:                             ;   in Loop: Header=BB4_126 Depth=2
	s_or_b64 exec, exec, s[92:93]
	v_cmp_ne_u16_e32 vcc, 0, v19
	s_and_saveexec_b64 s[92:93], vcc
	s_cbranch_execz .LBB4_1063
; %bb.1058:                             ;   in Loop: Header=BB4_126 Depth=2
	v_cmp_ne_u16_e32 vcc, s53, v19
	v_bfrev_b32_e32 v2, 1
	s_and_saveexec_b64 s[94:95], vcc
	s_cbranch_execz .LBB4_1062
; %bb.1059:                             ;   in Loop: Header=BB4_126 Depth=2
	v_and_b32_e32 v3, 0x7f, v19
	v_cmp_ne_u32_e32 vcc, s54, v3
	v_mov_b32_e32 v2, 0x7f800001
	s_and_saveexec_b64 s[30:31], vcc
	s_cbranch_execz .LBB4_1061
; %bb.1060:                             ;   in Loop: Header=BB4_126 Depth=2
	v_and_b32_e32 v27, 7, v19
	v_ffbh_u32_e32 v2, v27
	v_min_u32_e32 v37, 32, v2
	v_subrev_u32_e32 v2, 28, v37
	v_lshrrev_b32_e32 v36, 3, v3
	v_cmp_gt_u32_e32 vcc, 8, v3
	v_lshlrev_b64 v[2:3], v2, v[19:20]
	v_sub_u32_e32 v3, 29, v37
	v_and_b32_e32 v2, 7, v2
	v_cndmask_b32_e32 v3, v36, v3, vcc
	v_cndmask_b32_e32 v2, v27, v2, vcc
	v_lshlrev_b32_e32 v27, 16, v18
	v_lshlrev_b32_e32 v2, 20, v2
	v_and_b32_e32 v27, 0x80000000, v27
	v_lshl_add_u32 v3, v3, 23, v43
	v_or3_b32 v2, v27, v3, v2
.LBB4_1061:                             ;   in Loop: Header=BB4_126 Depth=2
	s_or_b64 exec, exec, s[30:31]
.LBB4_1062:                             ;   in Loop: Header=BB4_126 Depth=2
	s_or_b64 exec, exec, s[94:95]
.LBB4_1063:                             ;   in Loop: Header=BB4_126 Depth=2
	s_or_b64 exec, exec, s[92:93]
	v_max_f32_e32 v2, v2, v2
	v_max_f32_e32 v1, v1, v1
	;; [unrolled: 1-line block ×3, first 2 shown]
	s_mov_b64 s[92:93], 0
.LBB4_1064:                             ;   in Loop: Header=BB4_126 Depth=2
	s_and_b64 vcc, exec, s[92:93]
	s_cbranch_vccz .LBB4_1078
; %bb.1065:                             ;   in Loop: Header=BB4_126 Depth=2
	v_mov_b32_e32 v2, 0
	v_mov_b32_e32 v1, 0
	s_and_saveexec_b64 s[92:93], s[22:23]
	s_cbranch_execz .LBB4_1071
; %bb.1066:                             ;   in Loop: Header=BB4_126 Depth=2
	v_cmp_ne_u16_e32 vcc, s53, v20
	v_bfrev_b32_e32 v1, 1
	s_and_saveexec_b64 s[22:23], vcc
	s_cbranch_execz .LBB4_1070
; %bb.1067:                             ;   in Loop: Header=BB4_126 Depth=2
	v_and_b32_e32 v3, 0x7f, v20
	v_cmp_ne_u32_e32 vcc, s54, v3
	v_mov_b32_e32 v1, 0x7f800001
	s_and_saveexec_b64 s[94:95], vcc
	s_cbranch_execz .LBB4_1069
; %bb.1068:                             ;   in Loop: Header=BB4_126 Depth=2
	v_and_b32_e32 v1, 7, v20
	v_lshrrev_b32_e32 v27, 3, v3
	v_cmp_gt_u32_e32 vcc, 8, v3
	v_ffbh_u32_e32 v3, v1
	v_min_u32_e32 v3, 32, v3
	v_subrev_u32_e32 v36, 28, v3
	v_lshlrev_b64 v[36:37], v36, v[20:21]
	v_sub_u32_e32 v3, 29, v3
	v_and_b32_e32 v20, 7, v36
	v_cndmask_b32_e32 v3, v27, v3, vcc
	v_cndmask_b32_e32 v1, v1, v20, vcc
	v_lshlrev_b32_e32 v20, 16, v52
	v_lshlrev_b32_e32 v1, 20, v1
	v_and_b32_e32 v20, 0x80000000, v20
	v_lshl_add_u32 v3, v3, 23, v43
	v_or3_b32 v1, v20, v3, v1
.LBB4_1069:                             ;   in Loop: Header=BB4_126 Depth=2
	s_or_b64 exec, exec, s[94:95]
.LBB4_1070:                             ;   in Loop: Header=BB4_126 Depth=2
	s_or_b64 exec, exec, s[22:23]
.LBB4_1071:                             ;   in Loop: Header=BB4_126 Depth=2
	s_or_b64 exec, exec, s[92:93]
	v_cmp_ne_u16_e32 vcc, 0, v19
	s_and_saveexec_b64 s[22:23], vcc
	s_cbranch_execz .LBB4_1077
; %bb.1072:                             ;   in Loop: Header=BB4_126 Depth=2
	v_cmp_ne_u16_e32 vcc, s53, v19
	v_bfrev_b32_e32 v2, 1
	s_and_saveexec_b64 s[92:93], vcc
	s_cbranch_execz .LBB4_1076
; %bb.1073:                             ;   in Loop: Header=BB4_126 Depth=2
	v_and_b32_e32 v3, 0x7f, v19
	v_cmp_ne_u32_e32 vcc, s54, v3
	v_mov_b32_e32 v2, 0x7f800001
	s_and_saveexec_b64 s[94:95], vcc
	s_cbranch_execz .LBB4_1075
; %bb.1074:                             ;   in Loop: Header=BB4_126 Depth=2
	v_and_b32_e32 v20, 7, v19
	v_ffbh_u32_e32 v2, v20
	v_min_u32_e32 v36, 32, v2
	v_subrev_u32_e32 v2, 28, v36
	v_lshrrev_b32_e32 v27, 3, v3
	v_cmp_gt_u32_e32 vcc, 8, v3
	v_lshlrev_b64 v[2:3], v2, v[19:20]
	v_sub_u32_e32 v3, 29, v36
	v_and_b32_e32 v2, 7, v2
	v_cndmask_b32_e32 v3, v27, v3, vcc
	v_cndmask_b32_e32 v2, v20, v2, vcc
	v_lshlrev_b32_e32 v18, 16, v18
	v_lshlrev_b32_e32 v2, 20, v2
	v_and_b32_e32 v18, 0x80000000, v18
	v_lshl_add_u32 v3, v3, 23, v43
	v_or3_b32 v2, v18, v3, v2
.LBB4_1075:                             ;   in Loop: Header=BB4_126 Depth=2
	s_or_b64 exec, exec, s[94:95]
.LBB4_1076:                             ;   in Loop: Header=BB4_126 Depth=2
	s_or_b64 exec, exec, s[92:93]
.LBB4_1077:                             ;   in Loop: Header=BB4_126 Depth=2
	s_or_b64 exec, exec, s[22:23]
	v_max_f32_e32 v2, v2, v2
	v_max_f32_e32 v1, v1, v1
	v_min_f32_e32 v2, v1, v2
.LBB4_1078:                             ;   in Loop: Header=BB4_126 Depth=2
	v_and_b32_e32 v52, 0x7f800000, v2
	v_cmp_ne_u64_e32 vcc, s[72:73], v[52:53]
                                        ; implicit-def: $vgpr20
	s_and_saveexec_b64 s[22:23], vcc
	s_xor_b64 s[92:93], exec, s[22:23]
	s_cbranch_execz .LBB4_1092
; %bb.1079:                             ;   in Loop: Header=BB4_126 Depth=2
	v_and_b32_e32 v52, 0x7fffffff, v2
	v_cmp_gt_u64_e32 vcc, s[74:75], v[52:53]
	v_and_b32_sdwa v1, v2, s53 dst_sel:DWORD dst_unused:UNUSED_PAD src0_sel:BYTE_3 src1_sel:DWORD
                                        ; implicit-def: $vgpr20
	s_and_saveexec_b64 s[22:23], vcc
	s_xor_b64 s[94:95], exec, s[22:23]
	s_cbranch_execz .LBB4_1089
; %bb.1080:                             ;   in Loop: Header=BB4_126 Depth=2
	v_mov_b32_e32 v20, 0
	v_cmp_ne_u32_e32 vcc, 0, v2
	s_and_saveexec_b64 s[30:31], vcc
	s_cbranch_execz .LBB4_1088
; %bb.1081:                             ;   in Loop: Header=BB4_126 Depth=2
	v_bfe_u32 v20, v2, 23, 8
	v_and_b32_e32 v3, 0x7fffff, v2
	v_cmp_gt_u32_e64 s[22:23], s64, v20
	v_sub_u32_e32 v2, 0x79, v20
	v_cmp_eq_u32_e32 vcc, 0, v20
	v_cndmask_b32_e64 v2, 0, v2, s[22:23]
	v_mov_b32_e32 v19, 0x78
	v_cndmask_b32_e32 v27, v2, v19, vcc
	v_or_b32_e32 v18, 0x800000, v3
	v_add_u32_e32 v2, 20, v27
	v_cndmask_b32_e32 v52, v18, v3, vcc
	v_lshlrev_b64 v[2:3], v2, -1
	v_add_u32_e32 v18, 19, v27
	v_lshlrev_b64 v[18:19], v18, 1
	v_bfi_b32 v3, v3, 0, 0
	v_bfi_b32 v2, v2, 0, v52
	v_cmp_eq_u64_e64 s[22:23], v[2:3], v[18:19]
	v_lshrrev_b64 v[18:19], v27, v[52:53]
	v_mov_b32_e32 v2, v18
	v_mov_b32_e32 v3, v19
	s_and_saveexec_b64 s[34:35], s[22:23]
; %bb.1082:                             ;   in Loop: Header=BB4_126 Depth=2
	v_bfe_u32 v2, v18, 20, 1
	v_add_co_u32_e64 v2, s[22:23], v18, v2
	v_add_co_u32_e64 v2, s[22:23], -1, v2
; %bb.1083:                             ;   in Loop: Header=BB4_126 Depth=2
	s_or_b64 exec, exec, s[34:35]
	v_add_u32_e32 v3, 0xffffff81, v20
	v_cndmask_b32_e32 v3, v3, v49, vcc
	v_lshrrev_b32_e32 v19, 23, v18
	v_add3_u32 v20, v27, v3, v19
	v_add_u32_e32 v3, 6, v20
	v_and_b32_e32 v2, 0xfffff, v2
	v_add_u32_e32 v52, v2, v18
	v_cmp_ne_u32_e32 vcc, 0, v3
                                        ; implicit-def: $vgpr18_vgpr19
                                        ; implicit-def: $vgpr2
	s_and_saveexec_b64 s[22:23], vcc
	s_xor_b64 s[22:23], exec, s[22:23]
; %bb.1084:                             ;   in Loop: Header=BB4_126 Depth=2
	v_cmp_lt_u64_e32 vcc, s[76:77], v[52:53]
	v_add_u32_e32 v2, 7, v20
	v_cndmask_b32_e32 v2, v3, v2, vcc
	v_cndmask_b32_e64 v3, 0, 1, vcc
	v_lshrrev_b64 v[18:19], v3, v[52:53]
; %bb.1085:                             ;   in Loop: Header=BB4_126 Depth=2
	s_andn2_saveexec_b64 s[22:23], s[22:23]
; %bb.1086:                             ;   in Loop: Header=BB4_126 Depth=2
	v_mov_b32_e32 v18, v52
	v_bfe_u32 v2, v52, 23, 1
	v_mov_b32_e32 v19, v53
; %bb.1087:                             ;   in Loop: Header=BB4_126 Depth=2
	s_or_b64 exec, exec, s[22:23]
	v_lshrrev_b64 v[18:19], 20, v[18:19]
	v_cmp_gt_i32_e32 vcc, 16, v2
	v_cndmask_b32_e32 v19, 0, v19, vcc
	v_cndmask_b32_e32 v18, 7, v18, vcc
	v_cmp_eq_u32_e32 vcc, 0, v2
	v_min_i32_e32 v2, 15, v2
	v_cmp_eq_u64_e64 s[22:23], 0, v[18:19]
	v_lshlrev_b32_e32 v2, 3, v2
	v_and_b32_e32 v2, 0xf8, v2
	v_and_or_b32 v2, v18, 7, v2
	s_and_b64 s[22:23], vcc, s[22:23]
	v_cndmask_b32_e64 v2, v2, 0, s[22:23]
	v_or_b32_e32 v20, v2, v1
.LBB4_1088:                             ;   in Loop: Header=BB4_126 Depth=2
	s_or_b64 exec, exec, s[30:31]
                                        ; implicit-def: $vgpr1
.LBB4_1089:                             ;   in Loop: Header=BB4_126 Depth=2
	s_andn2_saveexec_b64 s[22:23], s[94:95]
; %bb.1090:                             ;   in Loop: Header=BB4_126 Depth=2
	v_or_b32_e32 v20, 0x7e, v1
; %bb.1091:                             ;   in Loop: Header=BB4_126 Depth=2
	s_or_b64 exec, exec, s[22:23]
                                        ; implicit-def: $vgpr2
.LBB4_1092:                             ;   in Loop: Header=BB4_126 Depth=2
	s_andn2_saveexec_b64 s[22:23], s[92:93]
; %bb.1093:                             ;   in Loop: Header=BB4_126 Depth=2
	v_or_b32_sdwa v20, v2, s54 dst_sel:DWORD dst_unused:UNUSED_PAD src0_sel:BYTE_3 src1_sel:DWORD
; %bb.1094:                             ;   in Loop: Header=BB4_126 Depth=2
	s_or_b64 exec, exec, s[22:23]
	v_lshrrev_b32_e32 v19, 16, v15
	v_lshrrev_b32_e32 v18, 16, v11
	v_cmp_ne_u16_sdwa s[22:23], v19, v53 src0_sel:BYTE_0 src1_sel:DWORD
	s_and_b64 vcc, exec, s[20:21]
	s_mov_b64 s[92:93], -1
                                        ; implicit-def: $vgpr2
	s_cbranch_vccnz .LBB4_1108
; %bb.1095:                             ;   in Loop: Header=BB4_126 Depth=2
	v_mov_b32_e32 v2, 0
	v_mov_b32_e32 v1, 0
	s_and_saveexec_b64 s[92:93], s[22:23]
	s_cbranch_execz .LBB4_1101
; %bb.1096:                             ;   in Loop: Header=BB4_126 Depth=2
	v_cmp_ne_u16_sdwa vcc, v19, s53 src0_sel:BYTE_0 src1_sel:DWORD
	v_bfrev_b32_e32 v1, 1
	s_and_saveexec_b64 s[94:95], vcc
	s_cbranch_execz .LBB4_1100
; %bb.1097:                             ;   in Loop: Header=BB4_126 Depth=2
	v_bfe_u32 v3, v15, 16, 7
	v_cmp_ne_u32_e32 vcc, s54, v3
	v_mov_b32_e32 v1, 0x7f800001
	s_and_saveexec_b64 s[30:31], vcc
	s_cbranch_execz .LBB4_1099
; %bb.1098:                             ;   in Loop: Header=BB4_126 Depth=2
	v_and_b32_e32 v1, 7, v19
	v_lshrrev_b32_e32 v27, 3, v3
	v_cmp_gt_u32_e32 vcc, 8, v3
	v_ffbh_u32_e32 v3, v1
	v_min_u32_e32 v3, 32, v3
	v_subrev_u32_e32 v36, 28, v3
	v_lshlrev_b64 v[36:37], v36, v[19:20]
	v_sub_u32_e32 v3, 29, v3
	v_and_b32_e32 v36, 7, v36
	v_cndmask_b32_e32 v3, v27, v3, vcc
	v_cndmask_b32_e32 v1, v1, v36, vcc
	v_lshlrev_b32_e32 v27, 24, v19
	v_lshlrev_b32_e32 v1, 20, v1
	v_and_b32_e32 v27, 0x80000000, v27
	v_lshl_add_u32 v3, v3, 23, v43
	v_or3_b32 v1, v27, v3, v1
.LBB4_1099:                             ;   in Loop: Header=BB4_126 Depth=2
	s_or_b64 exec, exec, s[30:31]
.LBB4_1100:                             ;   in Loop: Header=BB4_126 Depth=2
	s_or_b64 exec, exec, s[94:95]
.LBB4_1101:                             ;   in Loop: Header=BB4_126 Depth=2
	s_or_b64 exec, exec, s[92:93]
	v_cmp_ne_u16_sdwa s[94:95], v18, v53 src0_sel:BYTE_0 src1_sel:DWORD
	s_and_saveexec_b64 s[92:93], s[94:95]
	s_cbranch_execz .LBB4_1107
; %bb.1102:                             ;   in Loop: Header=BB4_126 Depth=2
	v_cmp_ne_u16_sdwa vcc, v18, s53 src0_sel:BYTE_0 src1_sel:DWORD
	v_bfrev_b32_e32 v2, 1
	s_and_saveexec_b64 s[94:95], vcc
	s_cbranch_execz .LBB4_1106
; %bb.1103:                             ;   in Loop: Header=BB4_126 Depth=2
	v_bfe_u32 v3, v11, 16, 7
	v_cmp_ne_u32_e32 vcc, s54, v3
	v_mov_b32_e32 v2, 0x7f800001
	s_and_saveexec_b64 s[30:31], vcc
	s_cbranch_execz .LBB4_1105
; %bb.1104:                             ;   in Loop: Header=BB4_126 Depth=2
	v_and_b32_e32 v27, 7, v18
	v_ffbh_u32_e32 v2, v27
	v_min_u32_e32 v37, 32, v2
	v_subrev_u32_e32 v2, 28, v37
	v_lshrrev_b32_e32 v36, 3, v3
	v_cmp_gt_u32_e32 vcc, 8, v3
	v_lshlrev_b64 v[2:3], v2, v[18:19]
	v_sub_u32_e32 v3, 29, v37
	v_and_b32_e32 v2, 7, v2
	v_cndmask_b32_e32 v3, v36, v3, vcc
	v_cndmask_b32_e32 v2, v27, v2, vcc
	v_lshlrev_b32_e32 v27, 24, v18
	v_lshlrev_b32_e32 v2, 20, v2
	v_and_b32_e32 v27, 0x80000000, v27
	v_lshl_add_u32 v3, v3, 23, v43
	v_or3_b32 v2, v27, v3, v2
.LBB4_1105:                             ;   in Loop: Header=BB4_126 Depth=2
	s_or_b64 exec, exec, s[30:31]
.LBB4_1106:                             ;   in Loop: Header=BB4_126 Depth=2
	s_or_b64 exec, exec, s[94:95]
.LBB4_1107:                             ;   in Loop: Header=BB4_126 Depth=2
	s_or_b64 exec, exec, s[92:93]
	v_max_f32_e32 v2, v2, v2
	v_max_f32_e32 v1, v1, v1
	;; [unrolled: 1-line block ×3, first 2 shown]
	s_mov_b64 s[92:93], 0
.LBB4_1108:                             ;   in Loop: Header=BB4_126 Depth=2
	s_and_b64 vcc, exec, s[92:93]
	s_cbranch_vccz .LBB4_1122
; %bb.1109:                             ;   in Loop: Header=BB4_126 Depth=2
	v_mov_b32_e32 v2, 0
	v_mov_b32_e32 v1, 0
	s_and_saveexec_b64 s[92:93], s[22:23]
	s_cbranch_execz .LBB4_1115
; %bb.1110:                             ;   in Loop: Header=BB4_126 Depth=2
	v_cmp_ne_u16_sdwa s[94:95], v19, s53 src0_sel:BYTE_0 src1_sel:DWORD
	v_bfrev_b32_e32 v1, 1
	s_and_saveexec_b64 s[22:23], s[94:95]
	s_cbranch_execz .LBB4_1114
; %bb.1111:                             ;   in Loop: Header=BB4_126 Depth=2
	v_bfe_u32 v3, v15, 16, 7
	v_cmp_ne_u32_e32 vcc, s54, v3
	v_mov_b32_e32 v1, 0x7f800001
	s_and_saveexec_b64 s[94:95], vcc
	s_cbranch_execz .LBB4_1113
; %bb.1112:                             ;   in Loop: Header=BB4_126 Depth=2
	v_and_b32_e32 v1, 7, v19
	v_lshrrev_b32_e32 v27, 3, v3
	v_cmp_gt_u32_e32 vcc, 8, v3
	v_ffbh_u32_e32 v3, v1
	v_min_u32_e32 v3, 32, v3
	v_subrev_u32_e32 v36, 28, v3
	v_lshlrev_b64 v[36:37], v36, v[19:20]
	v_sub_u32_e32 v3, 29, v3
	v_and_b32_e32 v36, 7, v36
	v_cndmask_b32_e32 v3, v27, v3, vcc
	v_cndmask_b32_e32 v1, v1, v36, vcc
	v_lshlrev_b32_e32 v19, 24, v19
	v_lshlrev_b32_e32 v1, 20, v1
	v_and_b32_e32 v19, 0x80000000, v19
	v_lshl_add_u32 v3, v3, 23, v43
	v_or3_b32 v1, v19, v3, v1
.LBB4_1113:                             ;   in Loop: Header=BB4_126 Depth=2
	s_or_b64 exec, exec, s[94:95]
.LBB4_1114:                             ;   in Loop: Header=BB4_126 Depth=2
	s_or_b64 exec, exec, s[22:23]
.LBB4_1115:                             ;   in Loop: Header=BB4_126 Depth=2
	s_or_b64 exec, exec, s[92:93]
	v_cmp_ne_u16_sdwa s[92:93], v18, v53 src0_sel:BYTE_0 src1_sel:DWORD
	s_and_saveexec_b64 s[22:23], s[92:93]
	s_cbranch_execz .LBB4_1121
; %bb.1116:                             ;   in Loop: Header=BB4_126 Depth=2
	v_cmp_ne_u16_sdwa s[94:95], v18, s53 src0_sel:BYTE_0 src1_sel:DWORD
	v_bfrev_b32_e32 v2, 1
	s_and_saveexec_b64 s[92:93], s[94:95]
	s_cbranch_execz .LBB4_1120
; %bb.1117:                             ;   in Loop: Header=BB4_126 Depth=2
	v_bfe_u32 v3, v11, 16, 7
	v_cmp_ne_u32_e32 vcc, s54, v3
	v_mov_b32_e32 v2, 0x7f800001
	s_and_saveexec_b64 s[94:95], vcc
	s_cbranch_execz .LBB4_1119
; %bb.1118:                             ;   in Loop: Header=BB4_126 Depth=2
	v_and_b32_e32 v19, 7, v18
	v_ffbh_u32_e32 v2, v19
	v_min_u32_e32 v36, 32, v2
	v_subrev_u32_e32 v2, 28, v36
	v_lshrrev_b32_e32 v27, 3, v3
	v_cmp_gt_u32_e32 vcc, 8, v3
	v_lshlrev_b64 v[2:3], v2, v[18:19]
	v_sub_u32_e32 v3, 29, v36
	v_and_b32_e32 v2, 7, v2
	v_cndmask_b32_e32 v3, v27, v3, vcc
	v_cndmask_b32_e32 v2, v19, v2, vcc
	v_lshlrev_b32_e32 v18, 24, v18
	v_lshlrev_b32_e32 v2, 20, v2
	v_and_b32_e32 v18, 0x80000000, v18
	v_lshl_add_u32 v3, v3, 23, v43
	v_or3_b32 v2, v18, v3, v2
.LBB4_1119:                             ;   in Loop: Header=BB4_126 Depth=2
	s_or_b64 exec, exec, s[94:95]
.LBB4_1120:                             ;   in Loop: Header=BB4_126 Depth=2
	s_or_b64 exec, exec, s[92:93]
.LBB4_1121:                             ;   in Loop: Header=BB4_126 Depth=2
	s_or_b64 exec, exec, s[22:23]
	v_max_f32_e32 v2, v2, v2
	v_max_f32_e32 v1, v1, v1
	v_min_f32_e32 v2, v1, v2
.LBB4_1122:                             ;   in Loop: Header=BB4_126 Depth=2
	v_and_b32_e32 v52, 0x7f800000, v2
	v_cmp_ne_u64_e32 vcc, s[72:73], v[52:53]
                                        ; implicit-def: $vgpr1
	s_and_saveexec_b64 s[22:23], vcc
	s_xor_b64 s[92:93], exec, s[22:23]
	s_cbranch_execz .LBB4_1136
; %bb.1123:                             ;   in Loop: Header=BB4_126 Depth=2
	v_and_b32_e32 v52, 0x7fffffff, v2
	v_cmp_gt_u64_e32 vcc, s[74:75], v[52:53]
	v_and_b32_sdwa v27, v2, s53 dst_sel:DWORD dst_unused:UNUSED_PAD src0_sel:BYTE_3 src1_sel:DWORD
                                        ; implicit-def: $vgpr1
	s_and_saveexec_b64 s[22:23], vcc
	s_xor_b64 s[94:95], exec, s[22:23]
	s_cbranch_execz .LBB4_1133
; %bb.1124:                             ;   in Loop: Header=BB4_126 Depth=2
	v_mov_b32_e32 v1, 0
	v_cmp_ne_u32_e32 vcc, 0, v2
	s_and_saveexec_b64 s[30:31], vcc
	s_cbranch_execz .LBB4_1132
; %bb.1125:                             ;   in Loop: Header=BB4_126 Depth=2
	v_bfe_u32 v1, v2, 23, 8
	v_and_b32_e32 v3, 0x7fffff, v2
	v_cmp_gt_u32_e64 s[22:23], s64, v1
	v_sub_u32_e32 v2, 0x79, v1
	v_cmp_eq_u32_e32 vcc, 0, v1
	v_cndmask_b32_e64 v2, 0, v2, s[22:23]
	v_mov_b32_e32 v19, 0x78
	v_cndmask_b32_e32 v48, v2, v19, vcc
	v_or_b32_e32 v18, 0x800000, v3
	v_add_u32_e32 v2, 20, v48
	v_cndmask_b32_e32 v52, v18, v3, vcc
	v_lshlrev_b64 v[2:3], v2, -1
	v_add_u32_e32 v18, 19, v48
	v_lshlrev_b64 v[18:19], v18, 1
	v_bfi_b32 v3, v3, 0, 0
	v_bfi_b32 v2, v2, 0, v52
	v_cmp_eq_u64_e64 s[22:23], v[2:3], v[18:19]
	v_lshrrev_b64 v[18:19], v48, v[52:53]
	v_mov_b32_e32 v2, v18
	v_mov_b32_e32 v3, v19
	s_and_saveexec_b64 s[34:35], s[22:23]
; %bb.1126:                             ;   in Loop: Header=BB4_126 Depth=2
	v_bfe_u32 v2, v18, 20, 1
	v_add_co_u32_e64 v2, s[22:23], v18, v2
	v_add_co_u32_e64 v2, s[22:23], -1, v2
; %bb.1127:                             ;   in Loop: Header=BB4_126 Depth=2
	s_or_b64 exec, exec, s[34:35]
	v_add_u32_e32 v1, 0xffffff81, v1
	v_cndmask_b32_e32 v1, v1, v49, vcc
	v_lshrrev_b32_e32 v3, 23, v18
	v_add3_u32 v48, v48, v1, v3
	v_add_u32_e32 v3, 6, v48
	v_and_b32_e32 v1, 0xfffff, v2
	v_add_u32_e32 v52, v1, v18
	v_cmp_ne_u32_e32 vcc, 0, v3
                                        ; implicit-def: $vgpr18_vgpr19
                                        ; implicit-def: $vgpr1
	s_and_saveexec_b64 s[22:23], vcc
	s_xor_b64 s[22:23], exec, s[22:23]
; %bb.1128:                             ;   in Loop: Header=BB4_126 Depth=2
	v_cmp_lt_u64_e32 vcc, s[76:77], v[52:53]
	v_add_u32_e32 v1, 7, v48
	v_cndmask_b32_e64 v2, 0, 1, vcc
	v_lshrrev_b64 v[18:19], v2, v[52:53]
	v_cndmask_b32_e32 v1, v3, v1, vcc
; %bb.1129:                             ;   in Loop: Header=BB4_126 Depth=2
	s_andn2_saveexec_b64 s[22:23], s[22:23]
; %bb.1130:                             ;   in Loop: Header=BB4_126 Depth=2
	v_mov_b32_e32 v18, v52
	v_bfe_u32 v1, v52, 23, 1
	v_mov_b32_e32 v19, v53
; %bb.1131:                             ;   in Loop: Header=BB4_126 Depth=2
	s_or_b64 exec, exec, s[22:23]
	v_lshrrev_b64 v[2:3], 20, v[18:19]
	v_cmp_gt_i32_e32 vcc, 16, v1
	v_cndmask_b32_e32 v3, 0, v3, vcc
	v_cndmask_b32_e32 v2, 7, v2, vcc
	v_cmp_eq_u32_e32 vcc, 0, v1
	v_min_i32_e32 v1, 15, v1
	v_cmp_eq_u64_e64 s[22:23], 0, v[2:3]
	v_lshlrev_b32_e32 v1, 3, v1
	v_and_b32_e32 v1, 0xf8, v1
	v_and_or_b32 v1, v2, 7, v1
	s_and_b64 s[22:23], vcc, s[22:23]
	v_cndmask_b32_e64 v1, v1, 0, s[22:23]
	v_or_b32_e32 v1, v1, v27
.LBB4_1132:                             ;   in Loop: Header=BB4_126 Depth=2
	s_or_b64 exec, exec, s[30:31]
                                        ; implicit-def: $vgpr27
.LBB4_1133:                             ;   in Loop: Header=BB4_126 Depth=2
	s_andn2_saveexec_b64 s[22:23], s[94:95]
; %bb.1134:                             ;   in Loop: Header=BB4_126 Depth=2
	v_or_b32_e32 v1, 0x7e, v27
; %bb.1135:                             ;   in Loop: Header=BB4_126 Depth=2
	s_or_b64 exec, exec, s[22:23]
                                        ; implicit-def: $vgpr2
.LBB4_1136:                             ;   in Loop: Header=BB4_126 Depth=2
	s_andn2_saveexec_b64 s[22:23], s[92:93]
; %bb.1137:                             ;   in Loop: Header=BB4_126 Depth=2
	v_or_b32_sdwa v1, v2, s54 dst_sel:DWORD dst_unused:UNUSED_PAD src0_sel:BYTE_3 src1_sel:DWORD
; %bb.1138:                             ;   in Loop: Header=BB4_126 Depth=2
	s_or_b64 exec, exec, s[22:23]
	v_cmp_lt_u64_e64 s[22:23], s[78:79], v[14:15]
	v_lshrrev_b32_e32 v19, 24, v15
	v_lshrrev_b32_e32 v18, 24, v11
	s_and_b64 vcc, exec, s[20:21]
	s_mov_b64 s[92:93], -1
                                        ; implicit-def: $vgpr2
	s_cbranch_vccnz .LBB4_1152
; %bb.1139:                             ;   in Loop: Header=BB4_126 Depth=2
	v_mov_b32_e32 v3, 0
	v_mov_b32_e32 v2, 0
	s_and_saveexec_b64 s[92:93], s[22:23]
	s_cbranch_execz .LBB4_1145
; %bb.1140:                             ;   in Loop: Header=BB4_126 Depth=2
	v_cmp_ne_u32_e32 vcc, s53, v19
	v_bfrev_b32_e32 v2, 1
	s_and_saveexec_b64 s[94:95], vcc
	s_cbranch_execz .LBB4_1144
; %bb.1141:                             ;   in Loop: Header=BB4_126 Depth=2
	v_bfe_u32 v14, v15, 24, 7
	v_cmp_ne_u32_e32 vcc, s54, v14
	v_mov_b32_e32 v2, 0x7f800001
	s_and_saveexec_b64 s[30:31], vcc
	s_cbranch_execz .LBB4_1143
; %bb.1142:                             ;   in Loop: Header=BB4_126 Depth=2
	v_and_b32_e32 v2, 7, v19
	v_lshrrev_b32_e32 v27, 3, v14
	v_cmp_gt_u32_e32 vcc, 8, v14
	v_ffbh_u32_e32 v14, v2
	v_min_u32_e32 v14, 32, v14
	v_subrev_u32_e32 v36, 28, v14
	v_lshlrev_b64 v[36:37], v36, v[19:20]
	v_sub_u32_e32 v14, 29, v14
	v_and_b32_e32 v36, 7, v36
	v_cndmask_b32_e32 v14, v27, v14, vcc
	v_cndmask_b32_e32 v2, v2, v36, vcc
	v_lshlrev_b32_e32 v27, 24, v19
	v_lshlrev_b32_e32 v2, 20, v2
	v_and_b32_e32 v27, 0x80000000, v27
	v_lshl_add_u32 v14, v14, 23, v43
	v_or3_b32 v2, v27, v14, v2
.LBB4_1143:                             ;   in Loop: Header=BB4_126 Depth=2
	s_or_b64 exec, exec, s[30:31]
.LBB4_1144:                             ;   in Loop: Header=BB4_126 Depth=2
	s_or_b64 exec, exec, s[94:95]
.LBB4_1145:                             ;   in Loop: Header=BB4_126 Depth=2
	s_or_b64 exec, exec, s[92:93]
	v_cmp_lt_u64_e32 vcc, s[78:79], v[10:11]
	s_and_saveexec_b64 s[92:93], vcc
	s_cbranch_execz .LBB4_1151
; %bb.1146:                             ;   in Loop: Header=BB4_126 Depth=2
	v_cmp_ne_u32_e32 vcc, s53, v18
	v_bfrev_b32_e32 v3, 1
	s_and_saveexec_b64 s[94:95], vcc
	s_cbranch_execz .LBB4_1150
; %bb.1147:                             ;   in Loop: Header=BB4_126 Depth=2
	v_bfe_u32 v14, v11, 24, 7
	v_cmp_ne_u32_e32 vcc, s54, v14
	v_mov_b32_e32 v3, 0x7f800001
	s_and_saveexec_b64 s[30:31], vcc
	s_cbranch_execz .LBB4_1149
; %bb.1148:                             ;   in Loop: Header=BB4_126 Depth=2
	v_and_b32_e32 v3, 7, v18
	v_lshrrev_b32_e32 v27, 3, v14
	v_cmp_gt_u32_e32 vcc, 8, v14
	v_ffbh_u32_e32 v14, v3
	v_min_u32_e32 v14, 32, v14
	v_subrev_u32_e32 v36, 28, v14
	v_lshlrev_b64 v[36:37], v36, v[18:19]
	v_sub_u32_e32 v14, 29, v14
	v_and_b32_e32 v36, 7, v36
	v_cndmask_b32_e32 v14, v27, v14, vcc
	v_cndmask_b32_e32 v3, v3, v36, vcc
	v_lshlrev_b32_e32 v27, 24, v18
	v_lshlrev_b32_e32 v3, 20, v3
	v_and_b32_e32 v27, 0x80000000, v27
	v_lshl_add_u32 v14, v14, 23, v43
	v_or3_b32 v3, v27, v14, v3
.LBB4_1149:                             ;   in Loop: Header=BB4_126 Depth=2
	s_or_b64 exec, exec, s[30:31]
.LBB4_1150:                             ;   in Loop: Header=BB4_126 Depth=2
	s_or_b64 exec, exec, s[94:95]
.LBB4_1151:                             ;   in Loop: Header=BB4_126 Depth=2
	s_or_b64 exec, exec, s[92:93]
	v_max_f32_e32 v3, v3, v3
	v_max_f32_e32 v2, v2, v2
	;; [unrolled: 1-line block ×3, first 2 shown]
	s_mov_b64 s[92:93], 0
.LBB4_1152:                             ;   in Loop: Header=BB4_126 Depth=2
	s_and_b64 vcc, exec, s[92:93]
	s_cbranch_vccz .LBB4_1166
; %bb.1153:                             ;   in Loop: Header=BB4_126 Depth=2
	v_mov_b32_e32 v3, 0
	v_mov_b32_e32 v2, 0
	s_and_saveexec_b64 s[92:93], s[22:23]
	s_cbranch_execz .LBB4_1159
; %bb.1154:                             ;   in Loop: Header=BB4_126 Depth=2
	v_cmp_ne_u32_e32 vcc, s53, v19
	v_bfrev_b32_e32 v2, 1
	s_and_saveexec_b64 s[22:23], vcc
	s_cbranch_execz .LBB4_1158
; %bb.1155:                             ;   in Loop: Header=BB4_126 Depth=2
	v_bfe_u32 v14, v15, 24, 7
	v_cmp_ne_u32_e32 vcc, s54, v14
	v_mov_b32_e32 v2, 0x7f800001
	s_and_saveexec_b64 s[94:95], vcc
	s_cbranch_execz .LBB4_1157
; %bb.1156:                             ;   in Loop: Header=BB4_126 Depth=2
	v_and_b32_e32 v2, 7, v19
	v_lshrrev_b32_e32 v27, 3, v14
	v_cmp_gt_u32_e32 vcc, 8, v14
	v_ffbh_u32_e32 v14, v2
	v_min_u32_e32 v36, 32, v14
	v_subrev_u32_e32 v14, 28, v36
	v_lshlrev_b64 v[14:15], v14, v[19:20]
	v_sub_u32_e32 v15, 29, v36
	v_and_b32_e32 v14, 7, v14
	v_cndmask_b32_e32 v15, v27, v15, vcc
	v_cndmask_b32_e32 v2, v2, v14, vcc
	v_lshlrev_b32_e32 v14, 24, v19
	v_lshlrev_b32_e32 v2, 20, v2
	v_and_b32_e32 v14, 0x80000000, v14
	v_lshl_add_u32 v15, v15, 23, v43
	v_or3_b32 v2, v14, v15, v2
.LBB4_1157:                             ;   in Loop: Header=BB4_126 Depth=2
	s_or_b64 exec, exec, s[94:95]
.LBB4_1158:                             ;   in Loop: Header=BB4_126 Depth=2
	s_or_b64 exec, exec, s[22:23]
.LBB4_1159:                             ;   in Loop: Header=BB4_126 Depth=2
	s_or_b64 exec, exec, s[92:93]
	v_cmp_lt_u64_e32 vcc, s[78:79], v[10:11]
	s_and_saveexec_b64 s[22:23], vcc
	s_cbranch_execz .LBB4_1165
; %bb.1160:                             ;   in Loop: Header=BB4_126 Depth=2
	v_cmp_ne_u32_e32 vcc, s53, v18
	v_bfrev_b32_e32 v3, 1
	s_and_saveexec_b64 s[92:93], vcc
	s_cbranch_execz .LBB4_1164
; %bb.1161:                             ;   in Loop: Header=BB4_126 Depth=2
	v_bfe_u32 v10, v11, 24, 7
	v_cmp_ne_u32_e32 vcc, s54, v10
	v_mov_b32_e32 v3, 0x7f800001
	s_and_saveexec_b64 s[94:95], vcc
	s_cbranch_execz .LBB4_1163
; %bb.1162:                             ;   in Loop: Header=BB4_126 Depth=2
	v_and_b32_e32 v3, 7, v18
	v_lshrrev_b32_e32 v14, 3, v10
	v_cmp_gt_u32_e32 vcc, 8, v10
	v_ffbh_u32_e32 v10, v3
	v_min_u32_e32 v15, 32, v10
	v_subrev_u32_e32 v10, 28, v15
	v_lshlrev_b64 v[10:11], v10, v[18:19]
	v_sub_u32_e32 v11, 29, v15
	v_and_b32_e32 v10, 7, v10
	v_cndmask_b32_e32 v11, v14, v11, vcc
	v_cndmask_b32_e32 v3, v3, v10, vcc
	v_lshlrev_b32_e32 v10, 24, v18
	v_lshlrev_b32_e32 v3, 20, v3
	v_and_b32_e32 v10, 0x80000000, v10
	v_lshl_add_u32 v11, v11, 23, v43
	v_or3_b32 v3, v10, v11, v3
.LBB4_1163:                             ;   in Loop: Header=BB4_126 Depth=2
	s_or_b64 exec, exec, s[94:95]
.LBB4_1164:                             ;   in Loop: Header=BB4_126 Depth=2
	s_or_b64 exec, exec, s[92:93]
.LBB4_1165:                             ;   in Loop: Header=BB4_126 Depth=2
	s_or_b64 exec, exec, s[22:23]
	v_max_f32_e32 v3, v3, v3
	v_max_f32_e32 v2, v2, v2
	v_min_f32_e32 v2, v2, v3
.LBB4_1166:                             ;   in Loop: Header=BB4_126 Depth=2
	v_and_b32_e32 v52, 0x7f800000, v2
	v_cmp_ne_u64_e32 vcc, s[72:73], v[52:53]
                                        ; implicit-def: $vgpr18
	s_and_saveexec_b64 s[22:23], vcc
	s_xor_b64 s[92:93], exec, s[22:23]
	s_cbranch_execz .LBB4_1180
; %bb.1167:                             ;   in Loop: Header=BB4_126 Depth=2
	v_and_b32_e32 v52, 0x7fffffff, v2
	v_cmp_gt_u64_e32 vcc, s[74:75], v[52:53]
	v_and_b32_sdwa v14, v2, s53 dst_sel:DWORD dst_unused:UNUSED_PAD src0_sel:BYTE_3 src1_sel:DWORD
                                        ; implicit-def: $vgpr18
	s_and_saveexec_b64 s[22:23], vcc
	s_xor_b64 s[94:95], exec, s[22:23]
	s_cbranch_execz .LBB4_1177
; %bb.1168:                             ;   in Loop: Header=BB4_126 Depth=2
	v_mov_b32_e32 v18, 0
	v_cmp_ne_u32_e32 vcc, 0, v2
	s_and_saveexec_b64 s[30:31], vcc
	s_cbranch_execz .LBB4_1176
; %bb.1169:                             ;   in Loop: Header=BB4_126 Depth=2
	v_bfe_u32 v15, v2, 23, 8
	v_and_b32_e32 v3, 0x7fffff, v2
	v_cmp_gt_u32_e64 s[22:23], s64, v15
	v_sub_u32_e32 v2, 0x79, v15
	v_cmp_eq_u32_e32 vcc, 0, v15
	v_cndmask_b32_e64 v2, 0, v2, s[22:23]
	v_mov_b32_e32 v11, 0x78
	v_cndmask_b32_e32 v18, v2, v11, vcc
	v_or_b32_e32 v10, 0x800000, v3
	v_add_u32_e32 v2, 20, v18
	v_cndmask_b32_e32 v52, v10, v3, vcc
	v_lshlrev_b64 v[2:3], v2, -1
	v_add_u32_e32 v10, 19, v18
	v_lshlrev_b64 v[10:11], v10, 1
	v_bfi_b32 v3, v3, 0, 0
	v_bfi_b32 v2, v2, 0, v52
	v_cmp_eq_u64_e64 s[22:23], v[2:3], v[10:11]
	v_lshrrev_b64 v[10:11], v18, v[52:53]
	v_mov_b32_e32 v2, v10
	v_mov_b32_e32 v3, v11
	s_and_saveexec_b64 s[34:35], s[22:23]
; %bb.1170:                             ;   in Loop: Header=BB4_126 Depth=2
	v_bfe_u32 v2, v10, 20, 1
	v_add_co_u32_e64 v2, s[22:23], v10, v2
	v_add_co_u32_e64 v2, s[22:23], -1, v2
; %bb.1171:                             ;   in Loop: Header=BB4_126 Depth=2
	s_or_b64 exec, exec, s[34:35]
	v_add_u32_e32 v3, 0xffffff81, v15
	v_cndmask_b32_e32 v3, v3, v49, vcc
	v_lshrrev_b32_e32 v11, 23, v10
	v_add3_u32 v15, v18, v3, v11
	v_add_u32_e32 v3, 6, v15
	v_and_b32_e32 v2, 0xfffff, v2
	v_add_u32_e32 v52, v2, v10
	v_cmp_ne_u32_e32 vcc, 0, v3
                                        ; implicit-def: $vgpr10_vgpr11
                                        ; implicit-def: $vgpr2
	s_and_saveexec_b64 s[22:23], vcc
	s_xor_b64 s[22:23], exec, s[22:23]
; %bb.1172:                             ;   in Loop: Header=BB4_126 Depth=2
	v_cmp_lt_u64_e32 vcc, s[76:77], v[52:53]
	v_add_u32_e32 v2, 7, v15
	v_cndmask_b32_e32 v2, v3, v2, vcc
	v_cndmask_b32_e64 v3, 0, 1, vcc
	v_lshrrev_b64 v[10:11], v3, v[52:53]
; %bb.1173:                             ;   in Loop: Header=BB4_126 Depth=2
	s_andn2_saveexec_b64 s[22:23], s[22:23]
; %bb.1174:                             ;   in Loop: Header=BB4_126 Depth=2
	v_mov_b32_e32 v10, v52
	v_bfe_u32 v2, v52, 23, 1
	v_mov_b32_e32 v11, v53
; %bb.1175:                             ;   in Loop: Header=BB4_126 Depth=2
	s_or_b64 exec, exec, s[22:23]
	v_lshrrev_b64 v[10:11], 20, v[10:11]
	v_cmp_gt_i32_e32 vcc, 16, v2
	v_cndmask_b32_e32 v11, 0, v11, vcc
	v_cndmask_b32_e32 v10, 7, v10, vcc
	v_cmp_eq_u32_e32 vcc, 0, v2
	v_min_i32_e32 v2, 15, v2
	v_cmp_eq_u64_e64 s[22:23], 0, v[10:11]
	v_lshlrev_b32_e32 v2, 3, v2
	v_and_b32_e32 v2, 0xf8, v2
	v_and_or_b32 v2, v10, 7, v2
	s_and_b64 s[22:23], vcc, s[22:23]
	v_cndmask_b32_e64 v2, v2, 0, s[22:23]
	v_or_b32_e32 v18, v2, v14
.LBB4_1176:                             ;   in Loop: Header=BB4_126 Depth=2
	s_or_b64 exec, exec, s[30:31]
                                        ; implicit-def: $vgpr14
.LBB4_1177:                             ;   in Loop: Header=BB4_126 Depth=2
	s_andn2_saveexec_b64 s[22:23], s[94:95]
; %bb.1178:                             ;   in Loop: Header=BB4_126 Depth=2
	v_or_b32_e32 v18, 0x7e, v14
; %bb.1179:                             ;   in Loop: Header=BB4_126 Depth=2
	s_or_b64 exec, exec, s[22:23]
                                        ; implicit-def: $vgpr2
.LBB4_1180:                             ;   in Loop: Header=BB4_126 Depth=2
	s_andn2_saveexec_b64 s[22:23], s[92:93]
; %bb.1181:                             ;   in Loop: Header=BB4_126 Depth=2
	v_or_b32_sdwa v18, v2, s54 dst_sel:DWORD dst_unused:UNUSED_PAD src0_sel:BYTE_3 src1_sel:DWORD
; %bb.1182:                             ;   in Loop: Header=BB4_126 Depth=2
	s_or_b64 exec, exec, s[22:23]
	v_cmp_ne_u16_sdwa s[22:23], v16, v53 src0_sel:BYTE_0 src1_sel:DWORD
	s_and_b64 vcc, exec, s[20:21]
	s_mov_b64 s[92:93], -1
                                        ; implicit-def: $vgpr2
	s_cbranch_vccnz .LBB4_1196
; %bb.1183:                             ;   in Loop: Header=BB4_126 Depth=2
	v_mov_b32_e32 v3, 0
	v_mov_b32_e32 v2, 0
	s_and_saveexec_b64 s[92:93], s[22:23]
	s_cbranch_execz .LBB4_1189
; %bb.1184:                             ;   in Loop: Header=BB4_126 Depth=2
	v_cmp_ne_u16_sdwa vcc, v16, s53 src0_sel:BYTE_0 src1_sel:DWORD
	v_bfrev_b32_e32 v2, 1
	s_and_saveexec_b64 s[94:95], vcc
	s_cbranch_execz .LBB4_1188
; %bb.1185:                             ;   in Loop: Header=BB4_126 Depth=2
	v_and_b32_e32 v10, 0x7f, v16
	v_cmp_ne_u32_e32 vcc, s54, v10
	v_mov_b32_e32 v2, 0x7f800001
	s_and_saveexec_b64 s[30:31], vcc
	s_cbranch_execz .LBB4_1187
; %bb.1186:                             ;   in Loop: Header=BB4_126 Depth=2
	v_and_b32_e32 v2, 7, v16
	v_ffbh_u32_e32 v2, v2
	v_min_u32_e32 v2, 32, v2
	v_lshrrev_b32_e32 v11, 3, v10
	v_cmp_gt_u32_e32 vcc, 8, v10
	v_subrev_u32_e32 v10, 28, v2
	v_sub_u32_e32 v2, 29, v2
	v_cndmask_b32_e32 v10, 0, v10, vcc
	v_cndmask_b32_e32 v2, v11, v2, vcc
	v_lshlrev_b64 v[10:11], v10, v[16:17]
	v_lshlrev_b32_e32 v11, 24, v16
	v_lshlrev_b32_e32 v10, 20, v10
	v_and_b32_e32 v10, 0x700000, v10
	v_and_b32_e32 v11, 0x80000000, v11
	v_lshl_add_u32 v2, v2, 23, v43
	v_or3_b32 v2, v11, v2, v10
.LBB4_1187:                             ;   in Loop: Header=BB4_126 Depth=2
	s_or_b64 exec, exec, s[30:31]
.LBB4_1188:                             ;   in Loop: Header=BB4_126 Depth=2
	s_or_b64 exec, exec, s[94:95]
.LBB4_1189:                             ;   in Loop: Header=BB4_126 Depth=2
	s_or_b64 exec, exec, s[92:93]
	v_cmp_ne_u16_sdwa s[94:95], v12, v53 src0_sel:BYTE_0 src1_sel:DWORD
	s_and_saveexec_b64 s[92:93], s[94:95]
	s_cbranch_execz .LBB4_1195
; %bb.1190:                             ;   in Loop: Header=BB4_126 Depth=2
	v_cmp_ne_u16_sdwa vcc, v12, s53 src0_sel:BYTE_0 src1_sel:DWORD
	v_bfrev_b32_e32 v3, 1
	s_and_saveexec_b64 s[94:95], vcc
	s_cbranch_execz .LBB4_1194
; %bb.1191:                             ;   in Loop: Header=BB4_126 Depth=2
	v_and_b32_e32 v10, 0x7f, v12
	v_cmp_ne_u32_e32 vcc, s54, v10
	v_mov_b32_e32 v3, 0x7f800001
	s_and_saveexec_b64 s[30:31], vcc
	s_cbranch_execz .LBB4_1193
; %bb.1192:                             ;   in Loop: Header=BB4_126 Depth=2
	v_and_b32_e32 v3, 7, v12
	v_ffbh_u32_e32 v3, v3
	v_min_u32_e32 v3, 32, v3
	v_lshrrev_b32_e32 v11, 3, v10
	v_cmp_gt_u32_e32 vcc, 8, v10
	v_subrev_u32_e32 v10, 28, v3
	v_sub_u32_e32 v3, 29, v3
	v_cndmask_b32_e32 v10, 0, v10, vcc
	v_cndmask_b32_e32 v3, v11, v3, vcc
	v_lshlrev_b64 v[10:11], v10, v[12:13]
	v_lshlrev_b32_e32 v11, 24, v12
	v_lshlrev_b32_e32 v10, 20, v10
	v_and_b32_e32 v10, 0x700000, v10
	v_and_b32_e32 v11, 0x80000000, v11
	v_lshl_add_u32 v3, v3, 23, v43
	v_or3_b32 v3, v11, v3, v10
.LBB4_1193:                             ;   in Loop: Header=BB4_126 Depth=2
	s_or_b64 exec, exec, s[30:31]
.LBB4_1194:                             ;   in Loop: Header=BB4_126 Depth=2
	s_or_b64 exec, exec, s[94:95]
.LBB4_1195:                             ;   in Loop: Header=BB4_126 Depth=2
	s_or_b64 exec, exec, s[92:93]
	v_max_f32_e32 v3, v3, v3
	v_max_f32_e32 v2, v2, v2
	v_max_f32_e32 v2, v2, v3
	s_mov_b64 s[92:93], 0
.LBB4_1196:                             ;   in Loop: Header=BB4_126 Depth=2
	s_and_b64 vcc, exec, s[92:93]
	s_cbranch_vccz .LBB4_1210
; %bb.1197:                             ;   in Loop: Header=BB4_126 Depth=2
	v_mov_b32_e32 v3, 0
	v_mov_b32_e32 v2, 0
	s_and_saveexec_b64 s[92:93], s[22:23]
	s_cbranch_execz .LBB4_1203
; %bb.1198:                             ;   in Loop: Header=BB4_126 Depth=2
	v_cmp_ne_u16_sdwa s[94:95], v16, s53 src0_sel:BYTE_0 src1_sel:DWORD
	v_bfrev_b32_e32 v2, 1
	s_and_saveexec_b64 s[22:23], s[94:95]
	s_cbranch_execz .LBB4_1202
; %bb.1199:                             ;   in Loop: Header=BB4_126 Depth=2
	v_and_b32_e32 v10, 0x7f, v16
	v_cmp_ne_u32_e32 vcc, s54, v10
	v_mov_b32_e32 v2, 0x7f800001
	s_and_saveexec_b64 s[94:95], vcc
	s_cbranch_execz .LBB4_1201
; %bb.1200:                             ;   in Loop: Header=BB4_126 Depth=2
	v_and_b32_e32 v2, 7, v16
	v_ffbh_u32_e32 v2, v2
	v_min_u32_e32 v2, 32, v2
	v_lshrrev_b32_e32 v11, 3, v10
	v_cmp_gt_u32_e32 vcc, 8, v10
	v_subrev_u32_e32 v10, 28, v2
	v_sub_u32_e32 v2, 29, v2
	v_cndmask_b32_e32 v10, 0, v10, vcc
	v_cndmask_b32_e32 v2, v11, v2, vcc
	v_lshlrev_b64 v[10:11], v10, v[16:17]
	v_lshlrev_b32_e32 v11, 24, v16
	v_lshlrev_b32_e32 v10, 20, v10
	v_and_b32_e32 v10, 0x700000, v10
	v_and_b32_e32 v11, 0x80000000, v11
	v_lshl_add_u32 v2, v2, 23, v43
	v_or3_b32 v2, v11, v2, v10
.LBB4_1201:                             ;   in Loop: Header=BB4_126 Depth=2
	s_or_b64 exec, exec, s[94:95]
.LBB4_1202:                             ;   in Loop: Header=BB4_126 Depth=2
	s_or_b64 exec, exec, s[22:23]
.LBB4_1203:                             ;   in Loop: Header=BB4_126 Depth=2
	s_or_b64 exec, exec, s[92:93]
	v_cmp_ne_u16_sdwa s[92:93], v12, v53 src0_sel:BYTE_0 src1_sel:DWORD
	s_and_saveexec_b64 s[22:23], s[92:93]
	s_cbranch_execz .LBB4_1209
; %bb.1204:                             ;   in Loop: Header=BB4_126 Depth=2
	v_cmp_ne_u16_sdwa s[94:95], v12, s53 src0_sel:BYTE_0 src1_sel:DWORD
	v_bfrev_b32_e32 v3, 1
	s_and_saveexec_b64 s[92:93], s[94:95]
	s_cbranch_execz .LBB4_1208
; %bb.1205:                             ;   in Loop: Header=BB4_126 Depth=2
	v_and_b32_e32 v10, 0x7f, v12
	v_cmp_ne_u32_e32 vcc, s54, v10
	v_mov_b32_e32 v3, 0x7f800001
	s_and_saveexec_b64 s[94:95], vcc
	s_cbranch_execz .LBB4_1207
; %bb.1206:                             ;   in Loop: Header=BB4_126 Depth=2
	v_and_b32_e32 v3, 7, v12
	v_ffbh_u32_e32 v3, v3
	v_min_u32_e32 v3, 32, v3
	v_lshrrev_b32_e32 v11, 3, v10
	v_cmp_gt_u32_e32 vcc, 8, v10
	v_subrev_u32_e32 v10, 28, v3
	v_sub_u32_e32 v3, 29, v3
	v_cndmask_b32_e32 v10, 0, v10, vcc
	v_cndmask_b32_e32 v3, v11, v3, vcc
	v_lshlrev_b64 v[10:11], v10, v[12:13]
	v_lshlrev_b32_e32 v11, 24, v12
	v_lshlrev_b32_e32 v10, 20, v10
	v_and_b32_e32 v10, 0x700000, v10
	v_and_b32_e32 v11, 0x80000000, v11
	v_lshl_add_u32 v3, v3, 23, v43
	v_or3_b32 v3, v11, v3, v10
.LBB4_1207:                             ;   in Loop: Header=BB4_126 Depth=2
	s_or_b64 exec, exec, s[94:95]
.LBB4_1208:                             ;   in Loop: Header=BB4_126 Depth=2
	s_or_b64 exec, exec, s[92:93]
.LBB4_1209:                             ;   in Loop: Header=BB4_126 Depth=2
	s_or_b64 exec, exec, s[22:23]
	v_max_f32_e32 v3, v3, v3
	v_max_f32_e32 v2, v2, v2
	v_min_f32_e32 v2, v2, v3
.LBB4_1210:                             ;   in Loop: Header=BB4_126 Depth=2
	v_and_b32_e32 v52, 0x7f800000, v2
	v_cmp_ne_u64_e32 vcc, s[72:73], v[52:53]
                                        ; implicit-def: $vgpr19
	s_and_saveexec_b64 s[22:23], vcc
	s_xor_b64 s[92:93], exec, s[22:23]
	s_cbranch_execz .LBB4_1224
; %bb.1211:                             ;   in Loop: Header=BB4_126 Depth=2
	v_and_b32_e32 v52, 0x7fffffff, v2
	v_cmp_gt_u64_e32 vcc, s[74:75], v[52:53]
	v_and_b32_sdwa v14, v2, s53 dst_sel:DWORD dst_unused:UNUSED_PAD src0_sel:BYTE_3 src1_sel:DWORD
                                        ; implicit-def: $vgpr19
	s_and_saveexec_b64 s[22:23], vcc
	s_xor_b64 s[94:95], exec, s[22:23]
	s_cbranch_execz .LBB4_1221
; %bb.1212:                             ;   in Loop: Header=BB4_126 Depth=2
	v_mov_b32_e32 v19, 0
	v_cmp_ne_u32_e32 vcc, 0, v2
	s_and_saveexec_b64 s[30:31], vcc
	s_cbranch_execz .LBB4_1220
; %bb.1213:                             ;   in Loop: Header=BB4_126 Depth=2
	v_bfe_u32 v15, v2, 23, 8
	v_and_b32_e32 v3, 0x7fffff, v2
	v_cmp_gt_u32_e64 s[22:23], s64, v15
	v_sub_u32_e32 v2, 0x79, v15
	v_cmp_eq_u32_e32 vcc, 0, v15
	v_cndmask_b32_e64 v2, 0, v2, s[22:23]
	v_mov_b32_e32 v11, 0x78
	v_cndmask_b32_e32 v19, v2, v11, vcc
	v_or_b32_e32 v10, 0x800000, v3
	v_add_u32_e32 v2, 20, v19
	v_cndmask_b32_e32 v52, v10, v3, vcc
	v_lshlrev_b64 v[2:3], v2, -1
	v_add_u32_e32 v10, 19, v19
	v_lshlrev_b64 v[10:11], v10, 1
	v_bfi_b32 v3, v3, 0, 0
	v_bfi_b32 v2, v2, 0, v52
	v_cmp_eq_u64_e64 s[22:23], v[2:3], v[10:11]
	v_lshrrev_b64 v[10:11], v19, v[52:53]
	v_mov_b32_e32 v2, v10
	v_mov_b32_e32 v3, v11
	s_and_saveexec_b64 s[34:35], s[22:23]
; %bb.1214:                             ;   in Loop: Header=BB4_126 Depth=2
	v_bfe_u32 v2, v10, 20, 1
	v_add_co_u32_e64 v2, s[22:23], v10, v2
	v_add_co_u32_e64 v2, s[22:23], -1, v2
; %bb.1215:                             ;   in Loop: Header=BB4_126 Depth=2
	s_or_b64 exec, exec, s[34:35]
	v_add_u32_e32 v3, 0xffffff81, v15
	v_cndmask_b32_e32 v3, v3, v49, vcc
	v_lshrrev_b32_e32 v11, 23, v10
	v_add3_u32 v15, v19, v3, v11
	v_add_u32_e32 v3, 6, v15
	v_and_b32_e32 v2, 0xfffff, v2
	v_add_u32_e32 v52, v2, v10
	v_cmp_ne_u32_e32 vcc, 0, v3
                                        ; implicit-def: $vgpr10_vgpr11
                                        ; implicit-def: $vgpr2
	s_and_saveexec_b64 s[22:23], vcc
	s_xor_b64 s[22:23], exec, s[22:23]
; %bb.1216:                             ;   in Loop: Header=BB4_126 Depth=2
	v_cmp_lt_u64_e32 vcc, s[76:77], v[52:53]
	v_add_u32_e32 v2, 7, v15
	v_cndmask_b32_e32 v2, v3, v2, vcc
	v_cndmask_b32_e64 v3, 0, 1, vcc
	v_lshrrev_b64 v[10:11], v3, v[52:53]
; %bb.1217:                             ;   in Loop: Header=BB4_126 Depth=2
	s_andn2_saveexec_b64 s[22:23], s[22:23]
; %bb.1218:                             ;   in Loop: Header=BB4_126 Depth=2
	v_mov_b32_e32 v10, v52
	v_bfe_u32 v2, v52, 23, 1
	v_mov_b32_e32 v11, v53
; %bb.1219:                             ;   in Loop: Header=BB4_126 Depth=2
	s_or_b64 exec, exec, s[22:23]
	v_lshrrev_b64 v[10:11], 20, v[10:11]
	v_cmp_gt_i32_e32 vcc, 16, v2
	v_cndmask_b32_e32 v11, 0, v11, vcc
	v_cndmask_b32_e32 v10, 7, v10, vcc
	v_cmp_eq_u32_e32 vcc, 0, v2
	v_min_i32_e32 v2, 15, v2
	v_cmp_eq_u64_e64 s[22:23], 0, v[10:11]
	v_lshlrev_b32_e32 v2, 3, v2
	v_and_b32_e32 v2, 0xf8, v2
	v_and_or_b32 v2, v10, 7, v2
	s_and_b64 s[22:23], vcc, s[22:23]
	v_cndmask_b32_e64 v2, v2, 0, s[22:23]
	v_or_b32_e32 v19, v2, v14
.LBB4_1220:                             ;   in Loop: Header=BB4_126 Depth=2
	s_or_b64 exec, exec, s[30:31]
                                        ; implicit-def: $vgpr14
.LBB4_1221:                             ;   in Loop: Header=BB4_126 Depth=2
	s_andn2_saveexec_b64 s[22:23], s[94:95]
; %bb.1222:                             ;   in Loop: Header=BB4_126 Depth=2
	v_or_b32_e32 v19, 0x7e, v14
; %bb.1223:                             ;   in Loop: Header=BB4_126 Depth=2
	s_or_b64 exec, exec, s[22:23]
                                        ; implicit-def: $vgpr2
.LBB4_1224:                             ;   in Loop: Header=BB4_126 Depth=2
	s_andn2_saveexec_b64 s[22:23], s[92:93]
; %bb.1225:                             ;   in Loop: Header=BB4_126 Depth=2
	v_or_b32_sdwa v19, v2, s54 dst_sel:DWORD dst_unused:UNUSED_PAD src0_sel:BYTE_3 src1_sel:DWORD
; %bb.1226:                             ;   in Loop: Header=BB4_126 Depth=2
	s_or_b64 exec, exec, s[22:23]
	v_lshrrev_b16_e32 v11, 8, v16
	v_lshrrev_b16_e32 v10, 8, v12
	v_cmp_ne_u16_e64 s[22:23], 0, v11
	s_and_b64 vcc, exec, s[20:21]
	s_mov_b64 s[92:93], -1
                                        ; implicit-def: $vgpr2
	s_cbranch_vccnz .LBB4_1240
; %bb.1227:                             ;   in Loop: Header=BB4_126 Depth=2
	v_mov_b32_e32 v3, 0
	v_mov_b32_e32 v2, 0
	s_and_saveexec_b64 s[92:93], s[22:23]
	s_cbranch_execz .LBB4_1233
; %bb.1228:                             ;   in Loop: Header=BB4_126 Depth=2
	v_cmp_ne_u16_e32 vcc, s53, v11
	v_bfrev_b32_e32 v2, 1
	s_and_saveexec_b64 s[94:95], vcc
	s_cbranch_execz .LBB4_1232
; %bb.1229:                             ;   in Loop: Header=BB4_126 Depth=2
	v_and_b32_e32 v14, 0x7f, v11
	v_cmp_ne_u32_e32 vcc, s54, v14
	v_mov_b32_e32 v2, 0x7f800001
	s_and_saveexec_b64 s[30:31], vcc
	s_cbranch_execz .LBB4_1231
; %bb.1230:                             ;   in Loop: Header=BB4_126 Depth=2
	v_and_b32_e32 v2, 7, v11
	v_lshrrev_b32_e32 v27, 3, v14
	v_cmp_gt_u32_e32 vcc, 8, v14
	v_ffbh_u32_e32 v14, v2
	v_min_u32_e32 v36, 32, v14
	v_subrev_u32_e32 v14, 28, v36
	v_lshlrev_b64 v[14:15], v14, v[11:12]
	v_sub_u32_e32 v15, 29, v36
	v_and_b32_e32 v14, 7, v14
	v_cndmask_b32_e32 v15, v27, v15, vcc
	v_cndmask_b32_e32 v2, v2, v14, vcc
	v_lshlrev_b32_e32 v14, 16, v16
	v_lshlrev_b32_e32 v2, 20, v2
	v_and_b32_e32 v14, 0x80000000, v14
	v_lshl_add_u32 v15, v15, 23, v43
	v_or3_b32 v2, v14, v15, v2
.LBB4_1231:                             ;   in Loop: Header=BB4_126 Depth=2
	s_or_b64 exec, exec, s[30:31]
.LBB4_1232:                             ;   in Loop: Header=BB4_126 Depth=2
	s_or_b64 exec, exec, s[94:95]
.LBB4_1233:                             ;   in Loop: Header=BB4_126 Depth=2
	s_or_b64 exec, exec, s[92:93]
	v_cmp_ne_u16_e32 vcc, 0, v10
	s_and_saveexec_b64 s[92:93], vcc
	s_cbranch_execz .LBB4_1239
; %bb.1234:                             ;   in Loop: Header=BB4_126 Depth=2
	v_cmp_ne_u16_e32 vcc, s53, v10
	v_bfrev_b32_e32 v3, 1
	s_and_saveexec_b64 s[94:95], vcc
	s_cbranch_execz .LBB4_1238
; %bb.1235:                             ;   in Loop: Header=BB4_126 Depth=2
	v_and_b32_e32 v14, 0x7f, v10
	v_cmp_ne_u32_e32 vcc, s54, v14
	v_mov_b32_e32 v3, 0x7f800001
	s_and_saveexec_b64 s[30:31], vcc
	s_cbranch_execz .LBB4_1237
; %bb.1236:                             ;   in Loop: Header=BB4_126 Depth=2
	v_and_b32_e32 v3, 7, v10
	v_lshrrev_b32_e32 v27, 3, v14
	v_cmp_gt_u32_e32 vcc, 8, v14
	v_ffbh_u32_e32 v14, v3
	v_min_u32_e32 v36, 32, v14
	v_subrev_u32_e32 v14, 28, v36
	v_lshlrev_b64 v[14:15], v14, v[10:11]
	v_sub_u32_e32 v15, 29, v36
	v_and_b32_e32 v14, 7, v14
	v_cndmask_b32_e32 v15, v27, v15, vcc
	v_cndmask_b32_e32 v3, v3, v14, vcc
	v_lshlrev_b32_e32 v14, 16, v12
	v_lshlrev_b32_e32 v3, 20, v3
	v_and_b32_e32 v14, 0x80000000, v14
	v_lshl_add_u32 v15, v15, 23, v43
	v_or3_b32 v3, v14, v15, v3
.LBB4_1237:                             ;   in Loop: Header=BB4_126 Depth=2
	s_or_b64 exec, exec, s[30:31]
.LBB4_1238:                             ;   in Loop: Header=BB4_126 Depth=2
	s_or_b64 exec, exec, s[94:95]
.LBB4_1239:                             ;   in Loop: Header=BB4_126 Depth=2
	s_or_b64 exec, exec, s[92:93]
	v_max_f32_e32 v3, v3, v3
	v_max_f32_e32 v2, v2, v2
	;; [unrolled: 1-line block ×3, first 2 shown]
	s_mov_b64 s[92:93], 0
.LBB4_1240:                             ;   in Loop: Header=BB4_126 Depth=2
	s_and_b64 vcc, exec, s[92:93]
	s_cbranch_vccz .LBB4_1254
; %bb.1241:                             ;   in Loop: Header=BB4_126 Depth=2
	v_mov_b32_e32 v3, 0
	v_mov_b32_e32 v2, 0
	s_and_saveexec_b64 s[92:93], s[22:23]
	s_cbranch_execz .LBB4_1247
; %bb.1242:                             ;   in Loop: Header=BB4_126 Depth=2
	v_cmp_ne_u16_e32 vcc, s53, v11
	v_bfrev_b32_e32 v2, 1
	s_and_saveexec_b64 s[22:23], vcc
	s_cbranch_execz .LBB4_1246
; %bb.1243:                             ;   in Loop: Header=BB4_126 Depth=2
	v_and_b32_e32 v14, 0x7f, v11
	v_cmp_ne_u32_e32 vcc, s54, v14
	v_mov_b32_e32 v2, 0x7f800001
	s_and_saveexec_b64 s[94:95], vcc
	s_cbranch_execz .LBB4_1245
; %bb.1244:                             ;   in Loop: Header=BB4_126 Depth=2
	v_and_b32_e32 v2, 7, v11
	v_lshrrev_b32_e32 v27, 3, v14
	v_cmp_gt_u32_e32 vcc, 8, v14
	v_ffbh_u32_e32 v14, v2
	v_min_u32_e32 v36, 32, v14
	v_subrev_u32_e32 v14, 28, v36
	v_lshlrev_b64 v[14:15], v14, v[11:12]
	v_sub_u32_e32 v11, 29, v36
	v_and_b32_e32 v14, 7, v14
	v_cndmask_b32_e32 v11, v27, v11, vcc
	v_cndmask_b32_e32 v2, v2, v14, vcc
	v_lshlrev_b32_e32 v14, 16, v16
	v_lshlrev_b32_e32 v2, 20, v2
	v_and_b32_e32 v14, 0x80000000, v14
	v_lshl_add_u32 v11, v11, 23, v43
	v_or3_b32 v2, v14, v11, v2
.LBB4_1245:                             ;   in Loop: Header=BB4_126 Depth=2
	s_or_b64 exec, exec, s[94:95]
.LBB4_1246:                             ;   in Loop: Header=BB4_126 Depth=2
	s_or_b64 exec, exec, s[22:23]
.LBB4_1247:                             ;   in Loop: Header=BB4_126 Depth=2
	s_or_b64 exec, exec, s[92:93]
	v_cmp_ne_u16_e32 vcc, 0, v10
	s_and_saveexec_b64 s[22:23], vcc
	s_cbranch_execz .LBB4_1253
; %bb.1248:                             ;   in Loop: Header=BB4_126 Depth=2
	v_cmp_ne_u16_e32 vcc, s53, v10
	v_bfrev_b32_e32 v3, 1
	s_and_saveexec_b64 s[92:93], vcc
	s_cbranch_execz .LBB4_1252
; %bb.1249:                             ;   in Loop: Header=BB4_126 Depth=2
	v_and_b32_e32 v11, 0x7f, v10
	v_cmp_ne_u32_e32 vcc, s54, v11
	v_mov_b32_e32 v3, 0x7f800001
	s_and_saveexec_b64 s[94:95], vcc
	s_cbranch_execz .LBB4_1251
; %bb.1250:                             ;   in Loop: Header=BB4_126 Depth=2
	v_and_b32_e32 v3, 7, v10
	v_lshrrev_b32_e32 v14, 3, v11
	v_cmp_gt_u32_e32 vcc, 8, v11
	v_ffbh_u32_e32 v11, v3
	v_min_u32_e32 v15, 32, v11
	v_subrev_u32_e32 v11, 28, v15
	v_lshlrev_b64 v[10:11], v11, v[10:11]
	v_sub_u32_e32 v11, 29, v15
	v_and_b32_e32 v10, 7, v10
	v_cndmask_b32_e32 v11, v14, v11, vcc
	v_cndmask_b32_e32 v3, v3, v10, vcc
	v_lshlrev_b32_e32 v10, 16, v12
	v_lshlrev_b32_e32 v3, 20, v3
	v_and_b32_e32 v10, 0x80000000, v10
	v_lshl_add_u32 v11, v11, 23, v43
	v_or3_b32 v3, v10, v11, v3
.LBB4_1251:                             ;   in Loop: Header=BB4_126 Depth=2
	s_or_b64 exec, exec, s[94:95]
.LBB4_1252:                             ;   in Loop: Header=BB4_126 Depth=2
	s_or_b64 exec, exec, s[92:93]
.LBB4_1253:                             ;   in Loop: Header=BB4_126 Depth=2
	s_or_b64 exec, exec, s[22:23]
	v_max_f32_e32 v3, v3, v3
	v_max_f32_e32 v2, v2, v2
	v_min_f32_e32 v2, v2, v3
.LBB4_1254:                             ;   in Loop: Header=BB4_126 Depth=2
	v_and_b32_e32 v52, 0x7f800000, v2
	v_cmp_ne_u64_e32 vcc, s[72:73], v[52:53]
                                        ; implicit-def: $vgpr27
	s_and_saveexec_b64 s[22:23], vcc
	s_xor_b64 s[92:93], exec, s[22:23]
	s_cbranch_execz .LBB4_1268
; %bb.1255:                             ;   in Loop: Header=BB4_126 Depth=2
	v_and_b32_e32 v52, 0x7fffffff, v2
	v_cmp_gt_u64_e32 vcc, s[74:75], v[52:53]
	v_and_b32_sdwa v14, v2, s53 dst_sel:DWORD dst_unused:UNUSED_PAD src0_sel:BYTE_3 src1_sel:DWORD
                                        ; implicit-def: $vgpr27
	s_and_saveexec_b64 s[22:23], vcc
	s_xor_b64 s[94:95], exec, s[22:23]
	s_cbranch_execz .LBB4_1265
; %bb.1256:                             ;   in Loop: Header=BB4_126 Depth=2
	v_mov_b32_e32 v27, 0
	v_cmp_ne_u32_e32 vcc, 0, v2
	s_and_saveexec_b64 s[30:31], vcc
	s_cbranch_execz .LBB4_1264
; %bb.1257:                             ;   in Loop: Header=BB4_126 Depth=2
	v_bfe_u32 v15, v2, 23, 8
	v_and_b32_e32 v3, 0x7fffff, v2
	v_cmp_gt_u32_e64 s[22:23], s64, v15
	v_sub_u32_e32 v2, 0x79, v15
	v_cmp_eq_u32_e32 vcc, 0, v15
	v_cndmask_b32_e64 v2, 0, v2, s[22:23]
	v_mov_b32_e32 v11, 0x78
	v_cndmask_b32_e32 v27, v2, v11, vcc
	v_or_b32_e32 v10, 0x800000, v3
	v_add_u32_e32 v2, 20, v27
	v_cndmask_b32_e32 v52, v10, v3, vcc
	v_lshlrev_b64 v[2:3], v2, -1
	v_add_u32_e32 v10, 19, v27
	v_lshlrev_b64 v[10:11], v10, 1
	v_bfi_b32 v3, v3, 0, 0
	v_bfi_b32 v2, v2, 0, v52
	v_cmp_eq_u64_e64 s[22:23], v[2:3], v[10:11]
	v_lshrrev_b64 v[10:11], v27, v[52:53]
	v_mov_b32_e32 v2, v10
	v_mov_b32_e32 v3, v11
	s_and_saveexec_b64 s[34:35], s[22:23]
; %bb.1258:                             ;   in Loop: Header=BB4_126 Depth=2
	v_bfe_u32 v2, v10, 20, 1
	v_add_co_u32_e64 v2, s[22:23], v10, v2
	v_add_co_u32_e64 v2, s[22:23], -1, v2
; %bb.1259:                             ;   in Loop: Header=BB4_126 Depth=2
	s_or_b64 exec, exec, s[34:35]
	v_add_u32_e32 v3, 0xffffff81, v15
	v_cndmask_b32_e32 v3, v3, v49, vcc
	v_lshrrev_b32_e32 v11, 23, v10
	v_add3_u32 v15, v27, v3, v11
	v_add_u32_e32 v3, 6, v15
	v_and_b32_e32 v2, 0xfffff, v2
	v_add_u32_e32 v52, v2, v10
	v_cmp_ne_u32_e32 vcc, 0, v3
                                        ; implicit-def: $vgpr10_vgpr11
                                        ; implicit-def: $vgpr2
	s_and_saveexec_b64 s[22:23], vcc
	s_xor_b64 s[22:23], exec, s[22:23]
; %bb.1260:                             ;   in Loop: Header=BB4_126 Depth=2
	v_cmp_lt_u64_e32 vcc, s[76:77], v[52:53]
	v_add_u32_e32 v2, 7, v15
	v_cndmask_b32_e32 v2, v3, v2, vcc
	v_cndmask_b32_e64 v3, 0, 1, vcc
	v_lshrrev_b64 v[10:11], v3, v[52:53]
; %bb.1261:                             ;   in Loop: Header=BB4_126 Depth=2
	s_andn2_saveexec_b64 s[22:23], s[22:23]
; %bb.1262:                             ;   in Loop: Header=BB4_126 Depth=2
	v_mov_b32_e32 v10, v52
	v_bfe_u32 v2, v52, 23, 1
	v_mov_b32_e32 v11, v53
; %bb.1263:                             ;   in Loop: Header=BB4_126 Depth=2
	s_or_b64 exec, exec, s[22:23]
	v_lshrrev_b64 v[10:11], 20, v[10:11]
	v_cmp_gt_i32_e32 vcc, 16, v2
	v_cndmask_b32_e32 v11, 0, v11, vcc
	v_cndmask_b32_e32 v10, 7, v10, vcc
	v_cmp_eq_u32_e32 vcc, 0, v2
	v_min_i32_e32 v2, 15, v2
	v_cmp_eq_u64_e64 s[22:23], 0, v[10:11]
	v_lshlrev_b32_e32 v2, 3, v2
	v_and_b32_e32 v2, 0xf8, v2
	v_and_or_b32 v2, v10, 7, v2
	s_and_b64 s[22:23], vcc, s[22:23]
	v_cndmask_b32_e64 v2, v2, 0, s[22:23]
	v_or_b32_e32 v27, v2, v14
.LBB4_1264:                             ;   in Loop: Header=BB4_126 Depth=2
	s_or_b64 exec, exec, s[30:31]
                                        ; implicit-def: $vgpr14
.LBB4_1265:                             ;   in Loop: Header=BB4_126 Depth=2
	s_andn2_saveexec_b64 s[22:23], s[94:95]
; %bb.1266:                             ;   in Loop: Header=BB4_126 Depth=2
	v_or_b32_e32 v27, 0x7e, v14
; %bb.1267:                             ;   in Loop: Header=BB4_126 Depth=2
	s_or_b64 exec, exec, s[22:23]
                                        ; implicit-def: $vgpr2
.LBB4_1268:                             ;   in Loop: Header=BB4_126 Depth=2
	s_andn2_saveexec_b64 s[22:23], s[92:93]
; %bb.1269:                             ;   in Loop: Header=BB4_126 Depth=2
	v_or_b32_sdwa v27, v2, s54 dst_sel:DWORD dst_unused:UNUSED_PAD src0_sel:BYTE_3 src1_sel:DWORD
; %bb.1270:                             ;   in Loop: Header=BB4_126 Depth=2
	s_or_b64 exec, exec, s[22:23]
	v_lshrrev_b32_e32 v11, 16, v16
	v_lshrrev_b32_e32 v10, 16, v12
	v_cmp_ne_u16_sdwa s[22:23], v11, v53 src0_sel:BYTE_0 src1_sel:DWORD
	s_and_b64 vcc, exec, s[20:21]
	s_mov_b64 s[92:93], -1
                                        ; implicit-def: $vgpr2
	s_cbranch_vccnz .LBB4_1284
; %bb.1271:                             ;   in Loop: Header=BB4_126 Depth=2
	v_mov_b32_e32 v3, 0
	v_mov_b32_e32 v2, 0
	s_and_saveexec_b64 s[92:93], s[22:23]
	s_cbranch_execz .LBB4_1277
; %bb.1272:                             ;   in Loop: Header=BB4_126 Depth=2
	v_cmp_ne_u16_sdwa vcc, v11, s53 src0_sel:BYTE_0 src1_sel:DWORD
	v_bfrev_b32_e32 v2, 1
	s_and_saveexec_b64 s[94:95], vcc
	s_cbranch_execz .LBB4_1276
; %bb.1273:                             ;   in Loop: Header=BB4_126 Depth=2
	v_bfe_u32 v14, v16, 16, 7
	v_cmp_ne_u32_e32 vcc, s54, v14
	v_mov_b32_e32 v2, 0x7f800001
	s_and_saveexec_b64 s[30:31], vcc
	s_cbranch_execz .LBB4_1275
; %bb.1274:                             ;   in Loop: Header=BB4_126 Depth=2
	v_and_b32_e32 v2, 7, v11
	v_lshrrev_b32_e32 v36, 3, v14
	v_cmp_gt_u32_e32 vcc, 8, v14
	v_ffbh_u32_e32 v14, v2
	v_min_u32_e32 v37, 32, v14
	v_subrev_u32_e32 v14, 28, v37
	v_lshlrev_b64 v[14:15], v14, v[11:12]
	v_sub_u32_e32 v15, 29, v37
	v_and_b32_e32 v14, 7, v14
	v_cndmask_b32_e32 v15, v36, v15, vcc
	v_cndmask_b32_e32 v2, v2, v14, vcc
	v_lshlrev_b32_e32 v14, 24, v11
	v_lshlrev_b32_e32 v2, 20, v2
	v_and_b32_e32 v14, 0x80000000, v14
	v_lshl_add_u32 v15, v15, 23, v43
	v_or3_b32 v2, v14, v15, v2
.LBB4_1275:                             ;   in Loop: Header=BB4_126 Depth=2
	s_or_b64 exec, exec, s[30:31]
.LBB4_1276:                             ;   in Loop: Header=BB4_126 Depth=2
	s_or_b64 exec, exec, s[94:95]
.LBB4_1277:                             ;   in Loop: Header=BB4_126 Depth=2
	s_or_b64 exec, exec, s[92:93]
	v_cmp_ne_u16_sdwa s[94:95], v10, v53 src0_sel:BYTE_0 src1_sel:DWORD
	s_and_saveexec_b64 s[92:93], s[94:95]
	s_cbranch_execz .LBB4_1283
; %bb.1278:                             ;   in Loop: Header=BB4_126 Depth=2
	v_cmp_ne_u16_sdwa vcc, v10, s53 src0_sel:BYTE_0 src1_sel:DWORD
	v_bfrev_b32_e32 v3, 1
	s_and_saveexec_b64 s[94:95], vcc
	s_cbranch_execz .LBB4_1282
; %bb.1279:                             ;   in Loop: Header=BB4_126 Depth=2
	v_bfe_u32 v14, v12, 16, 7
	v_cmp_ne_u32_e32 vcc, s54, v14
	v_mov_b32_e32 v3, 0x7f800001
	s_and_saveexec_b64 s[30:31], vcc
	s_cbranch_execz .LBB4_1281
; %bb.1280:                             ;   in Loop: Header=BB4_126 Depth=2
	v_and_b32_e32 v3, 7, v10
	v_lshrrev_b32_e32 v36, 3, v14
	v_cmp_gt_u32_e32 vcc, 8, v14
	v_ffbh_u32_e32 v14, v3
	v_min_u32_e32 v37, 32, v14
	v_subrev_u32_e32 v14, 28, v37
	v_lshlrev_b64 v[14:15], v14, v[10:11]
	v_sub_u32_e32 v15, 29, v37
	v_and_b32_e32 v14, 7, v14
	v_cndmask_b32_e32 v15, v36, v15, vcc
	v_cndmask_b32_e32 v3, v3, v14, vcc
	v_lshlrev_b32_e32 v14, 24, v10
	v_lshlrev_b32_e32 v3, 20, v3
	v_and_b32_e32 v14, 0x80000000, v14
	v_lshl_add_u32 v15, v15, 23, v43
	v_or3_b32 v3, v14, v15, v3
.LBB4_1281:                             ;   in Loop: Header=BB4_126 Depth=2
	s_or_b64 exec, exec, s[30:31]
.LBB4_1282:                             ;   in Loop: Header=BB4_126 Depth=2
	s_or_b64 exec, exec, s[94:95]
.LBB4_1283:                             ;   in Loop: Header=BB4_126 Depth=2
	s_or_b64 exec, exec, s[92:93]
	v_max_f32_e32 v3, v3, v3
	v_max_f32_e32 v2, v2, v2
	;; [unrolled: 1-line block ×3, first 2 shown]
	s_mov_b64 s[92:93], 0
.LBB4_1284:                             ;   in Loop: Header=BB4_126 Depth=2
	s_and_b64 vcc, exec, s[92:93]
	s_cbranch_vccz .LBB4_1298
; %bb.1285:                             ;   in Loop: Header=BB4_126 Depth=2
	v_mov_b32_e32 v3, 0
	v_mov_b32_e32 v2, 0
	s_and_saveexec_b64 s[92:93], s[22:23]
	s_cbranch_execz .LBB4_1291
; %bb.1286:                             ;   in Loop: Header=BB4_126 Depth=2
	v_cmp_ne_u16_sdwa s[94:95], v11, s53 src0_sel:BYTE_0 src1_sel:DWORD
	v_bfrev_b32_e32 v2, 1
	s_and_saveexec_b64 s[22:23], s[94:95]
	s_cbranch_execz .LBB4_1290
; %bb.1287:                             ;   in Loop: Header=BB4_126 Depth=2
	v_bfe_u32 v14, v16, 16, 7
	v_cmp_ne_u32_e32 vcc, s54, v14
	v_mov_b32_e32 v2, 0x7f800001
	s_and_saveexec_b64 s[94:95], vcc
	s_cbranch_execz .LBB4_1289
; %bb.1288:                             ;   in Loop: Header=BB4_126 Depth=2
	v_and_b32_e32 v2, 7, v11
	v_lshrrev_b32_e32 v36, 3, v14
	v_cmp_gt_u32_e32 vcc, 8, v14
	v_ffbh_u32_e32 v14, v2
	v_min_u32_e32 v37, 32, v14
	v_subrev_u32_e32 v14, 28, v37
	v_lshlrev_b64 v[14:15], v14, v[11:12]
	v_sub_u32_e32 v15, 29, v37
	v_and_b32_e32 v14, 7, v14
	v_cndmask_b32_e32 v15, v36, v15, vcc
	v_cndmask_b32_e32 v2, v2, v14, vcc
	v_lshlrev_b32_e32 v11, 24, v11
	v_lshlrev_b32_e32 v2, 20, v2
	v_and_b32_e32 v11, 0x80000000, v11
	v_lshl_add_u32 v14, v15, 23, v43
	v_or3_b32 v2, v11, v14, v2
.LBB4_1289:                             ;   in Loop: Header=BB4_126 Depth=2
	s_or_b64 exec, exec, s[94:95]
.LBB4_1290:                             ;   in Loop: Header=BB4_126 Depth=2
	s_or_b64 exec, exec, s[22:23]
.LBB4_1291:                             ;   in Loop: Header=BB4_126 Depth=2
	s_or_b64 exec, exec, s[92:93]
	v_cmp_ne_u16_sdwa s[92:93], v10, v53 src0_sel:BYTE_0 src1_sel:DWORD
	s_and_saveexec_b64 s[22:23], s[92:93]
	s_cbranch_execz .LBB4_1297
; %bb.1292:                             ;   in Loop: Header=BB4_126 Depth=2
	v_cmp_ne_u16_sdwa s[94:95], v10, s53 src0_sel:BYTE_0 src1_sel:DWORD
	v_bfrev_b32_e32 v3, 1
	s_and_saveexec_b64 s[92:93], s[94:95]
	s_cbranch_execz .LBB4_1296
; %bb.1293:                             ;   in Loop: Header=BB4_126 Depth=2
	v_bfe_u32 v11, v12, 16, 7
	v_cmp_ne_u32_e32 vcc, s54, v11
	v_mov_b32_e32 v3, 0x7f800001
	s_and_saveexec_b64 s[94:95], vcc
	s_cbranch_execz .LBB4_1295
; %bb.1294:                             ;   in Loop: Header=BB4_126 Depth=2
	v_and_b32_e32 v3, 7, v10
	v_lshrrev_b32_e32 v36, 3, v11
	v_cmp_gt_u32_e32 vcc, 8, v11
	v_ffbh_u32_e32 v11, v3
	v_min_u32_e32 v11, 32, v11
	v_subrev_u32_e32 v14, 28, v11
	v_lshlrev_b64 v[14:15], v14, v[10:11]
	v_sub_u32_e32 v11, 29, v11
	v_and_b32_e32 v14, 7, v14
	v_cndmask_b32_e32 v11, v36, v11, vcc
	v_cndmask_b32_e32 v3, v3, v14, vcc
	v_lshlrev_b32_e32 v10, 24, v10
	v_lshlrev_b32_e32 v3, 20, v3
	v_and_b32_e32 v10, 0x80000000, v10
	v_lshl_add_u32 v11, v11, 23, v43
	v_or3_b32 v3, v10, v11, v3
.LBB4_1295:                             ;   in Loop: Header=BB4_126 Depth=2
	s_or_b64 exec, exec, s[94:95]
.LBB4_1296:                             ;   in Loop: Header=BB4_126 Depth=2
	s_or_b64 exec, exec, s[92:93]
.LBB4_1297:                             ;   in Loop: Header=BB4_126 Depth=2
	s_or_b64 exec, exec, s[22:23]
	v_max_f32_e32 v3, v3, v3
	v_max_f32_e32 v2, v2, v2
	v_min_f32_e32 v2, v2, v3
.LBB4_1298:                             ;   in Loop: Header=BB4_126 Depth=2
	v_and_b32_e32 v52, 0x7f800000, v2
	v_cmp_ne_u64_e32 vcc, s[72:73], v[52:53]
                                        ; implicit-def: $vgpr51
	s_and_saveexec_b64 s[22:23], vcc
	s_xor_b64 s[92:93], exec, s[22:23]
	s_cbranch_execz .LBB4_1312
; %bb.1299:                             ;   in Loop: Header=BB4_126 Depth=2
	v_and_b32_e32 v52, 0x7fffffff, v2
	v_cmp_gt_u64_e32 vcc, s[74:75], v[52:53]
	v_and_b32_sdwa v14, v2, s53 dst_sel:DWORD dst_unused:UNUSED_PAD src0_sel:BYTE_3 src1_sel:DWORD
                                        ; implicit-def: $vgpr51
	s_and_saveexec_b64 s[22:23], vcc
	s_xor_b64 s[94:95], exec, s[22:23]
	s_cbranch_execz .LBB4_1309
; %bb.1300:                             ;   in Loop: Header=BB4_126 Depth=2
	v_mov_b32_e32 v51, 0
	v_cmp_ne_u32_e32 vcc, 0, v2
	s_and_saveexec_b64 s[30:31], vcc
	s_cbranch_execz .LBB4_1308
; %bb.1301:                             ;   in Loop: Header=BB4_126 Depth=2
	v_bfe_u32 v15, v2, 23, 8
	v_and_b32_e32 v3, 0x7fffff, v2
	v_cmp_gt_u32_e64 s[22:23], s64, v15
	v_sub_u32_e32 v2, 0x79, v15
	v_cmp_eq_u32_e32 vcc, 0, v15
	v_cndmask_b32_e64 v2, 0, v2, s[22:23]
	v_mov_b32_e32 v11, 0x78
	v_cndmask_b32_e32 v48, v2, v11, vcc
	v_or_b32_e32 v10, 0x800000, v3
	v_add_u32_e32 v2, 20, v48
	v_cndmask_b32_e32 v52, v10, v3, vcc
	v_lshlrev_b64 v[2:3], v2, -1
	v_add_u32_e32 v10, 19, v48
	v_lshlrev_b64 v[10:11], v10, 1
	v_bfi_b32 v3, v3, 0, 0
	v_bfi_b32 v2, v2, 0, v52
	v_cmp_eq_u64_e64 s[22:23], v[2:3], v[10:11]
	v_lshrrev_b64 v[10:11], v48, v[52:53]
	v_mov_b32_e32 v2, v10
	v_mov_b32_e32 v3, v11
	s_and_saveexec_b64 s[34:35], s[22:23]
; %bb.1302:                             ;   in Loop: Header=BB4_126 Depth=2
	v_bfe_u32 v2, v10, 20, 1
	v_add_co_u32_e64 v2, s[22:23], v10, v2
	v_add_co_u32_e64 v2, s[22:23], -1, v2
; %bb.1303:                             ;   in Loop: Header=BB4_126 Depth=2
	s_or_b64 exec, exec, s[34:35]
	v_add_u32_e32 v3, 0xffffff81, v15
	v_cndmask_b32_e32 v3, v3, v49, vcc
	v_lshrrev_b32_e32 v11, 23, v10
	v_add3_u32 v15, v48, v3, v11
	v_add_u32_e32 v3, 6, v15
	v_and_b32_e32 v2, 0xfffff, v2
	v_add_u32_e32 v52, v2, v10
	v_cmp_ne_u32_e32 vcc, 0, v3
                                        ; implicit-def: $vgpr10_vgpr11
                                        ; implicit-def: $vgpr2
	s_and_saveexec_b64 s[22:23], vcc
	s_xor_b64 s[22:23], exec, s[22:23]
; %bb.1304:                             ;   in Loop: Header=BB4_126 Depth=2
	v_cmp_lt_u64_e32 vcc, s[76:77], v[52:53]
	v_add_u32_e32 v2, 7, v15
	v_cndmask_b32_e32 v2, v3, v2, vcc
	v_cndmask_b32_e64 v3, 0, 1, vcc
	v_lshrrev_b64 v[10:11], v3, v[52:53]
; %bb.1305:                             ;   in Loop: Header=BB4_126 Depth=2
	s_andn2_saveexec_b64 s[22:23], s[22:23]
; %bb.1306:                             ;   in Loop: Header=BB4_126 Depth=2
	v_mov_b32_e32 v10, v52
	v_bfe_u32 v2, v52, 23, 1
	v_mov_b32_e32 v11, v53
; %bb.1307:                             ;   in Loop: Header=BB4_126 Depth=2
	s_or_b64 exec, exec, s[22:23]
	v_lshrrev_b64 v[10:11], 20, v[10:11]
	v_cmp_gt_i32_e32 vcc, 16, v2
	v_cndmask_b32_e32 v11, 0, v11, vcc
	v_cndmask_b32_e32 v10, 7, v10, vcc
	v_cmp_eq_u32_e32 vcc, 0, v2
	v_min_i32_e32 v2, 15, v2
	v_cmp_eq_u64_e64 s[22:23], 0, v[10:11]
	v_lshlrev_b32_e32 v2, 3, v2
	v_and_b32_e32 v2, 0xf8, v2
	v_and_or_b32 v2, v10, 7, v2
	s_and_b64 s[22:23], vcc, s[22:23]
	v_cndmask_b32_e64 v2, v2, 0, s[22:23]
	v_or_b32_e32 v51, v2, v14
.LBB4_1308:                             ;   in Loop: Header=BB4_126 Depth=2
	s_or_b64 exec, exec, s[30:31]
                                        ; implicit-def: $vgpr14
.LBB4_1309:                             ;   in Loop: Header=BB4_126 Depth=2
	s_andn2_saveexec_b64 s[22:23], s[94:95]
; %bb.1310:                             ;   in Loop: Header=BB4_126 Depth=2
	v_or_b32_e32 v51, 0x7e, v14
; %bb.1311:                             ;   in Loop: Header=BB4_126 Depth=2
	s_or_b64 exec, exec, s[22:23]
                                        ; implicit-def: $vgpr2
.LBB4_1312:                             ;   in Loop: Header=BB4_126 Depth=2
	s_andn2_saveexec_b64 s[22:23], s[92:93]
; %bb.1313:                             ;   in Loop: Header=BB4_126 Depth=2
	v_or_b32_sdwa v51, v2, s54 dst_sel:DWORD dst_unused:UNUSED_PAD src0_sel:BYTE_3 src1_sel:DWORD
; %bb.1314:                             ;   in Loop: Header=BB4_126 Depth=2
	s_or_b64 exec, exec, s[22:23]
	v_lshrrev_b32_e32 v11, 24, v16
	v_lshrrev_b32_e32 v10, 24, v12
	v_cmp_lt_u32_e64 s[22:23], s79, v16
	s_and_b64 vcc, exec, s[20:21]
	s_mov_b64 s[92:93], -1
                                        ; implicit-def: $vgpr2
	s_cbranch_vccnz .LBB4_1328
; %bb.1315:                             ;   in Loop: Header=BB4_126 Depth=2
	v_mov_b32_e32 v3, 0
	v_mov_b32_e32 v2, 0
	s_and_saveexec_b64 s[92:93], s[22:23]
	s_cbranch_execz .LBB4_1321
; %bb.1316:                             ;   in Loop: Header=BB4_126 Depth=2
	v_cmp_ne_u32_e32 vcc, s53, v11
	v_bfrev_b32_e32 v2, 1
	s_and_saveexec_b64 s[94:95], vcc
	s_cbranch_execz .LBB4_1320
; %bb.1317:                             ;   in Loop: Header=BB4_126 Depth=2
	v_bfe_u32 v14, v16, 24, 7
	v_cmp_ne_u32_e32 vcc, s54, v14
	v_mov_b32_e32 v2, 0x7f800001
	s_and_saveexec_b64 s[30:31], vcc
	s_cbranch_execz .LBB4_1319
; %bb.1318:                             ;   in Loop: Header=BB4_126 Depth=2
	v_and_b32_e32 v2, 7, v11
	v_lshrrev_b32_e32 v36, 3, v14
	v_cmp_gt_u32_e32 vcc, 8, v14
	v_ffbh_u32_e32 v14, v2
	v_min_u32_e32 v37, 32, v14
	v_subrev_u32_e32 v14, 28, v37
	v_lshlrev_b64 v[14:15], v14, v[11:12]
	v_sub_u32_e32 v15, 29, v37
	v_and_b32_e32 v14, 7, v14
	v_cndmask_b32_e32 v15, v36, v15, vcc
	v_cndmask_b32_e32 v2, v2, v14, vcc
	v_lshlrev_b32_e32 v14, 24, v11
	v_lshlrev_b32_e32 v2, 20, v2
	v_and_b32_e32 v14, 0x80000000, v14
	v_lshl_add_u32 v15, v15, 23, v43
	v_or3_b32 v2, v14, v15, v2
.LBB4_1319:                             ;   in Loop: Header=BB4_126 Depth=2
	s_or_b64 exec, exec, s[30:31]
.LBB4_1320:                             ;   in Loop: Header=BB4_126 Depth=2
	s_or_b64 exec, exec, s[94:95]
.LBB4_1321:                             ;   in Loop: Header=BB4_126 Depth=2
	s_or_b64 exec, exec, s[92:93]
	v_cmp_lt_u32_e32 vcc, s79, v12
	s_and_saveexec_b64 s[92:93], vcc
	s_cbranch_execz .LBB4_1327
; %bb.1322:                             ;   in Loop: Header=BB4_126 Depth=2
	v_cmp_ne_u32_e32 vcc, s53, v10
	v_bfrev_b32_e32 v3, 1
	s_and_saveexec_b64 s[94:95], vcc
	s_cbranch_execz .LBB4_1326
; %bb.1323:                             ;   in Loop: Header=BB4_126 Depth=2
	v_bfe_u32 v14, v12, 24, 7
	v_cmp_ne_u32_e32 vcc, s54, v14
	v_mov_b32_e32 v3, 0x7f800001
	s_and_saveexec_b64 s[30:31], vcc
	s_cbranch_execz .LBB4_1325
; %bb.1324:                             ;   in Loop: Header=BB4_126 Depth=2
	v_and_b32_e32 v3, 7, v10
	v_lshrrev_b32_e32 v36, 3, v14
	v_cmp_gt_u32_e32 vcc, 8, v14
	v_ffbh_u32_e32 v14, v3
	v_min_u32_e32 v37, 32, v14
	v_subrev_u32_e32 v14, 28, v37
	v_lshlrev_b64 v[14:15], v14, v[10:11]
	v_sub_u32_e32 v15, 29, v37
	v_and_b32_e32 v14, 7, v14
	v_cndmask_b32_e32 v15, v36, v15, vcc
	v_cndmask_b32_e32 v3, v3, v14, vcc
	v_lshlrev_b32_e32 v14, 24, v10
	v_lshlrev_b32_e32 v3, 20, v3
	v_and_b32_e32 v14, 0x80000000, v14
	v_lshl_add_u32 v15, v15, 23, v43
	v_or3_b32 v3, v14, v15, v3
.LBB4_1325:                             ;   in Loop: Header=BB4_126 Depth=2
	s_or_b64 exec, exec, s[30:31]
.LBB4_1326:                             ;   in Loop: Header=BB4_126 Depth=2
	s_or_b64 exec, exec, s[94:95]
.LBB4_1327:                             ;   in Loop: Header=BB4_126 Depth=2
	s_or_b64 exec, exec, s[92:93]
	v_max_f32_e32 v3, v3, v3
	v_max_f32_e32 v2, v2, v2
	;; [unrolled: 1-line block ×3, first 2 shown]
	s_mov_b64 s[92:93], 0
.LBB4_1328:                             ;   in Loop: Header=BB4_126 Depth=2
	s_and_b64 vcc, exec, s[92:93]
	s_cbranch_vccz .LBB4_1342
; %bb.1329:                             ;   in Loop: Header=BB4_126 Depth=2
	v_mov_b32_e32 v3, 0
	v_mov_b32_e32 v2, 0
	s_and_saveexec_b64 s[92:93], s[22:23]
	s_cbranch_execz .LBB4_1335
; %bb.1330:                             ;   in Loop: Header=BB4_126 Depth=2
	v_cmp_ne_u32_e32 vcc, s53, v11
	v_bfrev_b32_e32 v2, 1
	s_and_saveexec_b64 s[22:23], vcc
	s_cbranch_execz .LBB4_1334
; %bb.1331:                             ;   in Loop: Header=BB4_126 Depth=2
	v_bfe_u32 v14, v16, 24, 7
	v_cmp_ne_u32_e32 vcc, s54, v14
	v_mov_b32_e32 v2, 0x7f800001
	s_and_saveexec_b64 s[94:95], vcc
	s_cbranch_execz .LBB4_1333
; %bb.1332:                             ;   in Loop: Header=BB4_126 Depth=2
	v_and_b32_e32 v2, 7, v11
	v_lshrrev_b32_e32 v36, 3, v14
	v_cmp_gt_u32_e32 vcc, 8, v14
	v_ffbh_u32_e32 v14, v2
	v_min_u32_e32 v37, 32, v14
	v_subrev_u32_e32 v14, 28, v37
	v_lshlrev_b64 v[14:15], v14, v[11:12]
	v_sub_u32_e32 v15, 29, v37
	v_and_b32_e32 v14, 7, v14
	v_cndmask_b32_e32 v15, v36, v15, vcc
	v_cndmask_b32_e32 v2, v2, v14, vcc
	v_lshlrev_b32_e32 v11, 24, v11
	v_lshlrev_b32_e32 v2, 20, v2
	v_and_b32_e32 v11, 0x80000000, v11
	v_lshl_add_u32 v14, v15, 23, v43
	v_or3_b32 v2, v11, v14, v2
.LBB4_1333:                             ;   in Loop: Header=BB4_126 Depth=2
	s_or_b64 exec, exec, s[94:95]
.LBB4_1334:                             ;   in Loop: Header=BB4_126 Depth=2
	s_or_b64 exec, exec, s[22:23]
.LBB4_1335:                             ;   in Loop: Header=BB4_126 Depth=2
	s_or_b64 exec, exec, s[92:93]
	v_cmp_lt_u32_e32 vcc, s79, v12
	s_and_saveexec_b64 s[22:23], vcc
	s_cbranch_execz .LBB4_1341
; %bb.1336:                             ;   in Loop: Header=BB4_126 Depth=2
	v_cmp_ne_u32_e32 vcc, s53, v10
	v_bfrev_b32_e32 v3, 1
	s_and_saveexec_b64 s[92:93], vcc
	s_cbranch_execz .LBB4_1340
; %bb.1337:                             ;   in Loop: Header=BB4_126 Depth=2
	v_bfe_u32 v11, v12, 24, 7
	v_cmp_ne_u32_e32 vcc, s54, v11
	v_mov_b32_e32 v3, 0x7f800001
	s_and_saveexec_b64 s[94:95], vcc
	s_cbranch_execz .LBB4_1339
; %bb.1338:                             ;   in Loop: Header=BB4_126 Depth=2
	v_and_b32_e32 v3, 7, v10
	v_lshrrev_b32_e32 v36, 3, v11
	v_cmp_gt_u32_e32 vcc, 8, v11
	v_ffbh_u32_e32 v11, v3
	v_min_u32_e32 v11, 32, v11
	v_subrev_u32_e32 v14, 28, v11
	v_lshlrev_b64 v[14:15], v14, v[10:11]
	v_sub_u32_e32 v11, 29, v11
	v_and_b32_e32 v14, 7, v14
	v_cndmask_b32_e32 v11, v36, v11, vcc
	v_cndmask_b32_e32 v3, v3, v14, vcc
	v_lshlrev_b32_e32 v10, 24, v10
	v_lshlrev_b32_e32 v3, 20, v3
	v_and_b32_e32 v10, 0x80000000, v10
	v_lshl_add_u32 v11, v11, 23, v43
	v_or3_b32 v3, v10, v11, v3
.LBB4_1339:                             ;   in Loop: Header=BB4_126 Depth=2
	s_or_b64 exec, exec, s[94:95]
.LBB4_1340:                             ;   in Loop: Header=BB4_126 Depth=2
	s_or_b64 exec, exec, s[92:93]
.LBB4_1341:                             ;   in Loop: Header=BB4_126 Depth=2
	s_or_b64 exec, exec, s[22:23]
	v_max_f32_e32 v3, v3, v3
	v_max_f32_e32 v2, v2, v2
	v_min_f32_e32 v2, v2, v3
.LBB4_1342:                             ;   in Loop: Header=BB4_126 Depth=2
	v_and_b32_e32 v52, 0x7f800000, v2
	v_cmp_ne_u64_e32 vcc, s[72:73], v[52:53]
                                        ; implicit-def: $vgpr44
	s_and_saveexec_b64 s[22:23], vcc
	s_xor_b64 s[92:93], exec, s[22:23]
	s_cbranch_execz .LBB4_1356
; %bb.1343:                             ;   in Loop: Header=BB4_126 Depth=2
	v_and_b32_e32 v52, 0x7fffffff, v2
	v_cmp_gt_u64_e32 vcc, s[74:75], v[52:53]
	v_and_b32_sdwa v14, v2, s53 dst_sel:DWORD dst_unused:UNUSED_PAD src0_sel:BYTE_3 src1_sel:DWORD
                                        ; implicit-def: $vgpr44
	s_and_saveexec_b64 s[22:23], vcc
	s_xor_b64 s[94:95], exec, s[22:23]
	s_cbranch_execz .LBB4_1353
; %bb.1344:                             ;   in Loop: Header=BB4_126 Depth=2
	v_mov_b32_e32 v44, 0
	v_cmp_ne_u32_e32 vcc, 0, v2
	s_and_saveexec_b64 s[30:31], vcc
	s_cbranch_execz .LBB4_1352
; %bb.1345:                             ;   in Loop: Header=BB4_126 Depth=2
	v_bfe_u32 v15, v2, 23, 8
	v_and_b32_e32 v3, 0x7fffff, v2
	v_cmp_gt_u32_e64 s[22:23], s64, v15
	v_sub_u32_e32 v2, 0x79, v15
	v_cmp_eq_u32_e32 vcc, 0, v15
	v_cndmask_b32_e64 v2, 0, v2, s[22:23]
	v_mov_b32_e32 v11, 0x78
	v_cndmask_b32_e32 v48, v2, v11, vcc
	v_or_b32_e32 v10, 0x800000, v3
	v_add_u32_e32 v2, 20, v48
	v_cndmask_b32_e32 v52, v10, v3, vcc
	v_lshlrev_b64 v[2:3], v2, -1
	v_add_u32_e32 v10, 19, v48
	v_lshlrev_b64 v[10:11], v10, 1
	v_bfi_b32 v3, v3, 0, 0
	v_bfi_b32 v2, v2, 0, v52
	v_cmp_eq_u64_e64 s[22:23], v[2:3], v[10:11]
	v_lshrrev_b64 v[10:11], v48, v[52:53]
	v_mov_b32_e32 v2, v10
	v_mov_b32_e32 v3, v11
	s_and_saveexec_b64 s[34:35], s[22:23]
; %bb.1346:                             ;   in Loop: Header=BB4_126 Depth=2
	v_bfe_u32 v2, v10, 20, 1
	v_add_co_u32_e64 v2, s[22:23], v10, v2
	v_add_co_u32_e64 v2, s[22:23], -1, v2
; %bb.1347:                             ;   in Loop: Header=BB4_126 Depth=2
	s_or_b64 exec, exec, s[34:35]
	v_add_u32_e32 v3, 0xffffff81, v15
	v_cndmask_b32_e32 v3, v3, v49, vcc
	v_lshrrev_b32_e32 v11, 23, v10
	v_add3_u32 v15, v48, v3, v11
	v_add_u32_e32 v3, 6, v15
	v_and_b32_e32 v2, 0xfffff, v2
	v_add_u32_e32 v52, v2, v10
	v_cmp_ne_u32_e32 vcc, 0, v3
                                        ; implicit-def: $vgpr10_vgpr11
                                        ; implicit-def: $vgpr2
	s_and_saveexec_b64 s[22:23], vcc
	s_xor_b64 s[22:23], exec, s[22:23]
; %bb.1348:                             ;   in Loop: Header=BB4_126 Depth=2
	v_cmp_lt_u64_e32 vcc, s[76:77], v[52:53]
	v_add_u32_e32 v2, 7, v15
	v_cndmask_b32_e32 v2, v3, v2, vcc
	v_cndmask_b32_e64 v3, 0, 1, vcc
	v_lshrrev_b64 v[10:11], v3, v[52:53]
; %bb.1349:                             ;   in Loop: Header=BB4_126 Depth=2
	s_andn2_saveexec_b64 s[22:23], s[22:23]
; %bb.1350:                             ;   in Loop: Header=BB4_126 Depth=2
	v_mov_b32_e32 v10, v52
	v_bfe_u32 v2, v52, 23, 1
	v_mov_b32_e32 v11, v53
; %bb.1351:                             ;   in Loop: Header=BB4_126 Depth=2
	s_or_b64 exec, exec, s[22:23]
	v_lshrrev_b64 v[10:11], 20, v[10:11]
	v_cmp_gt_i32_e32 vcc, 16, v2
	v_cndmask_b32_e32 v11, 0, v11, vcc
	v_cndmask_b32_e32 v10, 7, v10, vcc
	v_cmp_eq_u32_e32 vcc, 0, v2
	v_min_i32_e32 v2, 15, v2
	v_cmp_eq_u64_e64 s[22:23], 0, v[10:11]
	v_lshlrev_b32_e32 v2, 3, v2
	v_and_b32_e32 v2, 0xf8, v2
	v_and_or_b32 v2, v10, 7, v2
	s_and_b64 s[22:23], vcc, s[22:23]
	v_cndmask_b32_e64 v2, v2, 0, s[22:23]
	v_or_b32_e32 v44, v2, v14
.LBB4_1352:                             ;   in Loop: Header=BB4_126 Depth=2
	s_or_b64 exec, exec, s[30:31]
                                        ; implicit-def: $vgpr14
.LBB4_1353:                             ;   in Loop: Header=BB4_126 Depth=2
	s_andn2_saveexec_b64 s[22:23], s[94:95]
; %bb.1354:                             ;   in Loop: Header=BB4_126 Depth=2
	v_or_b32_e32 v44, 0x7e, v14
; %bb.1355:                             ;   in Loop: Header=BB4_126 Depth=2
	s_or_b64 exec, exec, s[22:23]
                                        ; implicit-def: $vgpr2
.LBB4_1356:                             ;   in Loop: Header=BB4_126 Depth=2
	s_andn2_saveexec_b64 s[22:23], s[92:93]
; %bb.1357:                             ;   in Loop: Header=BB4_126 Depth=2
	v_or_b32_sdwa v44, v2, s54 dst_sel:DWORD dst_unused:UNUSED_PAD src0_sel:BYTE_3 src1_sel:DWORD
; %bb.1358:                             ;   in Loop: Header=BB4_126 Depth=2
	s_or_b64 exec, exec, s[22:23]
	v_mov_b32_e32 v52, v17
	v_mov_b32_e32 v10, v13
	;; [unrolled: 1-line block ×3, first 2 shown]
	v_cmp_ne_u16_sdwa s[22:23], v17, v53 src0_sel:BYTE_0 src1_sel:DWORD
	s_and_b64 vcc, exec, s[20:21]
	s_mov_b64 s[92:93], -1
                                        ; implicit-def: $vgpr2
	s_cbranch_vccnz .LBB4_1372
; %bb.1359:                             ;   in Loop: Header=BB4_126 Depth=2
	v_mov_b32_e32 v3, 0
	v_mov_b32_e32 v2, 0
	s_and_saveexec_b64 s[92:93], s[22:23]
	s_cbranch_execz .LBB4_1365
; %bb.1360:                             ;   in Loop: Header=BB4_126 Depth=2
	v_cmp_ne_u16_sdwa vcc, v17, s53 src0_sel:BYTE_0 src1_sel:DWORD
	v_bfrev_b32_e32 v2, 1
	s_and_saveexec_b64 s[94:95], vcc
	s_cbranch_execz .LBB4_1364
; %bb.1361:                             ;   in Loop: Header=BB4_126 Depth=2
	v_and_b32_e32 v14, 0x7f, v17
	v_cmp_ne_u32_e32 vcc, s54, v14
	v_mov_b32_e32 v2, 0x7f800001
	s_and_saveexec_b64 s[30:31], vcc
	s_cbranch_execz .LBB4_1363
; %bb.1362:                             ;   in Loop: Header=BB4_126 Depth=2
	v_and_b32_e32 v2, 7, v17
	v_ffbh_u32_e32 v2, v2
	v_min_u32_e32 v2, 32, v2
	v_lshrrev_b32_e32 v15, 3, v14
	v_cmp_gt_u32_e32 vcc, 8, v14
	v_subrev_u32_e32 v14, 28, v2
	v_sub_u32_e32 v2, 29, v2
	v_cndmask_b32_e32 v14, 0, v14, vcc
	v_cndmask_b32_e32 v2, v15, v2, vcc
	v_lshlrev_b64 v[14:15], v14, v[52:53]
	v_lshlrev_b32_e32 v15, 24, v52
	v_lshlrev_b32_e32 v14, 20, v14
	v_and_b32_e32 v14, 0x700000, v14
	v_and_b32_e32 v15, 0x80000000, v15
	v_lshl_add_u32 v2, v2, 23, v43
	v_or3_b32 v2, v15, v2, v14
.LBB4_1363:                             ;   in Loop: Header=BB4_126 Depth=2
	s_or_b64 exec, exec, s[30:31]
.LBB4_1364:                             ;   in Loop: Header=BB4_126 Depth=2
	s_or_b64 exec, exec, s[94:95]
.LBB4_1365:                             ;   in Loop: Header=BB4_126 Depth=2
	s_or_b64 exec, exec, s[92:93]
	v_cmp_ne_u16_sdwa s[94:95], v13, v53 src0_sel:BYTE_0 src1_sel:DWORD
	s_and_saveexec_b64 s[92:93], s[94:95]
	s_cbranch_execz .LBB4_1371
; %bb.1366:                             ;   in Loop: Header=BB4_126 Depth=2
	v_cmp_ne_u16_sdwa vcc, v13, s53 src0_sel:BYTE_0 src1_sel:DWORD
	v_bfrev_b32_e32 v3, 1
	s_and_saveexec_b64 s[94:95], vcc
	s_cbranch_execz .LBB4_1370
; %bb.1367:                             ;   in Loop: Header=BB4_126 Depth=2
	v_and_b32_e32 v14, 0x7f, v13
	v_cmp_ne_u32_e32 vcc, s54, v14
	v_mov_b32_e32 v3, 0x7f800001
	s_and_saveexec_b64 s[30:31], vcc
	s_cbranch_execz .LBB4_1369
; %bb.1368:                             ;   in Loop: Header=BB4_126 Depth=2
	v_and_b32_e32 v3, 7, v13
	v_ffbh_u32_e32 v3, v3
	v_min_u32_e32 v3, 32, v3
	v_lshrrev_b32_e32 v15, 3, v14
	v_cmp_gt_u32_e32 vcc, 8, v14
	v_subrev_u32_e32 v14, 28, v3
	v_sub_u32_e32 v3, 29, v3
	v_cndmask_b32_e32 v14, 0, v14, vcc
	v_cndmask_b32_e32 v3, v15, v3, vcc
	v_lshlrev_b64 v[14:15], v14, v[10:11]
	v_lshlrev_b32_e32 v15, 24, v10
	v_lshlrev_b32_e32 v14, 20, v14
	v_and_b32_e32 v14, 0x700000, v14
	v_and_b32_e32 v15, 0x80000000, v15
	v_lshl_add_u32 v3, v3, 23, v43
	v_or3_b32 v3, v15, v3, v14
.LBB4_1369:                             ;   in Loop: Header=BB4_126 Depth=2
	s_or_b64 exec, exec, s[30:31]
.LBB4_1370:                             ;   in Loop: Header=BB4_126 Depth=2
	s_or_b64 exec, exec, s[94:95]
.LBB4_1371:                             ;   in Loop: Header=BB4_126 Depth=2
	s_or_b64 exec, exec, s[92:93]
	v_max_f32_e32 v3, v3, v3
	v_max_f32_e32 v2, v2, v2
	;; [unrolled: 1-line block ×3, first 2 shown]
	s_mov_b64 s[92:93], 0
.LBB4_1372:                             ;   in Loop: Header=BB4_126 Depth=2
	s_and_b64 vcc, exec, s[92:93]
	s_cbranch_vccz .LBB4_1386
; %bb.1373:                             ;   in Loop: Header=BB4_126 Depth=2
	v_mov_b32_e32 v3, 0
	v_mov_b32_e32 v2, 0
	s_and_saveexec_b64 s[92:93], s[22:23]
	s_cbranch_execz .LBB4_1379
; %bb.1374:                             ;   in Loop: Header=BB4_126 Depth=2
	v_cmp_ne_u16_sdwa s[94:95], v17, s53 src0_sel:BYTE_0 src1_sel:DWORD
	v_bfrev_b32_e32 v2, 1
	s_and_saveexec_b64 s[22:23], s[94:95]
	s_cbranch_execz .LBB4_1378
; %bb.1375:                             ;   in Loop: Header=BB4_126 Depth=2
	v_and_b32_e32 v14, 0x7f, v17
	v_cmp_ne_u32_e32 vcc, s54, v14
	v_mov_b32_e32 v2, 0x7f800001
	s_and_saveexec_b64 s[94:95], vcc
	s_cbranch_execz .LBB4_1377
; %bb.1376:                             ;   in Loop: Header=BB4_126 Depth=2
	v_and_b32_e32 v2, 7, v17
	v_ffbh_u32_e32 v2, v2
	v_min_u32_e32 v2, 32, v2
	v_lshrrev_b32_e32 v15, 3, v14
	v_cmp_gt_u32_e32 vcc, 8, v14
	v_subrev_u32_e32 v14, 28, v2
	v_sub_u32_e32 v2, 29, v2
	v_cndmask_b32_e32 v14, 0, v14, vcc
	v_cndmask_b32_e32 v2, v15, v2, vcc
	v_lshlrev_b64 v[14:15], v14, v[52:53]
	v_lshlrev_b32_e32 v15, 24, v52
	v_lshlrev_b32_e32 v14, 20, v14
	v_and_b32_e32 v14, 0x700000, v14
	v_and_b32_e32 v15, 0x80000000, v15
	v_lshl_add_u32 v2, v2, 23, v43
	v_or3_b32 v2, v15, v2, v14
.LBB4_1377:                             ;   in Loop: Header=BB4_126 Depth=2
	s_or_b64 exec, exec, s[94:95]
.LBB4_1378:                             ;   in Loop: Header=BB4_126 Depth=2
	s_or_b64 exec, exec, s[22:23]
.LBB4_1379:                             ;   in Loop: Header=BB4_126 Depth=2
	s_or_b64 exec, exec, s[92:93]
	v_cmp_ne_u16_sdwa s[92:93], v13, v53 src0_sel:BYTE_0 src1_sel:DWORD
	s_and_saveexec_b64 s[22:23], s[92:93]
	s_cbranch_execz .LBB4_1385
; %bb.1380:                             ;   in Loop: Header=BB4_126 Depth=2
	v_cmp_ne_u16_sdwa s[94:95], v13, s53 src0_sel:BYTE_0 src1_sel:DWORD
	v_bfrev_b32_e32 v3, 1
	s_and_saveexec_b64 s[92:93], s[94:95]
	s_cbranch_execz .LBB4_1384
; %bb.1381:                             ;   in Loop: Header=BB4_126 Depth=2
	v_and_b32_e32 v14, 0x7f, v13
	v_cmp_ne_u32_e32 vcc, s54, v14
	v_mov_b32_e32 v3, 0x7f800001
	s_and_saveexec_b64 s[94:95], vcc
	s_cbranch_execz .LBB4_1383
; %bb.1382:                             ;   in Loop: Header=BB4_126 Depth=2
	v_and_b32_e32 v3, 7, v13
	v_ffbh_u32_e32 v3, v3
	v_min_u32_e32 v3, 32, v3
	v_lshrrev_b32_e32 v15, 3, v14
	v_cmp_gt_u32_e32 vcc, 8, v14
	v_subrev_u32_e32 v14, 28, v3
	v_sub_u32_e32 v3, 29, v3
	v_cndmask_b32_e32 v14, 0, v14, vcc
	v_cndmask_b32_e32 v3, v15, v3, vcc
	v_lshlrev_b64 v[14:15], v14, v[10:11]
	v_lshl_add_u32 v3, v3, 23, v43
	v_lshlrev_b32_e32 v11, 20, v14
	v_lshlrev_b32_e32 v14, 24, v10
	v_and_b32_e32 v11, 0x700000, v11
	v_and_b32_e32 v14, 0x80000000, v14
	v_or3_b32 v3, v14, v3, v11
.LBB4_1383:                             ;   in Loop: Header=BB4_126 Depth=2
	s_or_b64 exec, exec, s[94:95]
.LBB4_1384:                             ;   in Loop: Header=BB4_126 Depth=2
	s_or_b64 exec, exec, s[92:93]
.LBB4_1385:                             ;   in Loop: Header=BB4_126 Depth=2
	s_or_b64 exec, exec, s[22:23]
	v_max_f32_e32 v3, v3, v3
	v_max_f32_e32 v2, v2, v2
	v_min_f32_e32 v2, v2, v3
.LBB4_1386:                             ;   in Loop: Header=BB4_126 Depth=2
	v_and_b32_e32 v14, 0x7f800000, v2
	v_mov_b32_e32 v15, v53
	v_cmp_ne_u64_e32 vcc, s[72:73], v[14:15]
                                        ; implicit-def: $vgpr15
	s_and_saveexec_b64 s[22:23], vcc
	s_xor_b64 s[92:93], exec, s[22:23]
	s_cbranch_execz .LBB4_1400
; %bb.1387:                             ;   in Loop: Header=BB4_126 Depth=2
	v_and_b32_e32 v14, 0x7fffffff, v2
	v_mov_b32_e32 v15, v53
	v_cmp_gt_u64_e32 vcc, s[74:75], v[14:15]
	v_and_b32_sdwa v11, v2, s53 dst_sel:DWORD dst_unused:UNUSED_PAD src0_sel:BYTE_3 src1_sel:DWORD
                                        ; implicit-def: $vgpr15
	s_and_saveexec_b64 s[22:23], vcc
	s_xor_b64 s[94:95], exec, s[22:23]
	s_cbranch_execz .LBB4_1397
; %bb.1388:                             ;   in Loop: Header=BB4_126 Depth=2
	v_mov_b32_e32 v15, 0
	v_cmp_ne_u32_e32 vcc, 0, v2
	s_and_saveexec_b64 s[30:31], vcc
	s_cbranch_execz .LBB4_1396
; %bb.1389:                             ;   in Loop: Header=BB4_126 Depth=2
	v_bfe_u32 v48, v2, 23, 8
	v_and_b32_e32 v3, 0x7fffff, v2
	v_cmp_gt_u32_e64 s[22:23], s64, v48
	v_sub_u32_e32 v2, 0x79, v48
	v_cmp_eq_u32_e32 vcc, 0, v48
	v_cndmask_b32_e64 v2, 0, v2, s[22:23]
	v_mov_b32_e32 v15, 0x78
	v_or_b32_e32 v14, 0x800000, v3
	v_cndmask_b32_e32 v49, v2, v15, vcc
	v_cndmask_b32_e32 v2, v14, v3, vcc
	v_add_u32_e32 v14, 20, v49
	v_lshlrev_b64 v[14:15], v14, -1
	v_add_u32_e32 v36, 19, v49
	v_lshlrev_b64 v[36:37], v36, 1
	v_mov_b32_e32 v3, v53
	v_bfi_b32 v15, v15, 0, 0
	v_bfi_b32 v14, v14, 0, v2
	v_cmp_eq_u64_e64 s[22:23], v[14:15], v[36:37]
	v_lshrrev_b64 v[14:15], v49, v[2:3]
	v_mov_b32_e32 v40, 0xffffff82
	v_mov_b32_e32 v2, v14
	;; [unrolled: 1-line block ×3, first 2 shown]
	s_and_saveexec_b64 s[34:35], s[22:23]
; %bb.1390:                             ;   in Loop: Header=BB4_126 Depth=2
	v_bfe_u32 v2, v14, 20, 1
	v_add_co_u32_e64 v2, s[22:23], v14, v2
	v_add_co_u32_e64 v2, s[22:23], -1, v2
; %bb.1391:                             ;   in Loop: Header=BB4_126 Depth=2
	s_or_b64 exec, exec, s[34:35]
	v_add_u32_e32 v3, 0xffffff81, v48
	v_cndmask_b32_e32 v3, v3, v40, vcc
	v_lshrrev_b32_e32 v15, 23, v14
	v_add3_u32 v48, v49, v3, v15
	v_add_u32_e32 v3, 6, v48
	v_and_b32_e32 v2, 0xfffff, v2
	v_add_u32_e32 v14, v2, v14
	v_mov_b32_e32 v15, v53
	v_cmp_ne_u32_e32 vcc, 0, v3
                                        ; implicit-def: $vgpr2
	s_and_saveexec_b64 s[22:23], vcc
	s_xor_b64 s[22:23], exec, s[22:23]
; %bb.1392:                             ;   in Loop: Header=BB4_126 Depth=2
	v_cmp_lt_u64_e32 vcc, s[76:77], v[14:15]
	v_add_u32_e32 v2, 7, v48
	v_cndmask_b32_e32 v2, v3, v2, vcc
	v_cndmask_b32_e64 v3, 0, 1, vcc
	v_lshrrev_b64 v[14:15], v3, v[14:15]
; %bb.1393:                             ;   in Loop: Header=BB4_126 Depth=2
	s_andn2_saveexec_b64 s[22:23], s[22:23]
; %bb.1394:                             ;   in Loop: Header=BB4_126 Depth=2
	v_bfe_u32 v2, v14, 23, 1
; %bb.1395:                             ;   in Loop: Header=BB4_126 Depth=2
	s_or_b64 exec, exec, s[22:23]
	v_lshrrev_b64 v[14:15], 20, v[14:15]
	v_cmp_gt_i32_e32 vcc, 16, v2
	v_cndmask_b32_e32 v15, 0, v15, vcc
	v_cndmask_b32_e32 v14, 7, v14, vcc
	v_cmp_eq_u32_e32 vcc, 0, v2
	v_min_i32_e32 v2, 15, v2
	v_cmp_eq_u64_e64 s[22:23], 0, v[14:15]
	v_lshlrev_b32_e32 v2, 3, v2
	v_and_b32_e32 v2, 0xf8, v2
	v_and_or_b32 v2, v14, 7, v2
	s_and_b64 s[22:23], vcc, s[22:23]
	v_cndmask_b32_e64 v2, v2, 0, s[22:23]
	v_or_b32_e32 v15, v2, v11
	v_mov_b32_e32 v49, 0xffffff82
.LBB4_1396:                             ;   in Loop: Header=BB4_126 Depth=2
	s_or_b64 exec, exec, s[30:31]
                                        ; implicit-def: $vgpr11
.LBB4_1397:                             ;   in Loop: Header=BB4_126 Depth=2
	s_andn2_saveexec_b64 s[22:23], s[94:95]
; %bb.1398:                             ;   in Loop: Header=BB4_126 Depth=2
	v_or_b32_e32 v15, 0x7e, v11
; %bb.1399:                             ;   in Loop: Header=BB4_126 Depth=2
	s_or_b64 exec, exec, s[22:23]
                                        ; implicit-def: $vgpr2
.LBB4_1400:                             ;   in Loop: Header=BB4_126 Depth=2
	s_andn2_saveexec_b64 s[22:23], s[92:93]
; %bb.1401:                             ;   in Loop: Header=BB4_126 Depth=2
	v_or_b32_sdwa v15, v2, s54 dst_sel:DWORD dst_unused:UNUSED_PAD src0_sel:BYTE_3 src1_sel:DWORD
; %bb.1402:                             ;   in Loop: Header=BB4_126 Depth=2
	s_or_b64 exec, exec, s[22:23]
	v_lshrrev_b16_e32 v14, 8, v52
	v_lshrrev_b16_e32 v11, 8, v10
	v_cmp_ne_u16_e64 s[22:23], 0, v14
	s_and_b64 vcc, exec, s[20:21]
	s_mov_b64 s[92:93], -1
                                        ; implicit-def: $vgpr2
	s_cbranch_vccnz .LBB4_1416
; %bb.1403:                             ;   in Loop: Header=BB4_126 Depth=2
	v_mov_b32_e32 v3, 0
	v_mov_b32_e32 v2, 0
	s_and_saveexec_b64 s[92:93], s[22:23]
	s_cbranch_execz .LBB4_1409
; %bb.1404:                             ;   in Loop: Header=BB4_126 Depth=2
	v_cmp_ne_u16_e32 vcc, s53, v14
	v_bfrev_b32_e32 v2, 1
	s_and_saveexec_b64 s[94:95], vcc
	s_cbranch_execz .LBB4_1408
; %bb.1405:                             ;   in Loop: Header=BB4_126 Depth=2
	v_and_b32_e32 v48, 0x7f, v14
	v_cmp_ne_u32_e32 vcc, s54, v48
	v_mov_b32_e32 v2, 0x7f800001
	s_and_saveexec_b64 s[30:31], vcc
	s_cbranch_execz .LBB4_1407
; %bb.1406:                             ;   in Loop: Header=BB4_126 Depth=2
	v_and_b32_e32 v2, 7, v14
	v_ffbh_u32_e32 v36, v2
	v_lshrrev_b32_e32 v49, 3, v48
	v_cmp_gt_u32_e32 vcc, 8, v48
	v_min_u32_e32 v48, 32, v36
	v_subrev_u32_e32 v36, 28, v48
	v_lshlrev_b64 v[36:37], v36, v[14:15]
	v_sub_u32_e32 v37, 29, v48
	v_and_b32_e32 v36, 7, v36
	v_cndmask_b32_e32 v37, v49, v37, vcc
	v_cndmask_b32_e32 v2, v2, v36, vcc
	v_lshlrev_b32_e32 v36, 16, v52
	v_lshlrev_b32_e32 v2, 20, v2
	v_and_b32_e32 v36, 0x80000000, v36
	v_lshl_add_u32 v37, v37, 23, v43
	v_mov_b32_e32 v49, 0xffffff82
	v_or3_b32 v2, v36, v37, v2
.LBB4_1407:                             ;   in Loop: Header=BB4_126 Depth=2
	s_or_b64 exec, exec, s[30:31]
.LBB4_1408:                             ;   in Loop: Header=BB4_126 Depth=2
	s_or_b64 exec, exec, s[94:95]
.LBB4_1409:                             ;   in Loop: Header=BB4_126 Depth=2
	s_or_b64 exec, exec, s[92:93]
	v_cmp_ne_u16_e32 vcc, 0, v11
	s_and_saveexec_b64 s[92:93], vcc
	s_cbranch_execz .LBB4_1415
; %bb.1410:                             ;   in Loop: Header=BB4_126 Depth=2
	v_cmp_ne_u16_e32 vcc, s53, v11
	v_bfrev_b32_e32 v3, 1
	s_and_saveexec_b64 s[94:95], vcc
	s_cbranch_execz .LBB4_1414
; %bb.1411:                             ;   in Loop: Header=BB4_126 Depth=2
	v_and_b32_e32 v48, 0x7f, v11
	v_cmp_ne_u32_e32 vcc, s54, v48
	v_mov_b32_e32 v3, 0x7f800001
	s_and_saveexec_b64 s[30:31], vcc
	s_cbranch_execz .LBB4_1413
; %bb.1412:                             ;   in Loop: Header=BB4_126 Depth=2
	v_and_b32_e32 v3, 7, v11
	v_ffbh_u32_e32 v36, v3
	v_lshrrev_b32_e32 v49, 3, v48
	v_cmp_gt_u32_e32 vcc, 8, v48
	v_min_u32_e32 v48, 32, v36
	v_subrev_u32_e32 v36, 28, v48
	v_lshlrev_b64 v[36:37], v36, v[11:12]
	v_sub_u32_e32 v37, 29, v48
	v_and_b32_e32 v36, 7, v36
	v_cndmask_b32_e32 v37, v49, v37, vcc
	v_cndmask_b32_e32 v3, v3, v36, vcc
	v_lshlrev_b32_e32 v36, 16, v10
	v_lshlrev_b32_e32 v3, 20, v3
	v_and_b32_e32 v36, 0x80000000, v36
	v_lshl_add_u32 v37, v37, 23, v43
	v_mov_b32_e32 v49, 0xffffff82
	v_or3_b32 v3, v36, v37, v3
.LBB4_1413:                             ;   in Loop: Header=BB4_126 Depth=2
	s_or_b64 exec, exec, s[30:31]
.LBB4_1414:                             ;   in Loop: Header=BB4_126 Depth=2
	s_or_b64 exec, exec, s[94:95]
.LBB4_1415:                             ;   in Loop: Header=BB4_126 Depth=2
	s_or_b64 exec, exec, s[92:93]
	v_max_f32_e32 v3, v3, v3
	v_max_f32_e32 v2, v2, v2
	;; [unrolled: 1-line block ×3, first 2 shown]
	s_mov_b64 s[92:93], 0
.LBB4_1416:                             ;   in Loop: Header=BB4_126 Depth=2
	s_and_b64 vcc, exec, s[92:93]
	s_cbranch_vccz .LBB4_1430
; %bb.1417:                             ;   in Loop: Header=BB4_126 Depth=2
	v_mov_b32_e32 v3, 0
	v_mov_b32_e32 v2, 0
	s_and_saveexec_b64 s[92:93], s[22:23]
	s_cbranch_execz .LBB4_1423
; %bb.1418:                             ;   in Loop: Header=BB4_126 Depth=2
	v_cmp_ne_u16_e32 vcc, s53, v14
	v_bfrev_b32_e32 v2, 1
	s_and_saveexec_b64 s[22:23], vcc
	s_cbranch_execz .LBB4_1422
; %bb.1419:                             ;   in Loop: Header=BB4_126 Depth=2
	v_and_b32_e32 v48, 0x7f, v14
	v_cmp_ne_u32_e32 vcc, s54, v48
	v_mov_b32_e32 v2, 0x7f800001
	s_and_saveexec_b64 s[94:95], vcc
	s_cbranch_execz .LBB4_1421
; %bb.1420:                             ;   in Loop: Header=BB4_126 Depth=2
	v_and_b32_e32 v2, 7, v14
	v_ffbh_u32_e32 v36, v2
	v_lshrrev_b32_e32 v49, 3, v48
	v_cmp_gt_u32_e32 vcc, 8, v48
	v_min_u32_e32 v48, 32, v36
	v_subrev_u32_e32 v36, 28, v48
	v_lshlrev_b64 v[36:37], v36, v[14:15]
	v_sub_u32_e32 v14, 29, v48
	v_and_b32_e32 v36, 7, v36
	v_cndmask_b32_e32 v14, v49, v14, vcc
	v_cndmask_b32_e32 v2, v2, v36, vcc
	v_lshlrev_b32_e32 v36, 16, v52
	v_lshlrev_b32_e32 v2, 20, v2
	v_and_b32_e32 v36, 0x80000000, v36
	v_lshl_add_u32 v14, v14, 23, v43
	v_mov_b32_e32 v49, 0xffffff82
	v_or3_b32 v2, v36, v14, v2
.LBB4_1421:                             ;   in Loop: Header=BB4_126 Depth=2
	s_or_b64 exec, exec, s[94:95]
.LBB4_1422:                             ;   in Loop: Header=BB4_126 Depth=2
	s_or_b64 exec, exec, s[22:23]
.LBB4_1423:                             ;   in Loop: Header=BB4_126 Depth=2
	s_or_b64 exec, exec, s[92:93]
	v_cmp_ne_u16_e32 vcc, 0, v11
	s_and_saveexec_b64 s[22:23], vcc
	s_cbranch_execz .LBB4_1429
; %bb.1424:                             ;   in Loop: Header=BB4_126 Depth=2
	v_cmp_ne_u16_e32 vcc, s53, v11
	v_bfrev_b32_e32 v3, 1
	s_and_saveexec_b64 s[92:93], vcc
	s_cbranch_execz .LBB4_1428
; %bb.1425:                             ;   in Loop: Header=BB4_126 Depth=2
	v_and_b32_e32 v14, 0x7f, v11
	v_cmp_ne_u32_e32 vcc, s54, v14
	v_mov_b32_e32 v3, 0x7f800001
	s_and_saveexec_b64 s[94:95], vcc
	s_cbranch_execz .LBB4_1427
; %bb.1426:                             ;   in Loop: Header=BB4_126 Depth=2
	v_and_b32_e32 v3, 7, v11
	v_lshrrev_b32_e32 v48, 3, v14
	v_cmp_gt_u32_e32 vcc, 8, v14
	v_ffbh_u32_e32 v14, v3
	v_min_u32_e32 v14, 32, v14
	v_subrev_u32_e32 v36, 28, v14
	v_lshlrev_b64 v[36:37], v36, v[11:12]
	v_sub_u32_e32 v11, 29, v14
	v_and_b32_e32 v14, 7, v36
	v_cndmask_b32_e32 v11, v48, v11, vcc
	v_cndmask_b32_e32 v3, v3, v14, vcc
	v_lshlrev_b32_e32 v10, 16, v10
	v_lshlrev_b32_e32 v3, 20, v3
	v_and_b32_e32 v10, 0x80000000, v10
	v_lshl_add_u32 v11, v11, 23, v43
	v_or3_b32 v3, v10, v11, v3
.LBB4_1427:                             ;   in Loop: Header=BB4_126 Depth=2
	s_or_b64 exec, exec, s[94:95]
.LBB4_1428:                             ;   in Loop: Header=BB4_126 Depth=2
	s_or_b64 exec, exec, s[92:93]
.LBB4_1429:                             ;   in Loop: Header=BB4_126 Depth=2
	s_or_b64 exec, exec, s[22:23]
	v_max_f32_e32 v3, v3, v3
	v_max_f32_e32 v2, v2, v2
	v_min_f32_e32 v2, v2, v3
.LBB4_1430:                             ;   in Loop: Header=BB4_126 Depth=2
	v_and_b32_e32 v52, 0x7f800000, v2
	v_cmp_ne_u64_e32 vcc, s[72:73], v[52:53]
                                        ; implicit-def: $vgpr14
	s_and_saveexec_b64 s[22:23], vcc
	s_xor_b64 s[92:93], exec, s[22:23]
	s_cbranch_execz .LBB4_1444
; %bb.1431:                             ;   in Loop: Header=BB4_126 Depth=2
	v_and_b32_e32 v52, 0x7fffffff, v2
	v_cmp_gt_u64_e32 vcc, s[74:75], v[52:53]
	v_and_b32_sdwa v40, v2, s53 dst_sel:DWORD dst_unused:UNUSED_PAD src0_sel:BYTE_3 src1_sel:DWORD
                                        ; implicit-def: $vgpr14
	s_and_saveexec_b64 s[22:23], vcc
	s_xor_b64 s[94:95], exec, s[22:23]
	s_cbranch_execz .LBB4_1441
; %bb.1432:                             ;   in Loop: Header=BB4_126 Depth=2
	v_mov_b32_e32 v14, 0
	v_cmp_ne_u32_e32 vcc, 0, v2
	s_and_saveexec_b64 s[30:31], vcc
	s_cbranch_execz .LBB4_1440
; %bb.1433:                             ;   in Loop: Header=BB4_126 Depth=2
	v_bfe_u32 v14, v2, 23, 8
	v_and_b32_e32 v3, 0x7fffff, v2
	v_cmp_gt_u32_e64 s[22:23], s64, v14
	v_sub_u32_e32 v2, 0x79, v14
	v_cmp_eq_u32_e32 vcc, 0, v14
	v_cndmask_b32_e64 v2, 0, v2, s[22:23]
	v_mov_b32_e32 v11, 0x78
	v_cndmask_b32_e32 v48, v2, v11, vcc
	v_or_b32_e32 v10, 0x800000, v3
	v_add_u32_e32 v2, 20, v48
	v_cndmask_b32_e32 v52, v10, v3, vcc
	v_lshlrev_b64 v[2:3], v2, -1
	v_add_u32_e32 v10, 19, v48
	v_lshlrev_b64 v[10:11], v10, 1
	v_bfi_b32 v3, v3, 0, 0
	v_bfi_b32 v2, v2, 0, v52
	v_cmp_eq_u64_e64 s[22:23], v[2:3], v[10:11]
	v_lshrrev_b64 v[10:11], v48, v[52:53]
	v_mov_b32_e32 v2, v10
	v_mov_b32_e32 v3, v11
	s_and_saveexec_b64 s[34:35], s[22:23]
; %bb.1434:                             ;   in Loop: Header=BB4_126 Depth=2
	v_bfe_u32 v2, v10, 20, 1
	v_add_co_u32_e64 v2, s[22:23], v10, v2
	v_add_co_u32_e64 v2, s[22:23], -1, v2
; %bb.1435:                             ;   in Loop: Header=BB4_126 Depth=2
	s_or_b64 exec, exec, s[34:35]
	v_add_u32_e32 v3, 0xffffff81, v14
	v_cndmask_b32_e32 v3, v3, v49, vcc
	v_lshrrev_b32_e32 v11, 23, v10
	v_add3_u32 v14, v48, v3, v11
	v_add_u32_e32 v3, 6, v14
	v_and_b32_e32 v2, 0xfffff, v2
	v_add_u32_e32 v52, v2, v10
	v_cmp_ne_u32_e32 vcc, 0, v3
                                        ; implicit-def: $vgpr10_vgpr11
                                        ; implicit-def: $vgpr2
	s_and_saveexec_b64 s[22:23], vcc
	s_xor_b64 s[22:23], exec, s[22:23]
; %bb.1436:                             ;   in Loop: Header=BB4_126 Depth=2
	v_cmp_lt_u64_e32 vcc, s[76:77], v[52:53]
	v_add_u32_e32 v2, 7, v14
	v_cndmask_b32_e32 v2, v3, v2, vcc
	v_cndmask_b32_e64 v3, 0, 1, vcc
	v_lshrrev_b64 v[10:11], v3, v[52:53]
; %bb.1437:                             ;   in Loop: Header=BB4_126 Depth=2
	s_andn2_saveexec_b64 s[22:23], s[22:23]
; %bb.1438:                             ;   in Loop: Header=BB4_126 Depth=2
	v_mov_b32_e32 v10, v52
	v_bfe_u32 v2, v52, 23, 1
	v_mov_b32_e32 v11, v53
; %bb.1439:                             ;   in Loop: Header=BB4_126 Depth=2
	s_or_b64 exec, exec, s[22:23]
	v_lshrrev_b64 v[10:11], 20, v[10:11]
	v_cmp_gt_i32_e32 vcc, 16, v2
	v_cndmask_b32_e32 v11, 0, v11, vcc
	v_cndmask_b32_e32 v10, 7, v10, vcc
	v_cmp_eq_u32_e32 vcc, 0, v2
	v_min_i32_e32 v2, 15, v2
	v_cmp_eq_u64_e64 s[22:23], 0, v[10:11]
	v_lshlrev_b32_e32 v2, 3, v2
	v_and_b32_e32 v2, 0xf8, v2
	v_and_or_b32 v2, v10, 7, v2
	s_and_b64 s[22:23], vcc, s[22:23]
	v_cndmask_b32_e64 v2, v2, 0, s[22:23]
	v_or_b32_e32 v14, v2, v40
.LBB4_1440:                             ;   in Loop: Header=BB4_126 Depth=2
	s_or_b64 exec, exec, s[30:31]
                                        ; implicit-def: $vgpr40
.LBB4_1441:                             ;   in Loop: Header=BB4_126 Depth=2
	s_andn2_saveexec_b64 s[22:23], s[94:95]
; %bb.1442:                             ;   in Loop: Header=BB4_126 Depth=2
	v_or_b32_e32 v14, 0x7e, v40
; %bb.1443:                             ;   in Loop: Header=BB4_126 Depth=2
	s_or_b64 exec, exec, s[22:23]
                                        ; implicit-def: $vgpr2
.LBB4_1444:                             ;   in Loop: Header=BB4_126 Depth=2
	s_andn2_saveexec_b64 s[22:23], s[92:93]
; %bb.1445:                             ;   in Loop: Header=BB4_126 Depth=2
	v_or_b32_sdwa v14, v2, s54 dst_sel:DWORD dst_unused:UNUSED_PAD src0_sel:BYTE_3 src1_sel:DWORD
; %bb.1446:                             ;   in Loop: Header=BB4_126 Depth=2
	s_or_b64 exec, exec, s[22:23]
	v_lshrrev_b32_e32 v11, 16, v17
	v_lshrrev_b32_e32 v10, 16, v13
	v_cmp_ne_u16_sdwa s[22:23], v11, v53 src0_sel:BYTE_0 src1_sel:DWORD
	s_and_b64 vcc, exec, s[20:21]
	s_mov_b64 s[92:93], -1
                                        ; implicit-def: $vgpr2
	s_cbranch_vccnz .LBB4_1460
; %bb.1447:                             ;   in Loop: Header=BB4_126 Depth=2
	v_mov_b32_e32 v3, 0
	v_mov_b32_e32 v2, 0
	s_and_saveexec_b64 s[92:93], s[22:23]
	s_cbranch_execz .LBB4_1453
; %bb.1448:                             ;   in Loop: Header=BB4_126 Depth=2
	v_cmp_ne_u16_sdwa vcc, v11, s53 src0_sel:BYTE_0 src1_sel:DWORD
	v_bfrev_b32_e32 v2, 1
	s_and_saveexec_b64 s[94:95], vcc
	s_cbranch_execz .LBB4_1452
; %bb.1449:                             ;   in Loop: Header=BB4_126 Depth=2
	v_bfe_u32 v48, v17, 16, 7
	v_cmp_ne_u32_e32 vcc, s54, v48
	v_mov_b32_e32 v2, 0x7f800001
	s_and_saveexec_b64 s[30:31], vcc
	s_cbranch_execz .LBB4_1451
; %bb.1450:                             ;   in Loop: Header=BB4_126 Depth=2
	v_and_b32_e32 v2, 7, v11
	v_ffbh_u32_e32 v36, v2
	v_lshrrev_b32_e32 v49, 3, v48
	v_cmp_gt_u32_e32 vcc, 8, v48
	v_min_u32_e32 v48, 32, v36
	v_subrev_u32_e32 v36, 28, v48
	v_lshlrev_b64 v[36:37], v36, v[11:12]
	v_sub_u32_e32 v37, 29, v48
	v_and_b32_e32 v36, 7, v36
	v_cndmask_b32_e32 v37, v49, v37, vcc
	v_cndmask_b32_e32 v2, v2, v36, vcc
	v_lshlrev_b32_e32 v36, 24, v11
	v_lshlrev_b32_e32 v2, 20, v2
	v_and_b32_e32 v36, 0x80000000, v36
	v_lshl_add_u32 v37, v37, 23, v43
	v_mov_b32_e32 v49, 0xffffff82
	v_or3_b32 v2, v36, v37, v2
.LBB4_1451:                             ;   in Loop: Header=BB4_126 Depth=2
	s_or_b64 exec, exec, s[30:31]
.LBB4_1452:                             ;   in Loop: Header=BB4_126 Depth=2
	s_or_b64 exec, exec, s[94:95]
.LBB4_1453:                             ;   in Loop: Header=BB4_126 Depth=2
	s_or_b64 exec, exec, s[92:93]
	v_cmp_ne_u16_sdwa s[94:95], v10, v53 src0_sel:BYTE_0 src1_sel:DWORD
	s_and_saveexec_b64 s[92:93], s[94:95]
	s_cbranch_execz .LBB4_1459
; %bb.1454:                             ;   in Loop: Header=BB4_126 Depth=2
	v_cmp_ne_u16_sdwa vcc, v10, s53 src0_sel:BYTE_0 src1_sel:DWORD
	v_bfrev_b32_e32 v3, 1
	s_and_saveexec_b64 s[94:95], vcc
	s_cbranch_execz .LBB4_1458
; %bb.1455:                             ;   in Loop: Header=BB4_126 Depth=2
	v_bfe_u32 v48, v13, 16, 7
	v_cmp_ne_u32_e32 vcc, s54, v48
	v_mov_b32_e32 v3, 0x7f800001
	s_and_saveexec_b64 s[30:31], vcc
	s_cbranch_execz .LBB4_1457
; %bb.1456:                             ;   in Loop: Header=BB4_126 Depth=2
	v_and_b32_e32 v3, 7, v10
	v_ffbh_u32_e32 v36, v3
	v_lshrrev_b32_e32 v49, 3, v48
	v_cmp_gt_u32_e32 vcc, 8, v48
	v_min_u32_e32 v48, 32, v36
	v_subrev_u32_e32 v36, 28, v48
	v_lshlrev_b64 v[36:37], v36, v[10:11]
	v_sub_u32_e32 v37, 29, v48
	v_and_b32_e32 v36, 7, v36
	v_cndmask_b32_e32 v37, v49, v37, vcc
	v_cndmask_b32_e32 v3, v3, v36, vcc
	v_lshlrev_b32_e32 v36, 24, v10
	v_lshlrev_b32_e32 v3, 20, v3
	v_and_b32_e32 v36, 0x80000000, v36
	v_lshl_add_u32 v37, v37, 23, v43
	v_mov_b32_e32 v49, 0xffffff82
	v_or3_b32 v3, v36, v37, v3
.LBB4_1457:                             ;   in Loop: Header=BB4_126 Depth=2
	s_or_b64 exec, exec, s[30:31]
.LBB4_1458:                             ;   in Loop: Header=BB4_126 Depth=2
	s_or_b64 exec, exec, s[94:95]
.LBB4_1459:                             ;   in Loop: Header=BB4_126 Depth=2
	s_or_b64 exec, exec, s[92:93]
	v_max_f32_e32 v3, v3, v3
	v_max_f32_e32 v2, v2, v2
	;; [unrolled: 1-line block ×3, first 2 shown]
	s_mov_b64 s[92:93], 0
.LBB4_1460:                             ;   in Loop: Header=BB4_126 Depth=2
	s_and_b64 vcc, exec, s[92:93]
	s_cbranch_vccz .LBB4_1474
; %bb.1461:                             ;   in Loop: Header=BB4_126 Depth=2
	v_mov_b32_e32 v3, 0
	v_mov_b32_e32 v2, 0
	s_and_saveexec_b64 s[92:93], s[22:23]
	s_cbranch_execz .LBB4_1467
; %bb.1462:                             ;   in Loop: Header=BB4_126 Depth=2
	v_cmp_ne_u16_sdwa s[94:95], v11, s53 src0_sel:BYTE_0 src1_sel:DWORD
	v_bfrev_b32_e32 v2, 1
	s_and_saveexec_b64 s[22:23], s[94:95]
	s_cbranch_execz .LBB4_1466
; %bb.1463:                             ;   in Loop: Header=BB4_126 Depth=2
	v_bfe_u32 v48, v17, 16, 7
	v_cmp_ne_u32_e32 vcc, s54, v48
	v_mov_b32_e32 v2, 0x7f800001
	s_and_saveexec_b64 s[94:95], vcc
	s_cbranch_execz .LBB4_1465
; %bb.1464:                             ;   in Loop: Header=BB4_126 Depth=2
	v_and_b32_e32 v2, 7, v11
	v_ffbh_u32_e32 v36, v2
	v_lshrrev_b32_e32 v49, 3, v48
	v_cmp_gt_u32_e32 vcc, 8, v48
	v_min_u32_e32 v48, 32, v36
	v_subrev_u32_e32 v36, 28, v48
	v_lshlrev_b64 v[36:37], v36, v[11:12]
	v_sub_u32_e32 v37, 29, v48
	v_and_b32_e32 v36, 7, v36
	v_cndmask_b32_e32 v37, v49, v37, vcc
	v_cndmask_b32_e32 v2, v2, v36, vcc
	v_lshlrev_b32_e32 v11, 24, v11
	v_lshlrev_b32_e32 v2, 20, v2
	v_and_b32_e32 v11, 0x80000000, v11
	v_lshl_add_u32 v36, v37, 23, v43
	v_mov_b32_e32 v49, 0xffffff82
	v_or3_b32 v2, v11, v36, v2
.LBB4_1465:                             ;   in Loop: Header=BB4_126 Depth=2
	s_or_b64 exec, exec, s[94:95]
.LBB4_1466:                             ;   in Loop: Header=BB4_126 Depth=2
	s_or_b64 exec, exec, s[22:23]
.LBB4_1467:                             ;   in Loop: Header=BB4_126 Depth=2
	s_or_b64 exec, exec, s[92:93]
	v_cmp_ne_u16_sdwa s[92:93], v10, v53 src0_sel:BYTE_0 src1_sel:DWORD
	s_and_saveexec_b64 s[22:23], s[92:93]
	s_cbranch_execz .LBB4_1473
; %bb.1468:                             ;   in Loop: Header=BB4_126 Depth=2
	v_cmp_ne_u16_sdwa s[94:95], v10, s53 src0_sel:BYTE_0 src1_sel:DWORD
	v_bfrev_b32_e32 v3, 1
	s_and_saveexec_b64 s[92:93], s[94:95]
	s_cbranch_execz .LBB4_1472
; %bb.1469:                             ;   in Loop: Header=BB4_126 Depth=2
	v_bfe_u32 v11, v13, 16, 7
	v_cmp_ne_u32_e32 vcc, s54, v11
	v_mov_b32_e32 v3, 0x7f800001
	s_and_saveexec_b64 s[94:95], vcc
	s_cbranch_execz .LBB4_1471
; %bb.1470:                             ;   in Loop: Header=BB4_126 Depth=2
	v_and_b32_e32 v3, 7, v10
	v_lshrrev_b32_e32 v48, 3, v11
	v_cmp_gt_u32_e32 vcc, 8, v11
	v_ffbh_u32_e32 v11, v3
	v_min_u32_e32 v11, 32, v11
	v_subrev_u32_e32 v36, 28, v11
	v_lshlrev_b64 v[36:37], v36, v[10:11]
	v_sub_u32_e32 v11, 29, v11
	v_and_b32_e32 v36, 7, v36
	v_cndmask_b32_e32 v11, v48, v11, vcc
	v_cndmask_b32_e32 v3, v3, v36, vcc
	v_lshlrev_b32_e32 v10, 24, v10
	v_lshlrev_b32_e32 v3, 20, v3
	v_and_b32_e32 v10, 0x80000000, v10
	v_lshl_add_u32 v11, v11, 23, v43
	v_or3_b32 v3, v10, v11, v3
.LBB4_1471:                             ;   in Loop: Header=BB4_126 Depth=2
	s_or_b64 exec, exec, s[94:95]
.LBB4_1472:                             ;   in Loop: Header=BB4_126 Depth=2
	s_or_b64 exec, exec, s[92:93]
.LBB4_1473:                             ;   in Loop: Header=BB4_126 Depth=2
	s_or_b64 exec, exec, s[22:23]
	v_max_f32_e32 v3, v3, v3
	v_max_f32_e32 v2, v2, v2
	v_min_f32_e32 v2, v2, v3
.LBB4_1474:                             ;   in Loop: Header=BB4_126 Depth=2
	v_and_b32_e32 v52, 0x7f800000, v2
	v_cmp_ne_u64_e32 vcc, s[72:73], v[52:53]
                                        ; implicit-def: $vgpr40
	s_and_saveexec_b64 s[22:23], vcc
	s_xor_b64 s[92:93], exec, s[22:23]
	s_cbranch_execz .LBB4_1488
; %bb.1475:                             ;   in Loop: Header=BB4_126 Depth=2
	v_and_b32_e32 v52, 0x7fffffff, v2
	v_cmp_gt_u64_e32 vcc, s[74:75], v[52:53]
	v_and_b32_sdwa v48, v2, s53 dst_sel:DWORD dst_unused:UNUSED_PAD src0_sel:BYTE_3 src1_sel:DWORD
                                        ; implicit-def: $vgpr40
	s_and_saveexec_b64 s[22:23], vcc
	s_xor_b64 s[94:95], exec, s[22:23]
	s_cbranch_execz .LBB4_1485
; %bb.1476:                             ;   in Loop: Header=BB4_126 Depth=2
	v_mov_b32_e32 v40, 0
	v_cmp_ne_u32_e32 vcc, 0, v2
	s_and_saveexec_b64 s[30:31], vcc
	s_cbranch_execz .LBB4_1484
; %bb.1477:                             ;   in Loop: Header=BB4_126 Depth=2
	v_bfe_u32 v49, v2, 23, 8
	v_and_b32_e32 v3, 0x7fffff, v2
	v_cmp_gt_u32_e64 s[22:23], s64, v49
	v_sub_u32_e32 v2, 0x79, v49
	v_cmp_eq_u32_e32 vcc, 0, v49
	v_cndmask_b32_e64 v2, 0, v2, s[22:23]
	v_mov_b32_e32 v11, 0x78
	v_cndmask_b32_e32 v40, v2, v11, vcc
	v_or_b32_e32 v10, 0x800000, v3
	v_add_u32_e32 v2, 20, v40
	v_cndmask_b32_e32 v52, v10, v3, vcc
	v_lshlrev_b64 v[2:3], v2, -1
	v_add_u32_e32 v10, 19, v40
	v_lshlrev_b64 v[10:11], v10, 1
	v_bfi_b32 v3, v3, 0, 0
	v_bfi_b32 v2, v2, 0, v52
	v_cmp_eq_u64_e64 s[22:23], v[2:3], v[10:11]
	v_lshrrev_b64 v[10:11], v40, v[52:53]
	v_mov_b32_e32 v36, 0xffffff82
	v_mov_b32_e32 v2, v10
	;; [unrolled: 1-line block ×3, first 2 shown]
	s_and_saveexec_b64 s[34:35], s[22:23]
; %bb.1478:                             ;   in Loop: Header=BB4_126 Depth=2
	v_bfe_u32 v2, v10, 20, 1
	v_add_co_u32_e64 v2, s[22:23], v10, v2
	v_add_co_u32_e64 v2, s[22:23], -1, v2
; %bb.1479:                             ;   in Loop: Header=BB4_126 Depth=2
	s_or_b64 exec, exec, s[34:35]
	v_add_u32_e32 v3, 0xffffff81, v49
	v_cndmask_b32_e32 v3, v3, v36, vcc
	v_lshrrev_b32_e32 v11, 23, v10
	v_add3_u32 v49, v40, v3, v11
	v_add_u32_e32 v3, 6, v49
	v_and_b32_e32 v2, 0xfffff, v2
	v_add_u32_e32 v52, v2, v10
	v_cmp_ne_u32_e32 vcc, 0, v3
                                        ; implicit-def: $vgpr10_vgpr11
                                        ; implicit-def: $vgpr2
	s_and_saveexec_b64 s[22:23], vcc
	s_xor_b64 s[22:23], exec, s[22:23]
; %bb.1480:                             ;   in Loop: Header=BB4_126 Depth=2
	v_cmp_lt_u64_e32 vcc, s[76:77], v[52:53]
	v_add_u32_e32 v2, 7, v49
	v_cndmask_b32_e32 v2, v3, v2, vcc
	v_cndmask_b32_e64 v3, 0, 1, vcc
	v_lshrrev_b64 v[10:11], v3, v[52:53]
; %bb.1481:                             ;   in Loop: Header=BB4_126 Depth=2
	s_andn2_saveexec_b64 s[22:23], s[22:23]
; %bb.1482:                             ;   in Loop: Header=BB4_126 Depth=2
	v_mov_b32_e32 v10, v52
	v_bfe_u32 v2, v52, 23, 1
	v_mov_b32_e32 v11, v53
; %bb.1483:                             ;   in Loop: Header=BB4_126 Depth=2
	s_or_b64 exec, exec, s[22:23]
	v_lshrrev_b64 v[10:11], 20, v[10:11]
	v_cmp_gt_i32_e32 vcc, 16, v2
	v_cndmask_b32_e32 v11, 0, v11, vcc
	v_cndmask_b32_e32 v10, 7, v10, vcc
	v_cmp_eq_u32_e32 vcc, 0, v2
	v_min_i32_e32 v2, 15, v2
	v_cmp_eq_u64_e64 s[22:23], 0, v[10:11]
	v_lshlrev_b32_e32 v2, 3, v2
	v_and_b32_e32 v2, 0xf8, v2
	v_and_or_b32 v2, v10, 7, v2
	s_and_b64 s[22:23], vcc, s[22:23]
	v_cndmask_b32_e64 v2, v2, 0, s[22:23]
	v_or_b32_e32 v40, v2, v48
	v_mov_b32_e32 v49, 0xffffff82
.LBB4_1484:                             ;   in Loop: Header=BB4_126 Depth=2
	s_or_b64 exec, exec, s[30:31]
                                        ; implicit-def: $vgpr48
.LBB4_1485:                             ;   in Loop: Header=BB4_126 Depth=2
	s_andn2_saveexec_b64 s[22:23], s[94:95]
; %bb.1486:                             ;   in Loop: Header=BB4_126 Depth=2
	v_or_b32_e32 v40, 0x7e, v48
; %bb.1487:                             ;   in Loop: Header=BB4_126 Depth=2
	s_or_b64 exec, exec, s[22:23]
                                        ; implicit-def: $vgpr2
.LBB4_1488:                             ;   in Loop: Header=BB4_126 Depth=2
	s_andn2_saveexec_b64 s[22:23], s[92:93]
; %bb.1489:                             ;   in Loop: Header=BB4_126 Depth=2
	v_or_b32_sdwa v40, v2, s54 dst_sel:DWORD dst_unused:UNUSED_PAD src0_sel:BYTE_3 src1_sel:DWORD
; %bb.1490:                             ;   in Loop: Header=BB4_126 Depth=2
	s_or_b64 exec, exec, s[22:23]
	v_cmp_lt_u64_e64 s[22:23], s[78:79], v[16:17]
	v_lshrrev_b32_e32 v11, 24, v17
	v_lshrrev_b32_e32 v10, 24, v13
	s_and_b64 vcc, exec, s[20:21]
	s_mov_b64 s[20:21], -1
                                        ; implicit-def: $vgpr3
	s_cbranch_vccnz .LBB4_1504
; %bb.1491:                             ;   in Loop: Header=BB4_126 Depth=2
	v_mov_b32_e32 v3, 0
	v_mov_b32_e32 v2, 0
	s_and_saveexec_b64 s[20:21], s[22:23]
	s_cbranch_execz .LBB4_1497
; %bb.1492:                             ;   in Loop: Header=BB4_126 Depth=2
	v_cmp_ne_u32_e32 vcc, s53, v11
	v_bfrev_b32_e32 v2, 1
	s_and_saveexec_b64 s[92:93], vcc
	s_cbranch_execz .LBB4_1496
; %bb.1493:                             ;   in Loop: Header=BB4_126 Depth=2
	v_bfe_u32 v16, v17, 24, 7
	v_cmp_ne_u32_e32 vcc, s54, v16
	v_mov_b32_e32 v2, 0x7f800001
	s_and_saveexec_b64 s[94:95], vcc
	s_cbranch_execz .LBB4_1495
; %bb.1494:                             ;   in Loop: Header=BB4_126 Depth=2
	v_and_b32_e32 v2, 7, v11
	v_lshrrev_b32_e32 v48, 3, v16
	v_cmp_gt_u32_e32 vcc, 8, v16
	v_ffbh_u32_e32 v16, v2
	v_min_u32_e32 v16, 32, v16
	v_subrev_u32_e32 v36, 28, v16
	v_lshlrev_b64 v[36:37], v36, v[11:12]
	v_sub_u32_e32 v16, 29, v16
	v_and_b32_e32 v36, 7, v36
	v_cndmask_b32_e32 v16, v48, v16, vcc
	v_cndmask_b32_e32 v2, v2, v36, vcc
	v_lshlrev_b32_e32 v36, 24, v11
	v_lshlrev_b32_e32 v2, 20, v2
	v_and_b32_e32 v36, 0x80000000, v36
	v_lshl_add_u32 v16, v16, 23, v43
	v_or3_b32 v2, v36, v16, v2
.LBB4_1495:                             ;   in Loop: Header=BB4_126 Depth=2
	s_or_b64 exec, exec, s[94:95]
.LBB4_1496:                             ;   in Loop: Header=BB4_126 Depth=2
	s_or_b64 exec, exec, s[92:93]
.LBB4_1497:                             ;   in Loop: Header=BB4_126 Depth=2
	s_or_b64 exec, exec, s[20:21]
	v_cmp_lt_u64_e32 vcc, s[78:79], v[12:13]
	s_and_saveexec_b64 s[20:21], vcc
	s_cbranch_execz .LBB4_1503
; %bb.1498:                             ;   in Loop: Header=BB4_126 Depth=2
	v_cmp_ne_u32_e32 vcc, s53, v10
	v_bfrev_b32_e32 v3, 1
	s_and_saveexec_b64 s[92:93], vcc
	s_cbranch_execz .LBB4_1502
; %bb.1499:                             ;   in Loop: Header=BB4_126 Depth=2
	v_bfe_u32 v16, v13, 24, 7
	v_cmp_ne_u32_e32 vcc, s54, v16
	v_mov_b32_e32 v3, 0x7f800001
	s_and_saveexec_b64 s[94:95], vcc
	s_cbranch_execz .LBB4_1501
; %bb.1500:                             ;   in Loop: Header=BB4_126 Depth=2
	v_and_b32_e32 v3, 7, v10
	v_lshrrev_b32_e32 v48, 3, v16
	v_cmp_gt_u32_e32 vcc, 8, v16
	v_ffbh_u32_e32 v16, v3
	v_min_u32_e32 v16, 32, v16
	v_subrev_u32_e32 v36, 28, v16
	v_lshlrev_b64 v[36:37], v36, v[10:11]
	v_sub_u32_e32 v16, 29, v16
	v_and_b32_e32 v36, 7, v36
	v_cndmask_b32_e32 v16, v48, v16, vcc
	v_cndmask_b32_e32 v3, v3, v36, vcc
	v_lshlrev_b32_e32 v36, 24, v10
	v_lshlrev_b32_e32 v3, 20, v3
	v_and_b32_e32 v36, 0x80000000, v36
	v_lshl_add_u32 v16, v16, 23, v43
	v_or3_b32 v3, v36, v16, v3
.LBB4_1501:                             ;   in Loop: Header=BB4_126 Depth=2
	s_or_b64 exec, exec, s[94:95]
.LBB4_1502:                             ;   in Loop: Header=BB4_126 Depth=2
	s_or_b64 exec, exec, s[92:93]
.LBB4_1503:                             ;   in Loop: Header=BB4_126 Depth=2
	s_or_b64 exec, exec, s[20:21]
	v_max_f32_e32 v3, v3, v3
	v_max_f32_e32 v2, v2, v2
	;; [unrolled: 1-line block ×3, first 2 shown]
	s_mov_b64 s[20:21], 0
.LBB4_1504:                             ;   in Loop: Header=BB4_126 Depth=2
	s_and_b64 vcc, exec, s[20:21]
	s_cbranch_vccz .LBB4_1518
; %bb.1505:                             ;   in Loop: Header=BB4_126 Depth=2
	v_mov_b32_e32 v3, 0
	v_mov_b32_e32 v2, 0
	s_and_saveexec_b64 s[20:21], s[22:23]
	s_cbranch_execz .LBB4_1511
; %bb.1506:                             ;   in Loop: Header=BB4_126 Depth=2
	v_cmp_ne_u32_e32 vcc, s53, v11
	v_bfrev_b32_e32 v2, 1
	s_and_saveexec_b64 s[22:23], vcc
	s_cbranch_execz .LBB4_1510
; %bb.1507:                             ;   in Loop: Header=BB4_126 Depth=2
	v_bfe_u32 v16, v17, 24, 7
	v_cmp_ne_u32_e32 vcc, s54, v16
	v_mov_b32_e32 v2, 0x7f800001
	s_and_saveexec_b64 s[92:93], vcc
	s_cbranch_execz .LBB4_1509
; %bb.1508:                             ;   in Loop: Header=BB4_126 Depth=2
	v_and_b32_e32 v2, 7, v11
	v_lshrrev_b32_e32 v36, 3, v16
	v_cmp_gt_u32_e32 vcc, 8, v16
	v_ffbh_u32_e32 v16, v2
	v_min_u32_e32 v37, 32, v16
	v_subrev_u32_e32 v16, 28, v37
	v_lshlrev_b64 v[16:17], v16, v[11:12]
	v_sub_u32_e32 v17, 29, v37
	v_and_b32_e32 v16, 7, v16
	v_cndmask_b32_e32 v17, v36, v17, vcc
	v_cndmask_b32_e32 v2, v2, v16, vcc
	v_lshlrev_b32_e32 v11, 24, v11
	v_lshlrev_b32_e32 v2, 20, v2
	v_and_b32_e32 v11, 0x80000000, v11
	v_lshl_add_u32 v16, v17, 23, v43
	v_or3_b32 v2, v11, v16, v2
.LBB4_1509:                             ;   in Loop: Header=BB4_126 Depth=2
	s_or_b64 exec, exec, s[92:93]
.LBB4_1510:                             ;   in Loop: Header=BB4_126 Depth=2
	s_or_b64 exec, exec, s[22:23]
.LBB4_1511:                             ;   in Loop: Header=BB4_126 Depth=2
	s_or_b64 exec, exec, s[20:21]
	v_cmp_lt_u64_e32 vcc, s[78:79], v[12:13]
	s_and_saveexec_b64 s[20:21], vcc
	s_cbranch_execz .LBB4_1517
; %bb.1512:                             ;   in Loop: Header=BB4_126 Depth=2
	v_cmp_ne_u32_e32 vcc, s53, v10
	v_bfrev_b32_e32 v3, 1
	s_and_saveexec_b64 s[22:23], vcc
	s_cbranch_execz .LBB4_1516
; %bb.1513:                             ;   in Loop: Header=BB4_126 Depth=2
	v_bfe_u32 v11, v13, 24, 7
	v_cmp_ne_u32_e32 vcc, s54, v11
	v_mov_b32_e32 v3, 0x7f800001
	s_and_saveexec_b64 s[92:93], vcc
	s_cbranch_execz .LBB4_1515
; %bb.1514:                             ;   in Loop: Header=BB4_126 Depth=2
	v_and_b32_e32 v3, 7, v10
	v_lshrrev_b32_e32 v13, 3, v11
	v_cmp_gt_u32_e32 vcc, 8, v11
	v_ffbh_u32_e32 v11, v3
	v_min_u32_e32 v16, 32, v11
	v_subrev_u32_e32 v11, 28, v16
	v_lshlrev_b64 v[11:12], v11, v[10:11]
	v_sub_u32_e32 v12, 29, v16
	v_and_b32_e32 v11, 7, v11
	v_cndmask_b32_e32 v12, v13, v12, vcc
	v_cndmask_b32_e32 v3, v3, v11, vcc
	v_lshlrev_b32_e32 v10, 24, v10
	v_lshlrev_b32_e32 v3, 20, v3
	v_and_b32_e32 v10, 0x80000000, v10
	v_lshl_add_u32 v11, v12, 23, v43
	v_or3_b32 v3, v10, v11, v3
.LBB4_1515:                             ;   in Loop: Header=BB4_126 Depth=2
	s_or_b64 exec, exec, s[92:93]
.LBB4_1516:                             ;   in Loop: Header=BB4_126 Depth=2
	s_or_b64 exec, exec, s[22:23]
.LBB4_1517:                             ;   in Loop: Header=BB4_126 Depth=2
	s_or_b64 exec, exec, s[20:21]
	v_max_f32_e32 v3, v3, v3
	v_max_f32_e32 v2, v2, v2
	v_min_f32_e32 v3, v2, v3
.LBB4_1518:                             ;   in Loop: Header=BB4_126 Depth=2
	v_and_b32_e32 v52, 0x7f800000, v3
	v_cmp_ne_u64_e32 vcc, s[72:73], v[52:53]
                                        ; implicit-def: $vgpr2
	s_and_saveexec_b64 s[20:21], vcc
	s_xor_b64 s[22:23], exec, s[20:21]
	s_cbranch_execz .LBB4_1532
; %bb.1519:                             ;   in Loop: Header=BB4_126 Depth=2
	v_and_b32_e32 v52, 0x7fffffff, v3
	v_cmp_gt_u64_e32 vcc, s[74:75], v[52:53]
	v_and_b32_sdwa v12, v3, s53 dst_sel:DWORD dst_unused:UNUSED_PAD src0_sel:BYTE_3 src1_sel:DWORD
                                        ; implicit-def: $vgpr2
	s_and_saveexec_b64 s[20:21], vcc
	s_xor_b64 s[92:93], exec, s[20:21]
	s_cbranch_execz .LBB4_1529
; %bb.1520:                             ;   in Loop: Header=BB4_126 Depth=2
	v_mov_b32_e32 v2, 0
	v_cmp_ne_u32_e32 vcc, 0, v3
	s_and_saveexec_b64 s[94:95], vcc
	s_cbranch_execz .LBB4_1528
; %bb.1521:                             ;   in Loop: Header=BB4_126 Depth=2
	v_bfe_u32 v13, v3, 23, 8
	v_and_b32_e32 v2, 0x7fffff, v3
	v_cmp_gt_u32_e64 s[20:21], s64, v13
	v_sub_u32_e32 v3, 0x79, v13
	v_cmp_eq_u32_e32 vcc, 0, v13
	v_cndmask_b32_e64 v3, 0, v3, s[20:21]
	v_mov_b32_e32 v11, 0x78
	v_or_b32_e32 v10, 0x800000, v2
	v_cndmask_b32_e32 v16, v3, v11, vcc
	v_cndmask_b32_e32 v52, v10, v2, vcc
	v_add_u32_e32 v2, 20, v16
	v_lshlrev_b64 v[2:3], v2, -1
	v_add_u32_e32 v10, 19, v16
	v_lshlrev_b64 v[10:11], v10, 1
	v_bfi_b32 v3, v3, 0, 0
	v_bfi_b32 v2, v2, 0, v52
	v_cmp_eq_u64_e64 s[20:21], v[2:3], v[10:11]
	v_lshrrev_b64 v[10:11], v16, v[52:53]
	v_mov_b32_e32 v2, v10
	v_mov_b32_e32 v3, v11
	s_and_saveexec_b64 s[30:31], s[20:21]
; %bb.1522:                             ;   in Loop: Header=BB4_126 Depth=2
	v_bfe_u32 v2, v10, 20, 1
	v_add_co_u32_e64 v2, s[20:21], v10, v2
	v_add_co_u32_e64 v2, s[20:21], -1, v2
; %bb.1523:                             ;   in Loop: Header=BB4_126 Depth=2
	s_or_b64 exec, exec, s[30:31]
	v_add_u32_e32 v3, 0xffffff81, v13
	v_cndmask_b32_e32 v3, v3, v49, vcc
	v_lshrrev_b32_e32 v11, 23, v10
	v_add3_u32 v13, v16, v3, v11
	v_add_u32_e32 v3, 6, v13
	v_and_b32_e32 v2, 0xfffff, v2
	v_add_u32_e32 v52, v2, v10
	v_cmp_ne_u32_e32 vcc, 0, v3
                                        ; implicit-def: $vgpr10_vgpr11
                                        ; implicit-def: $vgpr2
	s_and_saveexec_b64 s[20:21], vcc
	s_xor_b64 s[20:21], exec, s[20:21]
; %bb.1524:                             ;   in Loop: Header=BB4_126 Depth=2
	v_cmp_lt_u64_e32 vcc, s[76:77], v[52:53]
	v_add_u32_e32 v2, 7, v13
	v_cndmask_b32_e32 v2, v3, v2, vcc
	v_cndmask_b32_e64 v3, 0, 1, vcc
	v_lshrrev_b64 v[10:11], v3, v[52:53]
; %bb.1525:                             ;   in Loop: Header=BB4_126 Depth=2
	s_andn2_saveexec_b64 s[20:21], s[20:21]
; %bb.1526:                             ;   in Loop: Header=BB4_126 Depth=2
	v_mov_b32_e32 v10, v52
	v_bfe_u32 v2, v52, 23, 1
	v_mov_b32_e32 v11, v53
; %bb.1527:                             ;   in Loop: Header=BB4_126 Depth=2
	s_or_b64 exec, exec, s[20:21]
	v_lshrrev_b64 v[10:11], 20, v[10:11]
	v_cmp_gt_i32_e32 vcc, 16, v2
	v_cndmask_b32_e32 v11, 0, v11, vcc
	v_cndmask_b32_e32 v10, 7, v10, vcc
	v_cmp_eq_u32_e32 vcc, 0, v2
	v_min_i32_e32 v2, 15, v2
	v_cmp_eq_u64_e64 s[20:21], 0, v[10:11]
	v_lshlrev_b32_e32 v2, 3, v2
	v_and_b32_e32 v2, 0xf8, v2
	v_and_or_b32 v2, v10, 7, v2
	s_and_b64 s[20:21], vcc, s[20:21]
	v_cndmask_b32_e64 v2, v2, 0, s[20:21]
	v_or_b32_e32 v2, v2, v12
.LBB4_1528:                             ;   in Loop: Header=BB4_126 Depth=2
	s_or_b64 exec, exec, s[94:95]
                                        ; implicit-def: $vgpr12
.LBB4_1529:                             ;   in Loop: Header=BB4_126 Depth=2
	s_andn2_saveexec_b64 s[20:21], s[92:93]
; %bb.1530:                             ;   in Loop: Header=BB4_126 Depth=2
	v_or_b32_e32 v2, 0x7e, v12
; %bb.1531:                             ;   in Loop: Header=BB4_126 Depth=2
	s_or_b64 exec, exec, s[20:21]
                                        ; implicit-def: $vgpr3
.LBB4_1532:                             ;   in Loop: Header=BB4_126 Depth=2
	s_andn2_saveexec_b64 s[20:21], s[22:23]
	s_cbranch_execz .LBB4_125
; %bb.1533:                             ;   in Loop: Header=BB4_126 Depth=2
	v_or_b32_sdwa v2, v3, s54 dst_sel:DWORD dst_unused:UNUSED_PAD src0_sel:BYTE_3 src1_sel:DWORD
	s_branch .LBB4_125
.LBB4_1534:                             ;   in Loop: Header=BB4_49 Depth=1
	s_or_b64 exec, exec, s[26:27]
	buffer_load_dword v56, off, s[0:3], s33 offset:196 ; 4-byte Folded Reload
	buffer_load_dword v57, off, s[0:3], s33 offset:200 ; 4-byte Folded Reload
	;; [unrolled: 1-line block ×4, first 2 shown]
	v_mov_b32_e32 v58, 1
.LBB4_1535:                             ;   in Loop: Header=BB4_49 Depth=1
	s_or_b64 exec, exec, s[24:25]
	buffer_load_dword v1, off, s[0:3], s33 offset:144 ; 4-byte Folded Reload
	s_mov_b64 s[20:21], 0
	v_mov_b32_e32 v4, 0
                                        ; implicit-def: $vgpr5
                                        ; implicit-def: $vgpr2
	s_waitcnt vmcnt(0)
	v_and_b32_e32 v0, 0x3ffff800, v1
	v_cmp_ne_u32_e32 vcc, v1, v0
	s_and_saveexec_b64 s[92:93], vcc
	s_cbranch_execz .LBB4_2245
; %bb.1536:                             ;   in Loop: Header=BB4_49 Depth=1
	buffer_load_dword v11, off, s[0:3], s33 offset:144 ; 4-byte Folded Reload
	buffer_load_dword v3, off, s[0:3], s33 offset:220 ; 4-byte Folded Reload
	v_lshlrev_b32_e32 v1, 6, v42
	s_waitcnt vmcnt(1)
	v_and_b32_e32 v2, 0x7ff, v11
	s_waitcnt vmcnt(0)
	v_sub_u32_e32 v1, v3, v1
	v_ashrrev_i32_e32 v3, 31, v1
	v_lshrrev_b32_e32 v3, 26, v3
	v_add_u32_e32 v3, v1, v3
	v_ashrrev_i32_e32 v10, 6, v3
	v_and_b32_e32 v3, 0xffffffc0, v3
	v_sub_u32_e32 v26, v1, v3
	v_lshlrev_b32_e32 v1, 4, v26
	v_lshl_add_u32 v1, v10, 10, v1
	v_and_b32_e32 v27, 0x3ff, v11
	v_sub_u32_e32 v30, v2, v1
	v_bfe_u32 v2, v11, 10, 1
	v_cmp_lt_u32_e64 s[20:21], 15, v27
	v_addc_co_u32_e64 v2, vcc, 0, v2, s[20:21]
	v_sub_u32_e32 v29, v2, v10
	v_cmp_lt_i32_e32 vcc, 15, v30
	s_and_saveexec_b64 s[94:95], vcc
	s_cbranch_execz .LBB4_2244
; %bb.1537:                             ;   in Loop: Header=BB4_49 Depth=1
	v_add_u32_e32 v2, v1, v0
	s_trap 2
	ds_read_b64 v[0:1], v0
	buffer_load_dword v10, off, s[0:3], s33 offset:164 ; 4-byte Folded Reload
	buffer_load_dword v11, off, s[0:3], s33 offset:168 ; 4-byte Folded Reload
	v_ashrrev_i32_e32 v3, 31, v2
	s_bitcmp1_b32 s67, 0
	s_mov_b64 s[30:31], 0
	s_cselect_b64 s[34:35], -1, 0
	s_waitcnt vmcnt(1)
	v_add_co_u32_e32 v18, vcc, v2, v10
	s_waitcnt vmcnt(0)
	v_addc_co_u32_e32 v19, vcc, v3, v11, vcc
	s_waitcnt lgkmcnt(0)
	v_add_co_u32_e32 v20, vcc, v0, v2
	v_addc_co_u32_e32 v21, vcc, v1, v3, vcc
	v_add_co_u32_e32 v22, vcc, v2, v59
	v_addc_co_u32_e32 v23, vcc, v3, v60, vcc
	s_branch .LBB4_1539
.LBB4_1538:                             ;   in Loop: Header=BB4_1539 Depth=2
	s_or_b64 exec, exec, s[22:23]
	v_lshl_or_b32 v0, v0, 8, v51
	v_lshlrev_b32_e32 v3, 16, v25
	v_lshlrev_b32_e32 v1, 24, v1
	v_or3_b32 v11, v0, v3, v1
	v_lshl_or_b32 v0, v34, 8, v31
	v_lshlrev_b32_e32 v1, 16, v35
	v_lshlrev_b32_e32 v3, 24, v50
	v_or3_b32 v10, v0, v1, v3
	;; [unrolled: 4-line block ×3, first 2 shown]
	v_lshlrev_b32_e32 v0, 24, v2
	v_lshlrev_b32_e32 v1, 16, v40
	v_lshl_or_b32 v2, v14, 8, v15
	v_or3_b32 v13, v2, v1, v0
	buffer_load_dword v0, off, s[0:3], s33 offset:100 ; 4-byte Folded Reload
	s_waitcnt vmcnt(0)
	v_add_co_u32_e32 v18, vcc, v18, v0
	v_addc_co_u32_e32 v19, vcc, 0, v19, vcc
	v_add_co_u32_e32 v20, vcc, v20, v0
	v_addc_co_u32_e32 v21, vcc, 0, v21, vcc
	global_store_dwordx4 v[22:23], v[10:13], off glc slc
	v_add_co_u32_e32 v22, vcc, v22, v0
	v_sub_u32_e32 v30, v30, v0
	buffer_load_dword v0, off, s[0:3], s33 offset:76 ; 4-byte Folded Reload
	v_addc_co_u32_e32 v23, vcc, 0, v23, vcc
	v_cmp_gt_i32_e32 vcc, 16, v30
	s_or_b64 s[30:31], vcc, s[30:31]
	s_waitcnt vmcnt(0)
	v_sub_u32_e32 v29, v29, v0
	s_andn2_b64 exec, exec, s[30:31]
	s_cbranch_execz .LBB4_2243
.LBB4_1539:                             ;   Parent Loop BB4_49 Depth=1
                                        ; =>  This Inner Loop Header: Depth=2
	global_load_dwordx4 v[10:13], v[18:19], off glc slc
	global_load_dwordx4 v[14:17], v[20:21], off glc slc
	s_mov_b64 s[26:27], -1
	s_waitcnt vmcnt(1)
	v_cmp_ne_u16_sdwa s[24:25], v10, v53 src0_sel:BYTE_0 src1_sel:DWORD
	s_waitcnt vmcnt(0)
	v_and_b32_e32 v0, 7, v14
	v_ffbh_u32_e32 v0, v0
	v_and_b32_e32 v1, 0x7f, v14
	v_min_u32_e32 v0, 32, v0
	v_bfe_u32 v2, v14, 3, 4
	v_cmp_eq_u32_e64 s[22:23], s54, v1
	v_cmp_gt_u32_e32 vcc, 8, v1
	v_subrev_u32_e32 v1, 28, v0
	v_sub_u32_e32 v0, 29, v0
	v_cndmask_b32_e32 v2, v2, v0, vcc
	v_cndmask_b32_e32 v0, 0, v1, vcc
	v_lshlrev_b64 v[0:1], v0, v[14:15]
	v_lshlrev_b32_e32 v1, 24, v14
	v_lshlrev_b32_e32 v0, 20, v0
	v_and_b32_e32 v0, 0x700000, v0
	v_and_b32_e32 v1, 0x80000000, v1
	v_lshl_add_u32 v2, v2, 23, v43
	v_or3_b32 v0, v1, v2, v0
	s_and_b64 vcc, exec, s[34:35]
                                        ; implicit-def: $vgpr1
	s_cbranch_vccz .LBB4_1553
; %bb.1540:                             ;   in Loop: Header=BB4_1539 Depth=2
	v_mov_b32_e32 v1, 0
	s_and_saveexec_b64 s[26:27], s[24:25]
	s_cbranch_execz .LBB4_1546
; %bb.1541:                             ;   in Loop: Header=BB4_1539 Depth=2
	v_cmp_ne_u16_sdwa vcc, v10, s53 src0_sel:BYTE_0 src1_sel:DWORD
	v_bfrev_b32_e32 v1, 1
	s_and_saveexec_b64 s[28:29], vcc
	s_cbranch_execz .LBB4_1545
; %bb.1542:                             ;   in Loop: Header=BB4_1539 Depth=2
	v_and_b32_e32 v2, 0x7f, v10
	v_cmp_ne_u32_e32 vcc, s54, v2
	v_mov_b32_e32 v1, 0x7f800001
	s_and_saveexec_b64 s[36:37], vcc
	s_cbranch_execz .LBB4_1544
; %bb.1543:                             ;   in Loop: Header=BB4_1539 Depth=2
	v_and_b32_e32 v1, 7, v10
	v_ffbh_u32_e32 v1, v1
	v_min_u32_e32 v1, 32, v1
	v_lshrrev_b32_e32 v3, 3, v2
	v_cmp_gt_u32_e32 vcc, 8, v2
	v_subrev_u32_e32 v2, 28, v1
	v_sub_u32_e32 v1, 29, v1
	v_cndmask_b32_e32 v3, v3, v1, vcc
	v_cndmask_b32_e32 v1, 0, v2, vcc
	v_lshlrev_b64 v[1:2], v1, v[10:11]
	v_lshlrev_b32_e32 v2, 24, v10
	v_lshlrev_b32_e32 v1, 20, v1
	v_and_b32_e32 v1, 0x700000, v1
	v_and_b32_e32 v2, 0x80000000, v2
	v_lshl_add_u32 v3, v3, 23, v43
	v_or3_b32 v1, v2, v3, v1
.LBB4_1544:                             ;   in Loop: Header=BB4_1539 Depth=2
	s_or_b64 exec, exec, s[36:37]
.LBB4_1545:                             ;   in Loop: Header=BB4_1539 Depth=2
	s_or_b64 exec, exec, s[28:29]
.LBB4_1546:                             ;   in Loop: Header=BB4_1539 Depth=2
	s_or_b64 exec, exec, s[26:27]
	v_cmp_gt_i16_sdwa s[28:29], v14, s54 src0_sel:BYTE_0 src1_sel:DWORD
	s_mov_b64 s[26:27], 0
	s_and_saveexec_b64 vcc, s[28:29]
	s_xor_b64 s[28:29], exec, vcc
	s_cbranch_execz .LBB4_2195
; %bb.1547:                             ;   in Loop: Header=BB4_1539 Depth=2
	v_cmp_eq_u16_sdwa s[36:37], v14, s53 src0_sel:BYTE_0 src1_sel:DWORD
	s_mov_b64 s[26:27], -1
	s_and_saveexec_b64 vcc, s[36:37]
; %bb.1548:                             ;   in Loop: Header=BB4_1539 Depth=2
	s_xor_b64 s[26:27], exec, -1
; %bb.1549:                             ;   in Loop: Header=BB4_1539 Depth=2
	s_or_b64 exec, exec, vcc
	s_and_b64 s[26:27], s[26:27], exec
	s_or_saveexec_b64 s[28:29], s[28:29]
	v_bfrev_b32_e32 v2, 1
	s_xor_b64 exec, exec, s[28:29]
	s_cbranch_execnz .LBB4_2196
.LBB4_1550:                             ;   in Loop: Header=BB4_1539 Depth=2
	s_or_b64 exec, exec, s[28:29]
	s_and_saveexec_b64 s[28:29], s[26:27]
.LBB4_1551:                             ;   in Loop: Header=BB4_1539 Depth=2
	v_mov_b32_e32 v2, 0x7f800001
	v_cndmask_b32_e64 v2, v0, v2, s[22:23]
.LBB4_1552:                             ;   in Loop: Header=BB4_1539 Depth=2
	s_or_b64 exec, exec, s[28:29]
	v_max_f32_e32 v2, v2, v2
	v_max_f32_e32 v1, v1, v1
	;; [unrolled: 1-line block ×3, first 2 shown]
	s_mov_b64 s[26:27], 0
.LBB4_1553:                             ;   in Loop: Header=BB4_1539 Depth=2
	s_and_b64 vcc, exec, s[26:27]
	s_cbranch_vccz .LBB4_1567
; %bb.1554:                             ;   in Loop: Header=BB4_1539 Depth=2
	v_mov_b32_e32 v1, 0
	s_and_saveexec_b64 s[26:27], s[24:25]
	s_cbranch_execz .LBB4_1560
; %bb.1555:                             ;   in Loop: Header=BB4_1539 Depth=2
	v_cmp_ne_u16_sdwa s[28:29], v10, s53 src0_sel:BYTE_0 src1_sel:DWORD
	v_bfrev_b32_e32 v1, 1
	s_and_saveexec_b64 s[24:25], s[28:29]
	s_cbranch_execz .LBB4_1559
; %bb.1556:                             ;   in Loop: Header=BB4_1539 Depth=2
	v_and_b32_e32 v2, 0x7f, v10
	v_cmp_ne_u32_e32 vcc, s54, v2
	v_mov_b32_e32 v1, 0x7f800001
	s_and_saveexec_b64 s[28:29], vcc
	s_cbranch_execz .LBB4_1558
; %bb.1557:                             ;   in Loop: Header=BB4_1539 Depth=2
	v_and_b32_e32 v1, 7, v10
	v_ffbh_u32_e32 v1, v1
	v_min_u32_e32 v1, 32, v1
	v_lshrrev_b32_e32 v3, 3, v2
	v_cmp_gt_u32_e32 vcc, 8, v2
	v_subrev_u32_e32 v2, 28, v1
	v_sub_u32_e32 v1, 29, v1
	v_cndmask_b32_e32 v3, v3, v1, vcc
	v_cndmask_b32_e32 v1, 0, v2, vcc
	v_lshlrev_b64 v[1:2], v1, v[10:11]
	v_lshlrev_b32_e32 v2, 24, v10
	v_lshlrev_b32_e32 v1, 20, v1
	v_and_b32_e32 v1, 0x700000, v1
	v_and_b32_e32 v2, 0x80000000, v2
	v_lshl_add_u32 v3, v3, 23, v43
	v_or3_b32 v1, v2, v3, v1
.LBB4_1558:                             ;   in Loop: Header=BB4_1539 Depth=2
	s_or_b64 exec, exec, s[28:29]
.LBB4_1559:                             ;   in Loop: Header=BB4_1539 Depth=2
	s_or_b64 exec, exec, s[24:25]
.LBB4_1560:                             ;   in Loop: Header=BB4_1539 Depth=2
	s_or_b64 exec, exec, s[26:27]
	v_cmp_gt_i16_sdwa s[26:27], v14, s54 src0_sel:BYTE_0 src1_sel:DWORD
	s_mov_b64 s[24:25], 0
	s_and_saveexec_b64 s[28:29], s[26:27]
	s_xor_b64 s[26:27], exec, s[28:29]
	s_cbranch_execz .LBB4_2197
; %bb.1561:                             ;   in Loop: Header=BB4_1539 Depth=2
	v_cmp_eq_u16_sdwa vcc, v14, s53 src0_sel:BYTE_0 src1_sel:DWORD
	s_mov_b64 s[24:25], -1
	s_and_saveexec_b64 s[28:29], vcc
; %bb.1562:                             ;   in Loop: Header=BB4_1539 Depth=2
	s_xor_b64 s[24:25], exec, -1
; %bb.1563:                             ;   in Loop: Header=BB4_1539 Depth=2
	s_or_b64 exec, exec, s[28:29]
	s_and_b64 s[24:25], s[24:25], exec
	s_or_saveexec_b64 s[26:27], s[26:27]
	v_bfrev_b32_e32 v2, 1
	s_xor_b64 exec, exec, s[26:27]
	s_cbranch_execnz .LBB4_2198
.LBB4_1564:                             ;   in Loop: Header=BB4_1539 Depth=2
	s_or_b64 exec, exec, s[26:27]
	s_and_saveexec_b64 s[26:27], s[24:25]
.LBB4_1565:                             ;   in Loop: Header=BB4_1539 Depth=2
	v_mov_b32_e32 v2, 0x7f800001
	v_cndmask_b32_e64 v2, v0, v2, s[22:23]
.LBB4_1566:                             ;   in Loop: Header=BB4_1539 Depth=2
	s_or_b64 exec, exec, s[26:27]
	v_max_f32_e32 v0, v2, v2
	v_max_f32_e32 v1, v1, v1
	v_min_f32_e32 v1, v1, v0
.LBB4_1567:                             ;   in Loop: Header=BB4_1539 Depth=2
	v_and_b32_e32 v52, 0x7f800000, v1
	v_cmp_ne_u64_e32 vcc, s[72:73], v[52:53]
                                        ; implicit-def: $vgpr31
	s_and_saveexec_b64 s[22:23], vcc
	s_xor_b64 s[24:25], exec, s[22:23]
	s_cbranch_execz .LBB4_1581
; %bb.1568:                             ;   in Loop: Header=BB4_1539 Depth=2
	v_and_b32_e32 v52, 0x7fffffff, v1
	v_cmp_gt_u64_e32 vcc, s[74:75], v[52:53]
	v_and_b32_sdwa v0, v1, s53 dst_sel:DWORD dst_unused:UNUSED_PAD src0_sel:BYTE_3 src1_sel:DWORD
                                        ; implicit-def: $vgpr31
	s_and_saveexec_b64 s[22:23], vcc
	s_xor_b64 s[26:27], exec, s[22:23]
	s_cbranch_execz .LBB4_1578
; %bb.1569:                             ;   in Loop: Header=BB4_1539 Depth=2
	v_mov_b32_e32 v31, 0
	v_cmp_ne_u32_e32 vcc, 0, v1
	s_and_saveexec_b64 s[28:29], vcc
	s_cbranch_execz .LBB4_1577
; %bb.1570:                             ;   in Loop: Header=BB4_1539 Depth=2
	v_and_b32_e32 v2, 0x7fffff, v1
	v_bfe_u32 v1, v1, 23, 8
	v_cmp_gt_u32_e64 s[22:23], s64, v1
	v_sub_u32_e32 v3, 0x79, v1
	v_cmp_eq_u32_e32 vcc, 0, v1
	v_cndmask_b32_e64 v3, 0, v3, s[22:23]
	v_mov_b32_e32 v25, 0x78
	v_or_b32_e32 v24, 0x800000, v2
	v_cndmask_b32_e32 v31, v3, v25, vcc
	v_cndmask_b32_e32 v52, v24, v2, vcc
	v_add_u32_e32 v2, 20, v31
	v_lshlrev_b64 v[2:3], v2, -1
	v_add_u32_e32 v24, 19, v31
	v_lshlrev_b64 v[24:25], v24, 1
	v_bfi_b32 v3, v3, 0, 0
	v_bfi_b32 v2, v2, 0, v52
	v_cmp_eq_u64_e64 s[22:23], v[2:3], v[24:25]
	v_lshrrev_b64 v[24:25], v31, v[52:53]
	v_mov_b32_e32 v2, v24
	v_mov_b32_e32 v3, v25
	s_and_saveexec_b64 s[36:37], s[22:23]
; %bb.1571:                             ;   in Loop: Header=BB4_1539 Depth=2
	v_bfe_u32 v2, v24, 20, 1
	v_add_co_u32_e64 v2, s[22:23], v24, v2
	v_add_co_u32_e64 v2, s[22:23], -1, v2
; %bb.1572:                             ;   in Loop: Header=BB4_1539 Depth=2
	s_or_b64 exec, exec, s[36:37]
	v_add_u32_e32 v1, 0xffffff81, v1
	v_cndmask_b32_e32 v1, v1, v49, vcc
	v_lshrrev_b32_e32 v3, 23, v24
	v_add3_u32 v31, v31, v1, v3
	v_add_u32_e32 v3, 6, v31
	v_and_b32_e32 v1, 0xfffff, v2
	v_add_u32_e32 v52, v1, v24
	v_cmp_ne_u32_e32 vcc, 0, v3
                                        ; implicit-def: $vgpr24_vgpr25
                                        ; implicit-def: $vgpr1
	s_and_saveexec_b64 s[22:23], vcc
	s_xor_b64 s[22:23], exec, s[22:23]
; %bb.1573:                             ;   in Loop: Header=BB4_1539 Depth=2
	v_cmp_lt_u64_e32 vcc, s[76:77], v[52:53]
	v_add_u32_e32 v1, 7, v31
	v_cndmask_b32_e64 v2, 0, 1, vcc
	v_cndmask_b32_e32 v1, v3, v1, vcc
	v_lshrrev_b64 v[24:25], v2, v[52:53]
; %bb.1574:                             ;   in Loop: Header=BB4_1539 Depth=2
	s_andn2_saveexec_b64 s[22:23], s[22:23]
; %bb.1575:                             ;   in Loop: Header=BB4_1539 Depth=2
	v_mov_b32_e32 v24, v52
	v_bfe_u32 v1, v52, 23, 1
	v_mov_b32_e32 v25, v53
; %bb.1576:                             ;   in Loop: Header=BB4_1539 Depth=2
	s_or_b64 exec, exec, s[22:23]
	v_lshrrev_b64 v[2:3], 20, v[24:25]
	v_cmp_gt_i32_e32 vcc, 16, v1
	v_cndmask_b32_e32 v3, 0, v3, vcc
	v_cndmask_b32_e32 v2, 7, v2, vcc
	v_cmp_eq_u32_e32 vcc, 0, v1
	v_min_i32_e32 v1, 15, v1
	v_cmp_eq_u64_e64 s[22:23], 0, v[2:3]
	v_lshlrev_b32_e32 v1, 3, v1
	v_and_b32_e32 v1, 0xf8, v1
	v_and_or_b32 v1, v2, 7, v1
	s_and_b64 s[22:23], vcc, s[22:23]
	v_cndmask_b32_e64 v1, v1, 0, s[22:23]
	v_or_b32_e32 v31, v1, v0
.LBB4_1577:                             ;   in Loop: Header=BB4_1539 Depth=2
	s_or_b64 exec, exec, s[28:29]
                                        ; implicit-def: $vgpr0
.LBB4_1578:                             ;   in Loop: Header=BB4_1539 Depth=2
	s_andn2_saveexec_b64 s[22:23], s[26:27]
; %bb.1579:                             ;   in Loop: Header=BB4_1539 Depth=2
	v_or_b32_e32 v31, 0x7e, v0
; %bb.1580:                             ;   in Loop: Header=BB4_1539 Depth=2
	s_or_b64 exec, exec, s[22:23]
                                        ; implicit-def: $vgpr1
.LBB4_1581:                             ;   in Loop: Header=BB4_1539 Depth=2
	s_andn2_saveexec_b64 s[22:23], s[24:25]
; %bb.1582:                             ;   in Loop: Header=BB4_1539 Depth=2
	v_or_b32_sdwa v31, v1, s54 dst_sel:DWORD dst_unused:UNUSED_PAD src0_sel:BYTE_3 src1_sel:DWORD
; %bb.1583:                             ;   in Loop: Header=BB4_1539 Depth=2
	s_or_b64 exec, exec, s[22:23]
	v_lshrrev_b16_e32 v52, 8, v14
	v_and_b32_e32 v2, 7, v52
	v_and_b32_e32 v0, 0x7f, v52
	v_cmp_eq_u32_e64 s[22:23], s54, v0
	v_cmp_gt_u32_e32 vcc, 8, v0
	v_ffbh_u32_e32 v0, v2
	v_min_u32_e32 v24, 32, v0
	v_subrev_u32_e32 v0, 28, v24
	v_lshlrev_b64 v[0:1], v0, v[52:53]
	v_bfe_u32 v3, v52, 3, 4
	v_sub_u32_e32 v1, 29, v24
	v_and_b32_e32 v0, 7, v0
	v_cndmask_b32_e32 v1, v3, v1, vcc
	v_cndmask_b32_e32 v0, v2, v0, vcc
	v_lshlrev_b32_e32 v2, 24, v52
	v_lshlrev_b32_e32 v0, 20, v0
	v_and_b32_e32 v2, 0x80000000, v2
	v_lshl_add_u32 v1, v1, 23, v43
	v_lshrrev_b16_e32 v24, 8, v10
	v_or3_b32 v0, v2, v1, v0
	v_cmp_ne_u16_e64 s[24:25], 0, v24
	s_mov_b64 s[26:27], -1
	s_and_b64 vcc, exec, s[34:35]
                                        ; implicit-def: $vgpr1
	s_cbranch_vccz .LBB4_1597
; %bb.1584:                             ;   in Loop: Header=BB4_1539 Depth=2
	v_mov_b32_e32 v1, 0
	s_and_saveexec_b64 s[26:27], s[24:25]
	s_cbranch_execz .LBB4_1590
; %bb.1585:                             ;   in Loop: Header=BB4_1539 Depth=2
	v_cmp_ne_u16_e32 vcc, s53, v24
	v_bfrev_b32_e32 v1, 1
	s_and_saveexec_b64 s[28:29], vcc
	s_cbranch_execz .LBB4_1589
; %bb.1586:                             ;   in Loop: Header=BB4_1539 Depth=2
	v_and_b32_e32 v2, 0x7f, v24
	v_cmp_ne_u32_e32 vcc, s54, v2
	v_mov_b32_e32 v1, 0x7f800001
	s_and_saveexec_b64 s[36:37], vcc
	s_cbranch_execz .LBB4_1588
; %bb.1587:                             ;   in Loop: Header=BB4_1539 Depth=2
	v_and_b32_e32 v3, 7, v24
	v_ffbh_u32_e32 v1, v3
	v_min_u32_e32 v34, 32, v1
	v_lshrrev_b32_e32 v25, 3, v2
	v_subrev_u32_e32 v1, 28, v34
	v_cmp_gt_u32_e32 vcc, 8, v2
	v_lshlrev_b64 v[1:2], v1, v[24:25]
	v_sub_u32_e32 v2, 29, v34
	v_and_b32_e32 v1, 7, v1
	v_cndmask_b32_e32 v2, v25, v2, vcc
	v_cndmask_b32_e32 v1, v3, v1, vcc
	v_lshlrev_b32_e32 v3, 16, v10
	v_lshlrev_b32_e32 v1, 20, v1
	v_and_b32_e32 v3, 0x80000000, v3
	v_lshl_add_u32 v2, v2, 23, v43
	v_or3_b32 v1, v3, v2, v1
.LBB4_1588:                             ;   in Loop: Header=BB4_1539 Depth=2
	s_or_b64 exec, exec, s[36:37]
.LBB4_1589:                             ;   in Loop: Header=BB4_1539 Depth=2
	s_or_b64 exec, exec, s[28:29]
.LBB4_1590:                             ;   in Loop: Header=BB4_1539 Depth=2
	s_or_b64 exec, exec, s[26:27]
	v_cmp_lt_i16_e32 vcc, s54, v52
	s_mov_b64 s[26:27], 0
	s_and_saveexec_b64 s[28:29], vcc
	s_xor_b64 s[28:29], exec, s[28:29]
	s_cbranch_execz .LBB4_2199
; %bb.1591:                             ;   in Loop: Header=BB4_1539 Depth=2
	v_cmp_eq_u16_e32 vcc, s53, v52
	s_mov_b64 s[26:27], -1
	s_and_saveexec_b64 s[36:37], vcc
; %bb.1592:                             ;   in Loop: Header=BB4_1539 Depth=2
	s_xor_b64 s[26:27], exec, -1
; %bb.1593:                             ;   in Loop: Header=BB4_1539 Depth=2
	s_or_b64 exec, exec, s[36:37]
	s_and_b64 s[26:27], s[26:27], exec
	s_or_saveexec_b64 s[28:29], s[28:29]
	v_bfrev_b32_e32 v2, 1
	s_xor_b64 exec, exec, s[28:29]
	s_cbranch_execnz .LBB4_2200
.LBB4_1594:                             ;   in Loop: Header=BB4_1539 Depth=2
	s_or_b64 exec, exec, s[28:29]
	s_and_saveexec_b64 s[28:29], s[26:27]
.LBB4_1595:                             ;   in Loop: Header=BB4_1539 Depth=2
	v_mov_b32_e32 v2, 0x7f800001
	v_cndmask_b32_e64 v2, v0, v2, s[22:23]
.LBB4_1596:                             ;   in Loop: Header=BB4_1539 Depth=2
	s_or_b64 exec, exec, s[28:29]
	v_max_f32_e32 v2, v2, v2
	v_max_f32_e32 v1, v1, v1
	;; [unrolled: 1-line block ×3, first 2 shown]
	s_mov_b64 s[26:27], 0
.LBB4_1597:                             ;   in Loop: Header=BB4_1539 Depth=2
	s_and_b64 vcc, exec, s[26:27]
	s_cbranch_vccz .LBB4_1611
; %bb.1598:                             ;   in Loop: Header=BB4_1539 Depth=2
	v_mov_b32_e32 v1, 0
	s_and_saveexec_b64 s[26:27], s[24:25]
	s_cbranch_execz .LBB4_1604
; %bb.1599:                             ;   in Loop: Header=BB4_1539 Depth=2
	v_cmp_ne_u16_e32 vcc, s53, v24
	v_bfrev_b32_e32 v1, 1
	s_and_saveexec_b64 s[24:25], vcc
	s_cbranch_execz .LBB4_1603
; %bb.1600:                             ;   in Loop: Header=BB4_1539 Depth=2
	v_and_b32_e32 v2, 0x7f, v24
	v_cmp_ne_u32_e32 vcc, s54, v2
	v_mov_b32_e32 v1, 0x7f800001
	s_and_saveexec_b64 s[28:29], vcc
	s_cbranch_execz .LBB4_1602
; %bb.1601:                             ;   in Loop: Header=BB4_1539 Depth=2
	v_and_b32_e32 v3, 7, v24
	v_ffbh_u32_e32 v1, v3
	v_min_u32_e32 v34, 32, v1
	v_lshrrev_b32_e32 v25, 3, v2
	v_subrev_u32_e32 v1, 28, v34
	v_cmp_gt_u32_e32 vcc, 8, v2
	v_lshlrev_b64 v[1:2], v1, v[24:25]
	v_sub_u32_e32 v2, 29, v34
	v_and_b32_e32 v1, 7, v1
	v_cndmask_b32_e32 v2, v25, v2, vcc
	v_cndmask_b32_e32 v1, v3, v1, vcc
	v_lshlrev_b32_e32 v3, 16, v10
	v_lshlrev_b32_e32 v1, 20, v1
	v_and_b32_e32 v3, 0x80000000, v3
	v_lshl_add_u32 v2, v2, 23, v43
	v_or3_b32 v1, v3, v2, v1
.LBB4_1602:                             ;   in Loop: Header=BB4_1539 Depth=2
	s_or_b64 exec, exec, s[28:29]
.LBB4_1603:                             ;   in Loop: Header=BB4_1539 Depth=2
	s_or_b64 exec, exec, s[24:25]
.LBB4_1604:                             ;   in Loop: Header=BB4_1539 Depth=2
	s_or_b64 exec, exec, s[26:27]
	v_cmp_lt_i16_e32 vcc, s54, v52
	s_mov_b64 s[24:25], 0
	s_and_saveexec_b64 s[26:27], vcc
	s_xor_b64 s[26:27], exec, s[26:27]
	s_cbranch_execz .LBB4_2201
; %bb.1605:                             ;   in Loop: Header=BB4_1539 Depth=2
	v_cmp_eq_u16_e32 vcc, s53, v52
	s_mov_b64 s[24:25], -1
	s_and_saveexec_b64 s[28:29], vcc
; %bb.1606:                             ;   in Loop: Header=BB4_1539 Depth=2
	s_xor_b64 s[24:25], exec, -1
; %bb.1607:                             ;   in Loop: Header=BB4_1539 Depth=2
	s_or_b64 exec, exec, s[28:29]
	s_and_b64 s[24:25], s[24:25], exec
	s_or_saveexec_b64 s[26:27], s[26:27]
	v_bfrev_b32_e32 v2, 1
	s_xor_b64 exec, exec, s[26:27]
	s_cbranch_execnz .LBB4_2202
.LBB4_1608:                             ;   in Loop: Header=BB4_1539 Depth=2
	s_or_b64 exec, exec, s[26:27]
	s_and_saveexec_b64 s[26:27], s[24:25]
.LBB4_1609:                             ;   in Loop: Header=BB4_1539 Depth=2
	v_mov_b32_e32 v2, 0x7f800001
	v_cndmask_b32_e64 v2, v0, v2, s[22:23]
.LBB4_1610:                             ;   in Loop: Header=BB4_1539 Depth=2
	s_or_b64 exec, exec, s[26:27]
	v_max_f32_e32 v0, v2, v2
	v_max_f32_e32 v1, v1, v1
	v_min_f32_e32 v1, v1, v0
.LBB4_1611:                             ;   in Loop: Header=BB4_1539 Depth=2
	v_and_b32_e32 v52, 0x7f800000, v1
	v_cmp_ne_u64_e32 vcc, s[72:73], v[52:53]
                                        ; implicit-def: $vgpr34
	s_and_saveexec_b64 s[22:23], vcc
	s_xor_b64 s[24:25], exec, s[22:23]
	s_cbranch_execz .LBB4_1625
; %bb.1612:                             ;   in Loop: Header=BB4_1539 Depth=2
	v_and_b32_e32 v52, 0x7fffffff, v1
	v_cmp_gt_u64_e32 vcc, s[74:75], v[52:53]
	v_and_b32_sdwa v0, v1, s53 dst_sel:DWORD dst_unused:UNUSED_PAD src0_sel:BYTE_3 src1_sel:DWORD
                                        ; implicit-def: $vgpr34
	s_and_saveexec_b64 s[22:23], vcc
	s_xor_b64 s[26:27], exec, s[22:23]
	s_cbranch_execz .LBB4_1622
; %bb.1613:                             ;   in Loop: Header=BB4_1539 Depth=2
	v_mov_b32_e32 v34, 0
	v_cmp_ne_u32_e32 vcc, 0, v1
	s_and_saveexec_b64 s[28:29], vcc
	s_cbranch_execz .LBB4_1621
; %bb.1614:                             ;   in Loop: Header=BB4_1539 Depth=2
	v_and_b32_e32 v2, 0x7fffff, v1
	v_bfe_u32 v1, v1, 23, 8
	v_cmp_gt_u32_e64 s[22:23], s64, v1
	v_sub_u32_e32 v3, 0x79, v1
	v_cmp_eq_u32_e32 vcc, 0, v1
	v_cndmask_b32_e64 v3, 0, v3, s[22:23]
	v_mov_b32_e32 v25, 0x78
	v_or_b32_e32 v24, 0x800000, v2
	v_cndmask_b32_e32 v34, v3, v25, vcc
	v_cndmask_b32_e32 v52, v24, v2, vcc
	v_add_u32_e32 v2, 20, v34
	v_lshlrev_b64 v[2:3], v2, -1
	v_add_u32_e32 v24, 19, v34
	v_lshlrev_b64 v[24:25], v24, 1
	v_bfi_b32 v3, v3, 0, 0
	v_bfi_b32 v2, v2, 0, v52
	v_cmp_eq_u64_e64 s[22:23], v[2:3], v[24:25]
	v_lshrrev_b64 v[24:25], v34, v[52:53]
	v_mov_b32_e32 v2, v24
	v_mov_b32_e32 v3, v25
	s_and_saveexec_b64 s[36:37], s[22:23]
; %bb.1615:                             ;   in Loop: Header=BB4_1539 Depth=2
	v_bfe_u32 v2, v24, 20, 1
	v_add_co_u32_e64 v2, s[22:23], v24, v2
	v_add_co_u32_e64 v2, s[22:23], -1, v2
; %bb.1616:                             ;   in Loop: Header=BB4_1539 Depth=2
	s_or_b64 exec, exec, s[36:37]
	v_add_u32_e32 v1, 0xffffff81, v1
	v_cndmask_b32_e32 v1, v1, v49, vcc
	v_lshrrev_b32_e32 v3, 23, v24
	v_add3_u32 v34, v34, v1, v3
	v_add_u32_e32 v3, 6, v34
	v_and_b32_e32 v1, 0xfffff, v2
	v_add_u32_e32 v52, v1, v24
	v_cmp_ne_u32_e32 vcc, 0, v3
                                        ; implicit-def: $vgpr24_vgpr25
                                        ; implicit-def: $vgpr1
	s_and_saveexec_b64 s[22:23], vcc
	s_xor_b64 s[22:23], exec, s[22:23]
; %bb.1617:                             ;   in Loop: Header=BB4_1539 Depth=2
	v_cmp_lt_u64_e32 vcc, s[76:77], v[52:53]
	v_add_u32_e32 v1, 7, v34
	v_cndmask_b32_e64 v2, 0, 1, vcc
	v_cndmask_b32_e32 v1, v3, v1, vcc
	v_lshrrev_b64 v[24:25], v2, v[52:53]
; %bb.1618:                             ;   in Loop: Header=BB4_1539 Depth=2
	s_andn2_saveexec_b64 s[22:23], s[22:23]
; %bb.1619:                             ;   in Loop: Header=BB4_1539 Depth=2
	v_mov_b32_e32 v24, v52
	v_bfe_u32 v1, v52, 23, 1
	v_mov_b32_e32 v25, v53
; %bb.1620:                             ;   in Loop: Header=BB4_1539 Depth=2
	s_or_b64 exec, exec, s[22:23]
	v_lshrrev_b64 v[2:3], 20, v[24:25]
	v_cmp_gt_i32_e32 vcc, 16, v1
	v_cndmask_b32_e32 v3, 0, v3, vcc
	v_cndmask_b32_e32 v2, 7, v2, vcc
	v_cmp_eq_u32_e32 vcc, 0, v1
	v_min_i32_e32 v1, 15, v1
	v_cmp_eq_u64_e64 s[22:23], 0, v[2:3]
	v_lshlrev_b32_e32 v1, 3, v1
	v_and_b32_e32 v1, 0xf8, v1
	v_and_or_b32 v1, v2, 7, v1
	s_and_b64 s[22:23], vcc, s[22:23]
	v_cndmask_b32_e64 v1, v1, 0, s[22:23]
	v_or_b32_e32 v34, v1, v0
.LBB4_1621:                             ;   in Loop: Header=BB4_1539 Depth=2
	s_or_b64 exec, exec, s[28:29]
                                        ; implicit-def: $vgpr0
.LBB4_1622:                             ;   in Loop: Header=BB4_1539 Depth=2
	s_andn2_saveexec_b64 s[22:23], s[26:27]
; %bb.1623:                             ;   in Loop: Header=BB4_1539 Depth=2
	v_or_b32_e32 v34, 0x7e, v0
; %bb.1624:                             ;   in Loop: Header=BB4_1539 Depth=2
	s_or_b64 exec, exec, s[22:23]
                                        ; implicit-def: $vgpr1
.LBB4_1625:                             ;   in Loop: Header=BB4_1539 Depth=2
	s_andn2_saveexec_b64 s[22:23], s[24:25]
; %bb.1626:                             ;   in Loop: Header=BB4_1539 Depth=2
	v_or_b32_sdwa v34, v1, s54 dst_sel:DWORD dst_unused:UNUSED_PAD src0_sel:BYTE_3 src1_sel:DWORD
; %bb.1627:                             ;   in Loop: Header=BB4_1539 Depth=2
	s_or_b64 exec, exec, s[22:23]
	v_bfe_u32 v2, v14, 16, 3
	v_bfe_u32 v0, v14, 16, 7
	v_cmp_eq_u32_e64 s[22:23], s54, v0
	v_cmp_gt_u32_e32 vcc, 8, v0
	v_ffbh_u32_e32 v0, v2
	v_min_u32_e32 v25, 32, v0
	v_lshrrev_b32_e32 v24, 16, v14
	v_subrev_u32_e32 v0, 28, v25
	v_lshlrev_b64 v[0:1], v0, v[24:25]
	v_bfe_u32 v3, v24, 3, 4
	v_sub_u32_e32 v1, 29, v25
	v_and_b32_e32 v0, 7, v0
	v_cndmask_b32_e32 v1, v3, v1, vcc
	v_cndmask_b32_e32 v0, v2, v0, vcc
	v_lshlrev_b32_e32 v2, 8, v14
	v_lshlrev_b32_e32 v0, 20, v0
	v_and_b32_e32 v2, 0x80000000, v2
	v_lshl_add_u32 v1, v1, 23, v43
	v_lshrrev_b32_e32 v25, 16, v10
	v_or3_b32 v0, v2, v1, v0
	v_cmp_ne_u16_sdwa s[24:25], v25, v53 src0_sel:BYTE_0 src1_sel:DWORD
	s_mov_b64 s[26:27], -1
	s_and_b64 vcc, exec, s[34:35]
                                        ; implicit-def: $vgpr1
	s_cbranch_vccz .LBB4_1641
; %bb.1628:                             ;   in Loop: Header=BB4_1539 Depth=2
	v_mov_b32_e32 v1, 0
	s_and_saveexec_b64 s[26:27], s[24:25]
	s_cbranch_execz .LBB4_1634
; %bb.1629:                             ;   in Loop: Header=BB4_1539 Depth=2
	v_cmp_ne_u16_sdwa vcc, v25, s53 src0_sel:BYTE_0 src1_sel:DWORD
	v_bfrev_b32_e32 v1, 1
	s_and_saveexec_b64 s[28:29], vcc
	s_cbranch_execz .LBB4_1633
; %bb.1630:                             ;   in Loop: Header=BB4_1539 Depth=2
	v_bfe_u32 v2, v10, 16, 7
	v_cmp_ne_u32_e32 vcc, s54, v2
	v_mov_b32_e32 v1, 0x7f800001
	s_and_saveexec_b64 s[36:37], vcc
	s_cbranch_execz .LBB4_1632
; %bb.1631:                             ;   in Loop: Header=BB4_1539 Depth=2
	v_and_b32_e32 v3, 7, v25
	v_ffbh_u32_e32 v1, v3
	v_min_u32_e32 v36, 32, v1
	v_subrev_u32_e32 v1, 28, v36
	v_lshrrev_b32_e32 v35, 3, v2
	v_cmp_gt_u32_e32 vcc, 8, v2
	v_lshlrev_b64 v[1:2], v1, v[25:26]
	v_sub_u32_e32 v2, 29, v36
	v_and_b32_e32 v1, 7, v1
	v_cndmask_b32_e32 v2, v35, v2, vcc
	v_cndmask_b32_e32 v1, v3, v1, vcc
	v_lshlrev_b32_e32 v3, 24, v25
	v_lshlrev_b32_e32 v1, 20, v1
	v_and_b32_e32 v3, 0x80000000, v3
	v_lshl_add_u32 v2, v2, 23, v43
	v_or3_b32 v1, v3, v2, v1
.LBB4_1632:                             ;   in Loop: Header=BB4_1539 Depth=2
	s_or_b64 exec, exec, s[36:37]
.LBB4_1633:                             ;   in Loop: Header=BB4_1539 Depth=2
	s_or_b64 exec, exec, s[28:29]
.LBB4_1634:                             ;   in Loop: Header=BB4_1539 Depth=2
	s_or_b64 exec, exec, s[26:27]
	v_cmp_gt_i16_sdwa s[28:29], v24, s54 src0_sel:BYTE_0 src1_sel:DWORD
	s_mov_b64 s[26:27], 0
	s_and_saveexec_b64 vcc, s[28:29]
	s_xor_b64 s[28:29], exec, vcc
	s_cbranch_execz .LBB4_2203
; %bb.1635:                             ;   in Loop: Header=BB4_1539 Depth=2
	v_cmp_eq_u16_sdwa s[36:37], v24, s53 src0_sel:BYTE_0 src1_sel:DWORD
	s_mov_b64 s[26:27], -1
	s_and_saveexec_b64 vcc, s[36:37]
; %bb.1636:                             ;   in Loop: Header=BB4_1539 Depth=2
	s_xor_b64 s[26:27], exec, -1
; %bb.1637:                             ;   in Loop: Header=BB4_1539 Depth=2
	s_or_b64 exec, exec, vcc
	s_and_b64 s[26:27], s[26:27], exec
	s_or_saveexec_b64 s[28:29], s[28:29]
	v_bfrev_b32_e32 v2, 1
	s_xor_b64 exec, exec, s[28:29]
	s_cbranch_execnz .LBB4_2204
.LBB4_1638:                             ;   in Loop: Header=BB4_1539 Depth=2
	s_or_b64 exec, exec, s[28:29]
	s_and_saveexec_b64 s[28:29], s[26:27]
.LBB4_1639:                             ;   in Loop: Header=BB4_1539 Depth=2
	v_mov_b32_e32 v2, 0x7f800001
	v_cndmask_b32_e64 v2, v0, v2, s[22:23]
.LBB4_1640:                             ;   in Loop: Header=BB4_1539 Depth=2
	s_or_b64 exec, exec, s[28:29]
	v_max_f32_e32 v2, v2, v2
	v_max_f32_e32 v1, v1, v1
	;; [unrolled: 1-line block ×3, first 2 shown]
	s_mov_b64 s[26:27], 0
.LBB4_1641:                             ;   in Loop: Header=BB4_1539 Depth=2
	s_and_b64 vcc, exec, s[26:27]
	s_cbranch_vccz .LBB4_1655
; %bb.1642:                             ;   in Loop: Header=BB4_1539 Depth=2
	v_mov_b32_e32 v1, 0
	s_and_saveexec_b64 s[26:27], s[24:25]
	s_cbranch_execz .LBB4_1648
; %bb.1643:                             ;   in Loop: Header=BB4_1539 Depth=2
	v_cmp_ne_u16_sdwa s[28:29], v25, s53 src0_sel:BYTE_0 src1_sel:DWORD
	v_bfrev_b32_e32 v1, 1
	s_and_saveexec_b64 s[24:25], s[28:29]
	s_cbranch_execz .LBB4_1647
; %bb.1644:                             ;   in Loop: Header=BB4_1539 Depth=2
	v_bfe_u32 v2, v10, 16, 7
	v_cmp_ne_u32_e32 vcc, s54, v2
	v_mov_b32_e32 v1, 0x7f800001
	s_and_saveexec_b64 s[28:29], vcc
	s_cbranch_execz .LBB4_1646
; %bb.1645:                             ;   in Loop: Header=BB4_1539 Depth=2
	v_and_b32_e32 v3, 7, v25
	v_ffbh_u32_e32 v1, v3
	v_min_u32_e32 v36, 32, v1
	v_subrev_u32_e32 v1, 28, v36
	v_lshrrev_b32_e32 v35, 3, v2
	v_cmp_gt_u32_e32 vcc, 8, v2
	v_lshlrev_b64 v[1:2], v1, v[25:26]
	v_sub_u32_e32 v2, 29, v36
	v_and_b32_e32 v1, 7, v1
	v_cndmask_b32_e32 v2, v35, v2, vcc
	v_cndmask_b32_e32 v1, v3, v1, vcc
	v_lshlrev_b32_e32 v3, 24, v25
	v_lshlrev_b32_e32 v1, 20, v1
	v_and_b32_e32 v3, 0x80000000, v3
	v_lshl_add_u32 v2, v2, 23, v43
	v_or3_b32 v1, v3, v2, v1
.LBB4_1646:                             ;   in Loop: Header=BB4_1539 Depth=2
	s_or_b64 exec, exec, s[28:29]
.LBB4_1647:                             ;   in Loop: Header=BB4_1539 Depth=2
	s_or_b64 exec, exec, s[24:25]
.LBB4_1648:                             ;   in Loop: Header=BB4_1539 Depth=2
	s_or_b64 exec, exec, s[26:27]
	v_cmp_gt_i16_sdwa s[26:27], v24, s54 src0_sel:BYTE_0 src1_sel:DWORD
	s_mov_b64 s[24:25], 0
	s_and_saveexec_b64 s[28:29], s[26:27]
	s_xor_b64 s[26:27], exec, s[28:29]
	s_cbranch_execz .LBB4_2205
; %bb.1649:                             ;   in Loop: Header=BB4_1539 Depth=2
	v_cmp_eq_u16_sdwa vcc, v24, s53 src0_sel:BYTE_0 src1_sel:DWORD
	s_mov_b64 s[24:25], -1
	s_and_saveexec_b64 s[28:29], vcc
; %bb.1650:                             ;   in Loop: Header=BB4_1539 Depth=2
	s_xor_b64 s[24:25], exec, -1
; %bb.1651:                             ;   in Loop: Header=BB4_1539 Depth=2
	s_or_b64 exec, exec, s[28:29]
	s_and_b64 s[24:25], s[24:25], exec
                                        ; implicit-def: $vgpr24
	s_or_saveexec_b64 s[26:27], s[26:27]
	v_bfrev_b32_e32 v2, 1
	s_xor_b64 exec, exec, s[26:27]
	s_cbranch_execnz .LBB4_2206
.LBB4_1652:                             ;   in Loop: Header=BB4_1539 Depth=2
	s_or_b64 exec, exec, s[26:27]
	s_and_saveexec_b64 s[26:27], s[24:25]
.LBB4_1653:                             ;   in Loop: Header=BB4_1539 Depth=2
	v_mov_b32_e32 v2, 0x7f800001
	v_cndmask_b32_e64 v2, v0, v2, s[22:23]
.LBB4_1654:                             ;   in Loop: Header=BB4_1539 Depth=2
	s_or_b64 exec, exec, s[26:27]
	v_max_f32_e32 v0, v2, v2
	v_max_f32_e32 v1, v1, v1
	v_min_f32_e32 v1, v1, v0
.LBB4_1655:                             ;   in Loop: Header=BB4_1539 Depth=2
	v_and_b32_e32 v52, 0x7f800000, v1
	v_cmp_ne_u64_e32 vcc, s[72:73], v[52:53]
                                        ; implicit-def: $vgpr35
	s_and_saveexec_b64 s[22:23], vcc
	s_xor_b64 s[24:25], exec, s[22:23]
	s_cbranch_execz .LBB4_1669
; %bb.1656:                             ;   in Loop: Header=BB4_1539 Depth=2
	v_and_b32_e32 v52, 0x7fffffff, v1
	v_cmp_gt_u64_e32 vcc, s[74:75], v[52:53]
	v_and_b32_sdwa v0, v1, s53 dst_sel:DWORD dst_unused:UNUSED_PAD src0_sel:BYTE_3 src1_sel:DWORD
                                        ; implicit-def: $vgpr35
	s_and_saveexec_b64 s[22:23], vcc
	s_xor_b64 s[26:27], exec, s[22:23]
	s_cbranch_execz .LBB4_1666
; %bb.1657:                             ;   in Loop: Header=BB4_1539 Depth=2
	v_mov_b32_e32 v35, 0
	v_cmp_ne_u32_e32 vcc, 0, v1
	s_and_saveexec_b64 s[28:29], vcc
	s_cbranch_execz .LBB4_1665
; %bb.1658:                             ;   in Loop: Header=BB4_1539 Depth=2
	v_and_b32_e32 v2, 0x7fffff, v1
	v_bfe_u32 v1, v1, 23, 8
	v_cmp_gt_u32_e64 s[22:23], s64, v1
	v_sub_u32_e32 v3, 0x79, v1
	v_cmp_eq_u32_e32 vcc, 0, v1
	v_cndmask_b32_e64 v3, 0, v3, s[22:23]
	v_mov_b32_e32 v25, 0x78
	v_or_b32_e32 v24, 0x800000, v2
	v_cndmask_b32_e32 v35, v3, v25, vcc
	v_cndmask_b32_e32 v52, v24, v2, vcc
	v_add_u32_e32 v2, 20, v35
	v_lshlrev_b64 v[2:3], v2, -1
	v_add_u32_e32 v24, 19, v35
	v_lshlrev_b64 v[24:25], v24, 1
	v_bfi_b32 v3, v3, 0, 0
	v_bfi_b32 v2, v2, 0, v52
	v_cmp_eq_u64_e64 s[22:23], v[2:3], v[24:25]
	v_lshrrev_b64 v[24:25], v35, v[52:53]
	v_mov_b32_e32 v2, v24
	v_mov_b32_e32 v3, v25
	s_and_saveexec_b64 s[36:37], s[22:23]
; %bb.1659:                             ;   in Loop: Header=BB4_1539 Depth=2
	v_bfe_u32 v2, v24, 20, 1
	v_add_co_u32_e64 v2, s[22:23], v24, v2
	v_add_co_u32_e64 v2, s[22:23], -1, v2
; %bb.1660:                             ;   in Loop: Header=BB4_1539 Depth=2
	s_or_b64 exec, exec, s[36:37]
	v_add_u32_e32 v1, 0xffffff81, v1
	v_cndmask_b32_e32 v1, v1, v49, vcc
	v_lshrrev_b32_e32 v3, 23, v24
	v_add3_u32 v35, v35, v1, v3
	v_add_u32_e32 v3, 6, v35
	v_and_b32_e32 v1, 0xfffff, v2
	v_add_u32_e32 v52, v1, v24
	v_cmp_ne_u32_e32 vcc, 0, v3
                                        ; implicit-def: $vgpr24_vgpr25
                                        ; implicit-def: $vgpr1
	s_and_saveexec_b64 s[22:23], vcc
	s_xor_b64 s[22:23], exec, s[22:23]
; %bb.1661:                             ;   in Loop: Header=BB4_1539 Depth=2
	v_cmp_lt_u64_e32 vcc, s[76:77], v[52:53]
	v_add_u32_e32 v1, 7, v35
	v_cndmask_b32_e64 v2, 0, 1, vcc
	v_cndmask_b32_e32 v1, v3, v1, vcc
	v_lshrrev_b64 v[24:25], v2, v[52:53]
; %bb.1662:                             ;   in Loop: Header=BB4_1539 Depth=2
	s_andn2_saveexec_b64 s[22:23], s[22:23]
; %bb.1663:                             ;   in Loop: Header=BB4_1539 Depth=2
	v_mov_b32_e32 v24, v52
	v_bfe_u32 v1, v52, 23, 1
	v_mov_b32_e32 v25, v53
; %bb.1664:                             ;   in Loop: Header=BB4_1539 Depth=2
	s_or_b64 exec, exec, s[22:23]
	v_lshrrev_b64 v[2:3], 20, v[24:25]
	v_cmp_gt_i32_e32 vcc, 16, v1
	v_cndmask_b32_e32 v3, 0, v3, vcc
	v_cndmask_b32_e32 v2, 7, v2, vcc
	v_cmp_eq_u32_e32 vcc, 0, v1
	v_min_i32_e32 v1, 15, v1
	v_cmp_eq_u64_e64 s[22:23], 0, v[2:3]
	v_lshlrev_b32_e32 v1, 3, v1
	v_and_b32_e32 v1, 0xf8, v1
	v_and_or_b32 v1, v2, 7, v1
	s_and_b64 s[22:23], vcc, s[22:23]
	v_cndmask_b32_e64 v1, v1, 0, s[22:23]
	v_or_b32_e32 v35, v1, v0
.LBB4_1665:                             ;   in Loop: Header=BB4_1539 Depth=2
	s_or_b64 exec, exec, s[28:29]
                                        ; implicit-def: $vgpr0
.LBB4_1666:                             ;   in Loop: Header=BB4_1539 Depth=2
	s_andn2_saveexec_b64 s[22:23], s[26:27]
; %bb.1667:                             ;   in Loop: Header=BB4_1539 Depth=2
	v_or_b32_e32 v35, 0x7e, v0
; %bb.1668:                             ;   in Loop: Header=BB4_1539 Depth=2
	s_or_b64 exec, exec, s[22:23]
                                        ; implicit-def: $vgpr1
.LBB4_1669:                             ;   in Loop: Header=BB4_1539 Depth=2
	s_andn2_saveexec_b64 s[22:23], s[24:25]
; %bb.1670:                             ;   in Loop: Header=BB4_1539 Depth=2
	v_or_b32_sdwa v35, v1, s54 dst_sel:DWORD dst_unused:UNUSED_PAD src0_sel:BYTE_3 src1_sel:DWORD
; %bb.1671:                             ;   in Loop: Header=BB4_1539 Depth=2
	s_or_b64 exec, exec, s[22:23]
	v_bfe_u32 v2, v14, 24, 3
	v_bfe_u32 v1, v14, 24, 7
	v_cmp_eq_u32_e64 s[26:27], s54, v1
	v_cmp_gt_u32_e32 vcc, 8, v1
	v_ffbh_u32_e32 v1, v2
	v_min_u32_e32 v25, 32, v1
	v_lshrrev_b32_e32 v0, 24, v14
	v_subrev_u32_e32 v1, 28, v25
	v_bfe_u32 v3, v0, 3, 4
	v_cmp_eq_u32_e64 s[24:25], s53, v0
	v_lshlrev_b64 v[0:1], v1, v[0:1]
	v_sub_u32_e32 v1, 29, v25
	v_and_b32_e32 v0, 7, v0
	v_cndmask_b32_e32 v1, v3, v1, vcc
	v_cndmask_b32_e32 v0, v2, v0, vcc
	v_lshlrev_b32_e32 v0, 20, v0
	v_and_b32_e32 v2, 0x80000000, v14
	v_lshl_add_u32 v1, v1, 23, v43
	v_lshrrev_b32_e32 v24, 24, v10
	v_cmp_gt_u32_e64 s[22:23], s59, v14
	v_or3_b32 v0, v2, v1, v0
	v_cmp_lt_u32_e64 s[28:29], s79, v10
	s_mov_b64 s[36:37], -1
	s_and_b64 vcc, exec, s[34:35]
                                        ; implicit-def: $vgpr1
	s_cbranch_vccz .LBB4_1679
; %bb.1672:                             ;   in Loop: Header=BB4_1539 Depth=2
	v_mov_b32_e32 v1, 0
	s_and_saveexec_b64 s[36:37], s[28:29]
	s_cbranch_execz .LBB4_1678
; %bb.1673:                             ;   in Loop: Header=BB4_1539 Depth=2
	v_cmp_ne_u32_e32 vcc, s53, v24
	v_bfrev_b32_e32 v1, 1
	s_and_saveexec_b64 s[38:39], vcc
	s_cbranch_execz .LBB4_1677
; %bb.1674:                             ;   in Loop: Header=BB4_1539 Depth=2
	v_bfe_u32 v2, v10, 24, 7
	v_cmp_ne_u32_e32 vcc, s54, v2
	v_mov_b32_e32 v1, 0x7f800001
	s_and_saveexec_b64 s[48:49], vcc
	s_cbranch_execz .LBB4_1676
; %bb.1675:                             ;   in Loop: Header=BB4_1539 Depth=2
	v_and_b32_e32 v3, 7, v24
	v_ffbh_u32_e32 v1, v3
	v_min_u32_e32 v36, 32, v1
	v_lshrrev_b32_e32 v25, 3, v2
	v_subrev_u32_e32 v1, 28, v36
	v_cmp_gt_u32_e32 vcc, 8, v2
	v_lshlrev_b64 v[1:2], v1, v[24:25]
	v_sub_u32_e32 v2, 29, v36
	v_and_b32_e32 v1, 7, v1
	v_cndmask_b32_e32 v2, v25, v2, vcc
	v_cndmask_b32_e32 v1, v3, v1, vcc
	v_lshlrev_b32_e32 v3, 24, v24
	v_lshlrev_b32_e32 v1, 20, v1
	v_and_b32_e32 v3, 0x80000000, v3
	v_lshl_add_u32 v2, v2, 23, v43
	v_or3_b32 v1, v3, v2, v1
.LBB4_1676:                             ;   in Loop: Header=BB4_1539 Depth=2
	s_or_b64 exec, exec, s[48:49]
.LBB4_1677:                             ;   in Loop: Header=BB4_1539 Depth=2
	s_or_b64 exec, exec, s[38:39]
.LBB4_1678:                             ;   in Loop: Header=BB4_1539 Depth=2
	s_or_b64 exec, exec, s[36:37]
	v_mov_b32_e32 v2, 0x7f800001
	v_cndmask_b32_e64 v2, v0, v2, s[26:27]
	v_bfrev_b32_e32 v3, 1
	v_cndmask_b32_e64 v2, v2, v3, s[24:25]
	v_cndmask_b32_e64 v2, v2, 0, s[22:23]
	v_max_f32_e32 v2, v2, v2
	v_max_f32_e32 v1, v1, v1
	;; [unrolled: 1-line block ×3, first 2 shown]
	s_mov_b64 s[36:37], 0
.LBB4_1679:                             ;   in Loop: Header=BB4_1539 Depth=2
	s_and_b64 vcc, exec, s[36:37]
	s_cbranch_vccz .LBB4_1687
; %bb.1680:                             ;   in Loop: Header=BB4_1539 Depth=2
	v_mov_b32_e32 v1, 0
	s_and_saveexec_b64 s[36:37], s[28:29]
	s_cbranch_execz .LBB4_1686
; %bb.1681:                             ;   in Loop: Header=BB4_1539 Depth=2
	v_cmp_ne_u32_e32 vcc, s53, v24
	v_bfrev_b32_e32 v1, 1
	s_and_saveexec_b64 s[28:29], vcc
	s_cbranch_execz .LBB4_1685
; %bb.1682:                             ;   in Loop: Header=BB4_1539 Depth=2
	v_bfe_u32 v2, v10, 24, 7
	v_cmp_ne_u32_e32 vcc, s54, v2
	v_mov_b32_e32 v1, 0x7f800001
	s_and_saveexec_b64 s[38:39], vcc
	s_cbranch_execz .LBB4_1684
; %bb.1683:                             ;   in Loop: Header=BB4_1539 Depth=2
	v_and_b32_e32 v3, 7, v24
	v_ffbh_u32_e32 v1, v3
	v_min_u32_e32 v36, 32, v1
	v_lshrrev_b32_e32 v25, 3, v2
	v_subrev_u32_e32 v1, 28, v36
	v_cmp_gt_u32_e32 vcc, 8, v2
	v_lshlrev_b64 v[1:2], v1, v[24:25]
	v_sub_u32_e32 v2, 29, v36
	v_and_b32_e32 v1, 7, v1
	v_cndmask_b32_e32 v2, v25, v2, vcc
	v_cndmask_b32_e32 v1, v3, v1, vcc
	v_lshlrev_b32_e32 v3, 24, v24
	v_lshlrev_b32_e32 v1, 20, v1
	v_and_b32_e32 v3, 0x80000000, v3
	v_lshl_add_u32 v2, v2, 23, v43
	v_or3_b32 v1, v3, v2, v1
.LBB4_1684:                             ;   in Loop: Header=BB4_1539 Depth=2
	s_or_b64 exec, exec, s[38:39]
.LBB4_1685:                             ;   in Loop: Header=BB4_1539 Depth=2
	s_or_b64 exec, exec, s[28:29]
.LBB4_1686:                             ;   in Loop: Header=BB4_1539 Depth=2
	s_or_b64 exec, exec, s[36:37]
	v_mov_b32_e32 v2, 0x7f800001
	v_cndmask_b32_e64 v0, v0, v2, s[26:27]
	v_bfrev_b32_e32 v2, 1
	v_cndmask_b32_e64 v0, v0, v2, s[24:25]
	v_cndmask_b32_e64 v0, v0, 0, s[22:23]
	v_max_f32_e32 v0, v0, v0
	v_max_f32_e32 v1, v1, v1
	v_min_f32_e32 v1, v1, v0
.LBB4_1687:                             ;   in Loop: Header=BB4_1539 Depth=2
	v_and_b32_e32 v52, 0x7f800000, v1
	v_cmp_ne_u64_e32 vcc, s[72:73], v[52:53]
                                        ; implicit-def: $vgpr50
	s_and_saveexec_b64 s[22:23], vcc
	s_xor_b64 s[24:25], exec, s[22:23]
	s_cbranch_execz .LBB4_1701
; %bb.1688:                             ;   in Loop: Header=BB4_1539 Depth=2
	v_and_b32_e32 v52, 0x7fffffff, v1
	v_cmp_gt_u64_e32 vcc, s[74:75], v[52:53]
	v_and_b32_sdwa v0, v1, s53 dst_sel:DWORD dst_unused:UNUSED_PAD src0_sel:BYTE_3 src1_sel:DWORD
                                        ; implicit-def: $vgpr50
	s_and_saveexec_b64 s[22:23], vcc
	s_xor_b64 s[26:27], exec, s[22:23]
	s_cbranch_execz .LBB4_1698
; %bb.1689:                             ;   in Loop: Header=BB4_1539 Depth=2
	v_mov_b32_e32 v50, 0
	v_cmp_ne_u32_e32 vcc, 0, v1
	s_and_saveexec_b64 s[28:29], vcc
	s_cbranch_execz .LBB4_1697
; %bb.1690:                             ;   in Loop: Header=BB4_1539 Depth=2
	v_and_b32_e32 v2, 0x7fffff, v1
	v_bfe_u32 v1, v1, 23, 8
	v_cmp_gt_u32_e64 s[22:23], s64, v1
	v_sub_u32_e32 v3, 0x79, v1
	v_cmp_eq_u32_e32 vcc, 0, v1
	v_cndmask_b32_e64 v3, 0, v3, s[22:23]
	v_mov_b32_e32 v25, 0x78
	v_or_b32_e32 v24, 0x800000, v2
	v_cndmask_b32_e32 v48, v3, v25, vcc
	v_cndmask_b32_e32 v52, v24, v2, vcc
	v_add_u32_e32 v2, 20, v48
	v_lshlrev_b64 v[2:3], v2, -1
	v_add_u32_e32 v24, 19, v48
	v_lshlrev_b64 v[24:25], v24, 1
	v_bfi_b32 v3, v3, 0, 0
	v_bfi_b32 v2, v2, 0, v52
	v_cmp_eq_u64_e64 s[22:23], v[2:3], v[24:25]
	v_lshrrev_b64 v[24:25], v48, v[52:53]
	v_mov_b32_e32 v2, v24
	v_mov_b32_e32 v3, v25
	s_and_saveexec_b64 s[36:37], s[22:23]
; %bb.1691:                             ;   in Loop: Header=BB4_1539 Depth=2
	v_bfe_u32 v2, v24, 20, 1
	v_add_co_u32_e64 v2, s[22:23], v24, v2
	v_add_co_u32_e64 v2, s[22:23], -1, v2
; %bb.1692:                             ;   in Loop: Header=BB4_1539 Depth=2
	s_or_b64 exec, exec, s[36:37]
	v_add_u32_e32 v1, 0xffffff81, v1
	v_cndmask_b32_e32 v1, v1, v49, vcc
	v_lshrrev_b32_e32 v3, 23, v24
	v_add3_u32 v48, v48, v1, v3
	v_add_u32_e32 v3, 6, v48
	v_and_b32_e32 v1, 0xfffff, v2
	v_add_u32_e32 v52, v1, v24
	v_cmp_ne_u32_e32 vcc, 0, v3
                                        ; implicit-def: $vgpr24_vgpr25
                                        ; implicit-def: $vgpr1
	s_and_saveexec_b64 s[22:23], vcc
	s_xor_b64 s[22:23], exec, s[22:23]
; %bb.1693:                             ;   in Loop: Header=BB4_1539 Depth=2
	v_cmp_lt_u64_e32 vcc, s[76:77], v[52:53]
	v_add_u32_e32 v1, 7, v48
	v_cndmask_b32_e64 v2, 0, 1, vcc
	v_cndmask_b32_e32 v1, v3, v1, vcc
	v_lshrrev_b64 v[24:25], v2, v[52:53]
; %bb.1694:                             ;   in Loop: Header=BB4_1539 Depth=2
	s_andn2_saveexec_b64 s[22:23], s[22:23]
; %bb.1695:                             ;   in Loop: Header=BB4_1539 Depth=2
	v_mov_b32_e32 v24, v52
	v_bfe_u32 v1, v52, 23, 1
	v_mov_b32_e32 v25, v53
; %bb.1696:                             ;   in Loop: Header=BB4_1539 Depth=2
	s_or_b64 exec, exec, s[22:23]
	v_lshrrev_b64 v[2:3], 20, v[24:25]
	v_cmp_gt_i32_e32 vcc, 16, v1
	v_cndmask_b32_e32 v3, 0, v3, vcc
	v_cndmask_b32_e32 v2, 7, v2, vcc
	v_cmp_eq_u32_e32 vcc, 0, v1
	v_min_i32_e32 v1, 15, v1
	v_cmp_eq_u64_e64 s[22:23], 0, v[2:3]
	v_lshlrev_b32_e32 v1, 3, v1
	v_and_b32_e32 v1, 0xf8, v1
	v_and_or_b32 v1, v2, 7, v1
	s_and_b64 s[22:23], vcc, s[22:23]
	v_cndmask_b32_e64 v1, v1, 0, s[22:23]
	v_or_b32_e32 v50, v1, v0
.LBB4_1697:                             ;   in Loop: Header=BB4_1539 Depth=2
	s_or_b64 exec, exec, s[28:29]
                                        ; implicit-def: $vgpr0
.LBB4_1698:                             ;   in Loop: Header=BB4_1539 Depth=2
	s_andn2_saveexec_b64 s[22:23], s[26:27]
; %bb.1699:                             ;   in Loop: Header=BB4_1539 Depth=2
	v_or_b32_e32 v50, 0x7e, v0
; %bb.1700:                             ;   in Loop: Header=BB4_1539 Depth=2
	s_or_b64 exec, exec, s[22:23]
                                        ; implicit-def: $vgpr1
.LBB4_1701:                             ;   in Loop: Header=BB4_1539 Depth=2
	s_andn2_saveexec_b64 s[22:23], s[24:25]
; %bb.1702:                             ;   in Loop: Header=BB4_1539 Depth=2
	v_or_b32_sdwa v50, v1, s54 dst_sel:DWORD dst_unused:UNUSED_PAD src0_sel:BYTE_3 src1_sel:DWORD
; %bb.1703:                             ;   in Loop: Header=BB4_1539 Depth=2
	s_or_b64 exec, exec, s[22:23]
	v_and_b32_e32 v0, 7, v15
	v_ffbh_u32_e32 v0, v0
	v_and_b32_e32 v1, 0x7f, v15
	v_min_u32_e32 v0, 32, v0
	v_bfe_u32 v2, v15, 3, 4
	v_cmp_eq_u32_e64 s[22:23], s54, v1
	v_cmp_gt_u32_e32 vcc, 8, v1
	v_subrev_u32_e32 v1, 28, v0
	v_sub_u32_e32 v0, 29, v0
	v_mov_b32_e32 v52, v15
	v_cndmask_b32_e32 v2, v2, v0, vcc
	v_cndmask_b32_e32 v0, 0, v1, vcc
	v_lshlrev_b64 v[0:1], v0, v[52:53]
	v_lshlrev_b32_e32 v1, 24, v15
	v_lshlrev_b32_e32 v0, 20, v0
	v_and_b32_e32 v0, 0x700000, v0
	v_and_b32_e32 v1, 0x80000000, v1
	v_lshl_add_u32 v2, v2, 23, v43
	v_or3_b32 v0, v1, v2, v0
	v_mov_b32_e32 v24, v11
	v_mov_b32_e32 v25, v53
	v_cmp_ne_u16_sdwa s[24:25], v11, v53 src0_sel:BYTE_0 src1_sel:DWORD
	s_mov_b64 s[26:27], -1
	s_and_b64 vcc, exec, s[34:35]
                                        ; implicit-def: $vgpr1
	s_cbranch_vccz .LBB4_1717
; %bb.1704:                             ;   in Loop: Header=BB4_1539 Depth=2
	v_mov_b32_e32 v1, 0
	s_and_saveexec_b64 s[26:27], s[24:25]
	s_cbranch_execz .LBB4_1710
; %bb.1705:                             ;   in Loop: Header=BB4_1539 Depth=2
	v_cmp_ne_u16_sdwa vcc, v11, s53 src0_sel:BYTE_0 src1_sel:DWORD
	v_bfrev_b32_e32 v1, 1
	s_and_saveexec_b64 s[28:29], vcc
	s_cbranch_execz .LBB4_1709
; %bb.1706:                             ;   in Loop: Header=BB4_1539 Depth=2
	v_and_b32_e32 v2, 0x7f, v11
	v_cmp_ne_u32_e32 vcc, s54, v2
	v_mov_b32_e32 v1, 0x7f800001
	s_and_saveexec_b64 s[36:37], vcc
	s_cbranch_execz .LBB4_1708
; %bb.1707:                             ;   in Loop: Header=BB4_1539 Depth=2
	v_and_b32_e32 v1, 7, v11
	v_ffbh_u32_e32 v1, v1
	v_min_u32_e32 v1, 32, v1
	v_lshrrev_b32_e32 v3, 3, v2
	v_cmp_gt_u32_e32 vcc, 8, v2
	v_subrev_u32_e32 v2, 28, v1
	v_sub_u32_e32 v1, 29, v1
	v_cndmask_b32_e32 v3, v3, v1, vcc
	v_cndmask_b32_e32 v1, 0, v2, vcc
	v_lshlrev_b64 v[1:2], v1, v[24:25]
	v_lshlrev_b32_e32 v2, 24, v24
	v_lshlrev_b32_e32 v1, 20, v1
	v_and_b32_e32 v1, 0x700000, v1
	v_and_b32_e32 v2, 0x80000000, v2
	v_lshl_add_u32 v3, v3, 23, v43
	v_or3_b32 v1, v2, v3, v1
.LBB4_1708:                             ;   in Loop: Header=BB4_1539 Depth=2
	s_or_b64 exec, exec, s[36:37]
.LBB4_1709:                             ;   in Loop: Header=BB4_1539 Depth=2
	s_or_b64 exec, exec, s[28:29]
.LBB4_1710:                             ;   in Loop: Header=BB4_1539 Depth=2
	s_or_b64 exec, exec, s[26:27]
	v_cmp_gt_i16_sdwa s[28:29], v15, s54 src0_sel:BYTE_0 src1_sel:DWORD
	s_mov_b64 s[26:27], 0
	s_and_saveexec_b64 vcc, s[28:29]
	s_xor_b64 s[28:29], exec, vcc
	s_cbranch_execz .LBB4_2207
; %bb.1711:                             ;   in Loop: Header=BB4_1539 Depth=2
	v_cmp_eq_u16_sdwa s[36:37], v15, s53 src0_sel:BYTE_0 src1_sel:DWORD
	s_mov_b64 s[26:27], -1
	s_and_saveexec_b64 vcc, s[36:37]
; %bb.1712:                             ;   in Loop: Header=BB4_1539 Depth=2
	s_xor_b64 s[26:27], exec, -1
; %bb.1713:                             ;   in Loop: Header=BB4_1539 Depth=2
	s_or_b64 exec, exec, vcc
	s_and_b64 s[26:27], s[26:27], exec
	s_or_saveexec_b64 s[28:29], s[28:29]
	v_bfrev_b32_e32 v2, 1
	s_xor_b64 exec, exec, s[28:29]
	s_cbranch_execnz .LBB4_2208
.LBB4_1714:                             ;   in Loop: Header=BB4_1539 Depth=2
	s_or_b64 exec, exec, s[28:29]
	s_and_saveexec_b64 s[28:29], s[26:27]
.LBB4_1715:                             ;   in Loop: Header=BB4_1539 Depth=2
	v_mov_b32_e32 v2, 0x7f800001
	v_cndmask_b32_e64 v2, v0, v2, s[22:23]
.LBB4_1716:                             ;   in Loop: Header=BB4_1539 Depth=2
	s_or_b64 exec, exec, s[28:29]
	v_max_f32_e32 v2, v2, v2
	v_max_f32_e32 v1, v1, v1
	;; [unrolled: 1-line block ×3, first 2 shown]
	s_mov_b64 s[26:27], 0
.LBB4_1717:                             ;   in Loop: Header=BB4_1539 Depth=2
	s_and_b64 vcc, exec, s[26:27]
	s_cbranch_vccz .LBB4_1731
; %bb.1718:                             ;   in Loop: Header=BB4_1539 Depth=2
	v_mov_b32_e32 v1, 0
	s_and_saveexec_b64 s[26:27], s[24:25]
	s_cbranch_execz .LBB4_1724
; %bb.1719:                             ;   in Loop: Header=BB4_1539 Depth=2
	v_cmp_ne_u16_sdwa s[28:29], v11, s53 src0_sel:BYTE_0 src1_sel:DWORD
	v_bfrev_b32_e32 v1, 1
	s_and_saveexec_b64 s[24:25], s[28:29]
	s_cbranch_execz .LBB4_1723
; %bb.1720:                             ;   in Loop: Header=BB4_1539 Depth=2
	v_and_b32_e32 v2, 0x7f, v11
	v_cmp_ne_u32_e32 vcc, s54, v2
	v_mov_b32_e32 v1, 0x7f800001
	s_and_saveexec_b64 s[28:29], vcc
	s_cbranch_execz .LBB4_1722
; %bb.1721:                             ;   in Loop: Header=BB4_1539 Depth=2
	v_and_b32_e32 v1, 7, v11
	v_ffbh_u32_e32 v1, v1
	v_min_u32_e32 v1, 32, v1
	v_lshrrev_b32_e32 v3, 3, v2
	v_cmp_gt_u32_e32 vcc, 8, v2
	v_subrev_u32_e32 v2, 28, v1
	v_sub_u32_e32 v1, 29, v1
	v_cndmask_b32_e32 v3, v3, v1, vcc
	v_cndmask_b32_e32 v1, 0, v2, vcc
	v_lshlrev_b64 v[1:2], v1, v[24:25]
	v_lshlrev_b32_e32 v2, 24, v24
	v_lshlrev_b32_e32 v1, 20, v1
	v_and_b32_e32 v1, 0x700000, v1
	v_and_b32_e32 v2, 0x80000000, v2
	v_lshl_add_u32 v3, v3, 23, v43
	v_or3_b32 v1, v2, v3, v1
.LBB4_1722:                             ;   in Loop: Header=BB4_1539 Depth=2
	s_or_b64 exec, exec, s[28:29]
.LBB4_1723:                             ;   in Loop: Header=BB4_1539 Depth=2
	s_or_b64 exec, exec, s[24:25]
.LBB4_1724:                             ;   in Loop: Header=BB4_1539 Depth=2
	s_or_b64 exec, exec, s[26:27]
	v_cmp_gt_i16_sdwa s[26:27], v15, s54 src0_sel:BYTE_0 src1_sel:DWORD
	s_mov_b64 s[24:25], 0
	s_and_saveexec_b64 s[28:29], s[26:27]
	s_xor_b64 s[26:27], exec, s[28:29]
	s_cbranch_execz .LBB4_2209
; %bb.1725:                             ;   in Loop: Header=BB4_1539 Depth=2
	v_cmp_eq_u16_sdwa vcc, v15, s53 src0_sel:BYTE_0 src1_sel:DWORD
	s_mov_b64 s[24:25], -1
	s_and_saveexec_b64 s[28:29], vcc
; %bb.1726:                             ;   in Loop: Header=BB4_1539 Depth=2
	s_xor_b64 s[24:25], exec, -1
; %bb.1727:                             ;   in Loop: Header=BB4_1539 Depth=2
	s_or_b64 exec, exec, s[28:29]
	s_and_b64 s[24:25], s[24:25], exec
	s_or_saveexec_b64 s[26:27], s[26:27]
	v_bfrev_b32_e32 v2, 1
	s_xor_b64 exec, exec, s[26:27]
	s_cbranch_execnz .LBB4_2210
.LBB4_1728:                             ;   in Loop: Header=BB4_1539 Depth=2
	s_or_b64 exec, exec, s[26:27]
	s_and_saveexec_b64 s[26:27], s[24:25]
.LBB4_1729:                             ;   in Loop: Header=BB4_1539 Depth=2
	v_mov_b32_e32 v2, 0x7f800001
	v_cndmask_b32_e64 v2, v0, v2, s[22:23]
.LBB4_1730:                             ;   in Loop: Header=BB4_1539 Depth=2
	s_or_b64 exec, exec, s[26:27]
	v_max_f32_e32 v0, v2, v2
	v_max_f32_e32 v1, v1, v1
	v_min_f32_e32 v1, v1, v0
.LBB4_1731:                             ;   in Loop: Header=BB4_1539 Depth=2
	v_and_b32_e32 v2, 0x7f800000, v1
	v_mov_b32_e32 v3, v53
	v_cmp_ne_u64_e32 vcc, s[72:73], v[2:3]
                                        ; implicit-def: $vgpr51
	s_and_saveexec_b64 s[22:23], vcc
	s_xor_b64 s[24:25], exec, s[22:23]
	s_cbranch_execz .LBB4_1745
; %bb.1732:                             ;   in Loop: Header=BB4_1539 Depth=2
	v_and_b32_e32 v2, 0x7fffffff, v1
	v_mov_b32_e32 v3, v53
	v_cmp_gt_u64_e32 vcc, s[74:75], v[2:3]
	v_and_b32_sdwa v0, v1, s53 dst_sel:DWORD dst_unused:UNUSED_PAD src0_sel:BYTE_3 src1_sel:DWORD
                                        ; implicit-def: $vgpr51
	s_and_saveexec_b64 s[22:23], vcc
	s_xor_b64 s[26:27], exec, s[22:23]
	s_cbranch_execz .LBB4_1742
; %bb.1733:                             ;   in Loop: Header=BB4_1539 Depth=2
	v_mov_b32_e32 v51, 0
	v_cmp_ne_u32_e32 vcc, 0, v1
	s_and_saveexec_b64 s[28:29], vcc
	s_cbranch_execz .LBB4_1741
; %bb.1734:                             ;   in Loop: Header=BB4_1539 Depth=2
	v_and_b32_e32 v2, 0x7fffff, v1
	v_bfe_u32 v1, v1, 23, 8
	v_cmp_gt_u32_e64 s[22:23], s64, v1
	v_sub_u32_e32 v3, 0x79, v1
	v_cmp_eq_u32_e32 vcc, 0, v1
	v_cndmask_b32_e64 v3, 0, v3, s[22:23]
	v_mov_b32_e32 v25, 0x78
	v_or_b32_e32 v36, 0x800000, v2
	v_cndmask_b32_e32 v25, v3, v25, vcc
	v_cndmask_b32_e32 v2, v36, v2, vcc
	v_add_u32_e32 v36, 20, v25
	v_lshlrev_b64 v[36:37], v36, -1
	v_add_u32_e32 v48, 19, v25
	v_mov_b32_e32 v3, v53
	v_lshlrev_b64 v[48:49], v48, 1
	v_bfi_b32 v37, v37, 0, 0
	v_bfi_b32 v36, v36, 0, v2
	v_lshrrev_b64 v[46:47], v25, v[2:3]
	v_cmp_eq_u64_e64 s[22:23], v[36:37], v[48:49]
	v_mov_b32_e32 v2, v46
	v_mov_b32_e32 v3, v47
	s_and_saveexec_b64 s[36:37], s[22:23]
; %bb.1735:                             ;   in Loop: Header=BB4_1539 Depth=2
	v_bfe_u32 v2, v46, 20, 1
	v_add_co_u32_e64 v2, s[22:23], v46, v2
	v_add_co_u32_e64 v2, s[22:23], -1, v2
; %bb.1736:                             ;   in Loop: Header=BB4_1539 Depth=2
	s_or_b64 exec, exec, s[36:37]
	v_add_u32_e32 v1, 0xffffff81, v1
	v_mov_b32_e32 v49, 0xffffff82
	v_cndmask_b32_e32 v1, v1, v49, vcc
	v_lshrrev_b32_e32 v3, 23, v46
	v_add3_u32 v25, v25, v1, v3
	v_add_u32_e32 v3, 6, v25
	v_and_b32_e32 v1, 0xfffff, v2
	v_add_u32_e32 v46, v1, v46
	v_mov_b32_e32 v47, v53
	v_cmp_ne_u32_e32 vcc, 0, v3
                                        ; implicit-def: $vgpr1
	s_and_saveexec_b64 s[22:23], vcc
	s_xor_b64 s[22:23], exec, s[22:23]
; %bb.1737:                             ;   in Loop: Header=BB4_1539 Depth=2
	v_cmp_lt_u64_e32 vcc, s[76:77], v[46:47]
	v_add_u32_e32 v1, 7, v25
	v_cndmask_b32_e64 v2, 0, 1, vcc
	v_cndmask_b32_e32 v1, v3, v1, vcc
	v_lshrrev_b64 v[46:47], v2, v[46:47]
; %bb.1738:                             ;   in Loop: Header=BB4_1539 Depth=2
	s_andn2_saveexec_b64 s[22:23], s[22:23]
; %bb.1739:                             ;   in Loop: Header=BB4_1539 Depth=2
	v_bfe_u32 v1, v46, 23, 1
; %bb.1740:                             ;   in Loop: Header=BB4_1539 Depth=2
	s_or_b64 exec, exec, s[22:23]
	v_lshrrev_b64 v[2:3], 20, v[46:47]
	v_cmp_gt_i32_e32 vcc, 16, v1
	v_cndmask_b32_e32 v3, 0, v3, vcc
	v_cndmask_b32_e32 v2, 7, v2, vcc
	v_cmp_eq_u32_e32 vcc, 0, v1
	v_min_i32_e32 v1, 15, v1
	v_cmp_eq_u64_e64 s[22:23], 0, v[2:3]
	v_lshlrev_b32_e32 v1, 3, v1
	v_and_b32_e32 v1, 0xf8, v1
	v_and_or_b32 v1, v2, 7, v1
	s_and_b64 s[22:23], vcc, s[22:23]
	v_cndmask_b32_e64 v1, v1, 0, s[22:23]
	v_or_b32_e32 v51, v1, v0
.LBB4_1741:                             ;   in Loop: Header=BB4_1539 Depth=2
	s_or_b64 exec, exec, s[28:29]
                                        ; implicit-def: $vgpr0
.LBB4_1742:                             ;   in Loop: Header=BB4_1539 Depth=2
	s_andn2_saveexec_b64 s[22:23], s[26:27]
; %bb.1743:                             ;   in Loop: Header=BB4_1539 Depth=2
	v_or_b32_e32 v51, 0x7e, v0
; %bb.1744:                             ;   in Loop: Header=BB4_1539 Depth=2
	s_or_b64 exec, exec, s[22:23]
                                        ; implicit-def: $vgpr1
.LBB4_1745:                             ;   in Loop: Header=BB4_1539 Depth=2
	s_andn2_saveexec_b64 s[22:23], s[24:25]
; %bb.1746:                             ;   in Loop: Header=BB4_1539 Depth=2
	v_or_b32_sdwa v51, v1, s54 dst_sel:DWORD dst_unused:UNUSED_PAD src0_sel:BYTE_3 src1_sel:DWORD
; %bb.1747:                             ;   in Loop: Header=BB4_1539 Depth=2
	s_or_b64 exec, exec, s[22:23]
	v_lshrrev_b16_e32 v52, 8, v52
	v_and_b32_e32 v2, 7, v52
	v_and_b32_e32 v0, 0x7f, v52
	v_cmp_eq_u32_e64 s[22:23], s54, v0
	v_cmp_gt_u32_e32 vcc, 8, v0
	v_ffbh_u32_e32 v0, v2
	v_min_u32_e32 v36, 32, v0
	v_subrev_u32_e32 v0, 28, v36
	v_lshlrev_b64 v[0:1], v0, v[52:53]
	v_bfe_u32 v3, v52, 3, 4
	v_sub_u32_e32 v1, 29, v36
	v_and_b32_e32 v0, 7, v0
	v_cndmask_b32_e32 v1, v3, v1, vcc
	v_cndmask_b32_e32 v0, v2, v0, vcc
	v_lshlrev_b32_e32 v2, 24, v52
	v_lshrrev_b16_e32 v25, 8, v24
	v_lshlrev_b32_e32 v0, 20, v0
	v_and_b32_e32 v2, 0x80000000, v2
	v_lshl_add_u32 v1, v1, 23, v43
	v_or3_b32 v0, v2, v1, v0
	v_cmp_ne_u16_e64 s[24:25], 0, v25
	s_mov_b64 s[26:27], -1
	s_and_b64 vcc, exec, s[34:35]
                                        ; implicit-def: $vgpr2
	s_cbranch_vccz .LBB4_1761
; %bb.1748:                             ;   in Loop: Header=BB4_1539 Depth=2
	v_mov_b32_e32 v1, 0
	s_and_saveexec_b64 s[26:27], s[24:25]
	s_cbranch_execz .LBB4_1754
; %bb.1749:                             ;   in Loop: Header=BB4_1539 Depth=2
	v_cmp_ne_u16_e32 vcc, s53, v25
	v_bfrev_b32_e32 v1, 1
	s_and_saveexec_b64 s[28:29], vcc
	s_cbranch_execz .LBB4_1753
; %bb.1750:                             ;   in Loop: Header=BB4_1539 Depth=2
	v_and_b32_e32 v2, 0x7f, v25
	v_cmp_ne_u32_e32 vcc, s54, v2
	v_mov_b32_e32 v1, 0x7f800001
	s_and_saveexec_b64 s[36:37], vcc
	s_cbranch_execz .LBB4_1752
; %bb.1751:                             ;   in Loop: Header=BB4_1539 Depth=2
	v_and_b32_e32 v3, 7, v25
	v_ffbh_u32_e32 v1, v3
	v_min_u32_e32 v37, 32, v1
	v_subrev_u32_e32 v1, 28, v37
	v_lshrrev_b32_e32 v36, 3, v2
	v_cmp_gt_u32_e32 vcc, 8, v2
	v_lshlrev_b64 v[1:2], v1, v[25:26]
	v_sub_u32_e32 v2, 29, v37
	v_and_b32_e32 v1, 7, v1
	v_cndmask_b32_e32 v2, v36, v2, vcc
	v_cndmask_b32_e32 v1, v3, v1, vcc
	v_lshlrev_b32_e32 v3, 16, v24
	v_lshlrev_b32_e32 v1, 20, v1
	v_and_b32_e32 v3, 0x80000000, v3
	v_lshl_add_u32 v2, v2, 23, v43
	v_or3_b32 v1, v3, v2, v1
.LBB4_1752:                             ;   in Loop: Header=BB4_1539 Depth=2
	s_or_b64 exec, exec, s[36:37]
.LBB4_1753:                             ;   in Loop: Header=BB4_1539 Depth=2
	s_or_b64 exec, exec, s[28:29]
.LBB4_1754:                             ;   in Loop: Header=BB4_1539 Depth=2
	s_or_b64 exec, exec, s[26:27]
	v_cmp_lt_i16_e32 vcc, s54, v52
	s_mov_b64 s[26:27], 0
	s_and_saveexec_b64 s[28:29], vcc
	s_xor_b64 s[28:29], exec, s[28:29]
	s_cbranch_execz .LBB4_2211
; %bb.1755:                             ;   in Loop: Header=BB4_1539 Depth=2
	v_cmp_eq_u16_e32 vcc, s53, v52
	s_mov_b64 s[26:27], -1
	s_and_saveexec_b64 s[36:37], vcc
; %bb.1756:                             ;   in Loop: Header=BB4_1539 Depth=2
	s_xor_b64 s[26:27], exec, -1
; %bb.1757:                             ;   in Loop: Header=BB4_1539 Depth=2
	s_or_b64 exec, exec, s[36:37]
	s_and_b64 s[26:27], s[26:27], exec
	s_or_saveexec_b64 s[28:29], s[28:29]
	v_bfrev_b32_e32 v2, 1
	s_xor_b64 exec, exec, s[28:29]
	s_cbranch_execnz .LBB4_2212
.LBB4_1758:                             ;   in Loop: Header=BB4_1539 Depth=2
	s_or_b64 exec, exec, s[28:29]
	s_and_saveexec_b64 s[28:29], s[26:27]
.LBB4_1759:                             ;   in Loop: Header=BB4_1539 Depth=2
	v_mov_b32_e32 v2, 0x7f800001
	v_cndmask_b32_e64 v2, v0, v2, s[22:23]
.LBB4_1760:                             ;   in Loop: Header=BB4_1539 Depth=2
	s_or_b64 exec, exec, s[28:29]
	v_max_f32_e32 v2, v2, v2
	v_max_f32_e32 v1, v1, v1
	;; [unrolled: 1-line block ×3, first 2 shown]
	s_mov_b64 s[26:27], 0
.LBB4_1761:                             ;   in Loop: Header=BB4_1539 Depth=2
	s_and_b64 vcc, exec, s[26:27]
	s_cbranch_vccz .LBB4_1775
; %bb.1762:                             ;   in Loop: Header=BB4_1539 Depth=2
	v_mov_b32_e32 v1, 0
	s_and_saveexec_b64 s[26:27], s[24:25]
	s_cbranch_execz .LBB4_1768
; %bb.1763:                             ;   in Loop: Header=BB4_1539 Depth=2
	v_cmp_ne_u16_e32 vcc, s53, v25
	v_bfrev_b32_e32 v1, 1
	s_and_saveexec_b64 s[24:25], vcc
	s_cbranch_execz .LBB4_1767
; %bb.1764:                             ;   in Loop: Header=BB4_1539 Depth=2
	v_and_b32_e32 v2, 0x7f, v25
	v_cmp_ne_u32_e32 vcc, s54, v2
	v_mov_b32_e32 v1, 0x7f800001
	s_and_saveexec_b64 s[28:29], vcc
	s_cbranch_execz .LBB4_1766
; %bb.1765:                             ;   in Loop: Header=BB4_1539 Depth=2
	v_and_b32_e32 v3, 7, v25
	v_ffbh_u32_e32 v1, v3
	v_min_u32_e32 v37, 32, v1
	v_subrev_u32_e32 v1, 28, v37
	v_lshrrev_b32_e32 v36, 3, v2
	v_cmp_gt_u32_e32 vcc, 8, v2
	v_lshlrev_b64 v[1:2], v1, v[25:26]
	v_sub_u32_e32 v2, 29, v37
	v_and_b32_e32 v1, 7, v1
	v_cndmask_b32_e32 v2, v36, v2, vcc
	v_cndmask_b32_e32 v1, v3, v1, vcc
	v_lshlrev_b32_e32 v3, 16, v24
	v_lshlrev_b32_e32 v1, 20, v1
	v_and_b32_e32 v3, 0x80000000, v3
	v_lshl_add_u32 v2, v2, 23, v43
	v_or3_b32 v1, v3, v2, v1
.LBB4_1766:                             ;   in Loop: Header=BB4_1539 Depth=2
	s_or_b64 exec, exec, s[28:29]
.LBB4_1767:                             ;   in Loop: Header=BB4_1539 Depth=2
	s_or_b64 exec, exec, s[24:25]
.LBB4_1768:                             ;   in Loop: Header=BB4_1539 Depth=2
	s_or_b64 exec, exec, s[26:27]
	v_cmp_lt_i16_e32 vcc, s54, v52
	s_mov_b64 s[24:25], 0
	s_and_saveexec_b64 s[26:27], vcc
	s_xor_b64 s[26:27], exec, s[26:27]
	s_cbranch_execz .LBB4_2213
; %bb.1769:                             ;   in Loop: Header=BB4_1539 Depth=2
	v_cmp_eq_u16_e32 vcc, s53, v52
	s_mov_b64 s[24:25], -1
	s_and_saveexec_b64 s[28:29], vcc
; %bb.1770:                             ;   in Loop: Header=BB4_1539 Depth=2
	s_xor_b64 s[24:25], exec, -1
; %bb.1771:                             ;   in Loop: Header=BB4_1539 Depth=2
	s_or_b64 exec, exec, s[28:29]
	s_and_b64 s[24:25], s[24:25], exec
	s_or_saveexec_b64 s[26:27], s[26:27]
	v_bfrev_b32_e32 v2, 1
	s_xor_b64 exec, exec, s[26:27]
	s_cbranch_execnz .LBB4_2214
.LBB4_1772:                             ;   in Loop: Header=BB4_1539 Depth=2
	s_or_b64 exec, exec, s[26:27]
	s_and_saveexec_b64 s[26:27], s[24:25]
.LBB4_1773:                             ;   in Loop: Header=BB4_1539 Depth=2
	v_mov_b32_e32 v2, 0x7f800001
	v_cndmask_b32_e64 v2, v0, v2, s[22:23]
.LBB4_1774:                             ;   in Loop: Header=BB4_1539 Depth=2
	s_or_b64 exec, exec, s[26:27]
	v_max_f32_e32 v0, v2, v2
	v_max_f32_e32 v1, v1, v1
	v_min_f32_e32 v2, v1, v0
.LBB4_1775:                             ;   in Loop: Header=BB4_1539 Depth=2
	v_and_b32_e32 v52, 0x7f800000, v2
	v_cmp_ne_u64_e32 vcc, s[72:73], v[52:53]
                                        ; implicit-def: $vgpr0
	s_and_saveexec_b64 s[22:23], vcc
	s_xor_b64 s[24:25], exec, s[22:23]
	s_cbranch_execz .LBB4_1789
; %bb.1776:                             ;   in Loop: Header=BB4_1539 Depth=2
	v_and_b32_e32 v52, 0x7fffffff, v2
	v_cmp_gt_u64_e32 vcc, s[74:75], v[52:53]
	v_and_b32_sdwa v1, v2, s53 dst_sel:DWORD dst_unused:UNUSED_PAD src0_sel:BYTE_3 src1_sel:DWORD
                                        ; implicit-def: $vgpr0
	s_and_saveexec_b64 s[22:23], vcc
	s_xor_b64 s[26:27], exec, s[22:23]
	s_cbranch_execz .LBB4_1786
; %bb.1777:                             ;   in Loop: Header=BB4_1539 Depth=2
	v_mov_b32_e32 v0, 0
	v_cmp_ne_u32_e32 vcc, 0, v2
	s_and_saveexec_b64 s[28:29], vcc
	s_cbranch_execz .LBB4_1785
; %bb.1778:                             ;   in Loop: Header=BB4_1539 Depth=2
	v_bfe_u32 v0, v2, 23, 8
	v_and_b32_e32 v3, 0x7fffff, v2
	v_cmp_gt_u32_e64 s[22:23], s64, v0
	v_sub_u32_e32 v2, 0x79, v0
	v_cmp_eq_u32_e32 vcc, 0, v0
	v_cndmask_b32_e64 v2, 0, v2, s[22:23]
	v_mov_b32_e32 v25, 0x78
	v_cndmask_b32_e32 v48, v2, v25, vcc
	v_or_b32_e32 v24, 0x800000, v3
	v_add_u32_e32 v2, 20, v48
	v_cndmask_b32_e32 v52, v24, v3, vcc
	v_lshlrev_b64 v[2:3], v2, -1
	v_add_u32_e32 v24, 19, v48
	v_lshlrev_b64 v[24:25], v24, 1
	v_bfi_b32 v3, v3, 0, 0
	v_bfi_b32 v2, v2, 0, v52
	v_cmp_eq_u64_e64 s[22:23], v[2:3], v[24:25]
	v_lshrrev_b64 v[24:25], v48, v[52:53]
	v_mov_b32_e32 v2, v24
	v_mov_b32_e32 v3, v25
	s_and_saveexec_b64 s[36:37], s[22:23]
; %bb.1779:                             ;   in Loop: Header=BB4_1539 Depth=2
	v_bfe_u32 v2, v24, 20, 1
	v_add_co_u32_e64 v2, s[22:23], v24, v2
	v_add_co_u32_e64 v2, s[22:23], -1, v2
; %bb.1780:                             ;   in Loop: Header=BB4_1539 Depth=2
	s_or_b64 exec, exec, s[36:37]
	v_add_u32_e32 v0, 0xffffff81, v0
	v_cndmask_b32_e32 v0, v0, v49, vcc
	v_lshrrev_b32_e32 v3, 23, v24
	v_add3_u32 v48, v48, v0, v3
	v_add_u32_e32 v3, 6, v48
	v_and_b32_e32 v0, 0xfffff, v2
	v_add_u32_e32 v52, v0, v24
	v_cmp_ne_u32_e32 vcc, 0, v3
                                        ; implicit-def: $vgpr24_vgpr25
                                        ; implicit-def: $vgpr0
	s_and_saveexec_b64 s[22:23], vcc
	s_xor_b64 s[22:23], exec, s[22:23]
; %bb.1781:                             ;   in Loop: Header=BB4_1539 Depth=2
	v_cmp_lt_u64_e32 vcc, s[76:77], v[52:53]
	v_add_u32_e32 v0, 7, v48
	v_cndmask_b32_e64 v2, 0, 1, vcc
	v_cndmask_b32_e32 v0, v3, v0, vcc
	v_lshrrev_b64 v[24:25], v2, v[52:53]
; %bb.1782:                             ;   in Loop: Header=BB4_1539 Depth=2
	s_andn2_saveexec_b64 s[22:23], s[22:23]
; %bb.1783:                             ;   in Loop: Header=BB4_1539 Depth=2
	v_mov_b32_e32 v24, v52
	v_bfe_u32 v0, v52, 23, 1
	v_mov_b32_e32 v25, v53
; %bb.1784:                             ;   in Loop: Header=BB4_1539 Depth=2
	s_or_b64 exec, exec, s[22:23]
	v_lshrrev_b64 v[2:3], 20, v[24:25]
	v_cmp_gt_i32_e32 vcc, 16, v0
	v_cndmask_b32_e32 v3, 0, v3, vcc
	v_cndmask_b32_e32 v2, 7, v2, vcc
	v_cmp_eq_u32_e32 vcc, 0, v0
	v_min_i32_e32 v0, 15, v0
	v_cmp_eq_u64_e64 s[22:23], 0, v[2:3]
	v_lshlrev_b32_e32 v0, 3, v0
	v_and_b32_e32 v0, 0xf8, v0
	v_and_or_b32 v0, v2, 7, v0
	s_and_b64 s[22:23], vcc, s[22:23]
	v_cndmask_b32_e64 v0, v0, 0, s[22:23]
	v_or_b32_e32 v0, v0, v1
.LBB4_1785:                             ;   in Loop: Header=BB4_1539 Depth=2
	s_or_b64 exec, exec, s[28:29]
                                        ; implicit-def: $vgpr1
.LBB4_1786:                             ;   in Loop: Header=BB4_1539 Depth=2
	s_andn2_saveexec_b64 s[22:23], s[26:27]
; %bb.1787:                             ;   in Loop: Header=BB4_1539 Depth=2
	v_or_b32_e32 v0, 0x7e, v1
; %bb.1788:                             ;   in Loop: Header=BB4_1539 Depth=2
	s_or_b64 exec, exec, s[22:23]
                                        ; implicit-def: $vgpr2
.LBB4_1789:                             ;   in Loop: Header=BB4_1539 Depth=2
	s_andn2_saveexec_b64 s[22:23], s[24:25]
; %bb.1790:                             ;   in Loop: Header=BB4_1539 Depth=2
	v_or_b32_sdwa v0, v2, s54 dst_sel:DWORD dst_unused:UNUSED_PAD src0_sel:BYTE_3 src1_sel:DWORD
; %bb.1791:                             ;   in Loop: Header=BB4_1539 Depth=2
	s_or_b64 exec, exec, s[22:23]
	v_bfe_u32 v3, v15, 16, 3
	v_bfe_u32 v1, v15, 16, 7
	v_cmp_eq_u32_e64 s[22:23], s54, v1
	v_cmp_gt_u32_e32 vcc, 8, v1
	v_ffbh_u32_e32 v1, v3
	v_lshrrev_b32_e32 v24, 16, v15
	v_min_u32_e32 v36, 32, v1
	v_bfe_u32 v25, v24, 3, 4
	v_subrev_u32_e32 v1, 28, v36
	v_lshlrev_b64 v[1:2], v1, v[24:25]
	v_sub_u32_e32 v2, 29, v36
	v_and_b32_e32 v1, 7, v1
	v_cndmask_b32_e32 v2, v25, v2, vcc
	v_cndmask_b32_e32 v1, v3, v1, vcc
	v_lshlrev_b32_e32 v3, 8, v15
	v_lshlrev_b32_e32 v1, 20, v1
	v_and_b32_e32 v3, 0x80000000, v3
	v_lshl_add_u32 v2, v2, 23, v43
	v_lshrrev_b32_e32 v25, 16, v11
	v_or3_b32 v1, v3, v2, v1
	v_cmp_ne_u16_sdwa s[24:25], v25, v53 src0_sel:BYTE_0 src1_sel:DWORD
	s_mov_b64 s[26:27], -1
	s_and_b64 vcc, exec, s[34:35]
                                        ; implicit-def: $vgpr2
	s_cbranch_vccz .LBB4_1805
; %bb.1792:                             ;   in Loop: Header=BB4_1539 Depth=2
	v_mov_b32_e32 v2, 0
	s_and_saveexec_b64 s[26:27], s[24:25]
	s_cbranch_execz .LBB4_1798
; %bb.1793:                             ;   in Loop: Header=BB4_1539 Depth=2
	v_cmp_ne_u16_sdwa vcc, v25, s53 src0_sel:BYTE_0 src1_sel:DWORD
	v_bfrev_b32_e32 v2, 1
	s_and_saveexec_b64 s[28:29], vcc
	s_cbranch_execz .LBB4_1797
; %bb.1794:                             ;   in Loop: Header=BB4_1539 Depth=2
	v_bfe_u32 v3, v11, 16, 7
	v_cmp_ne_u32_e32 vcc, s54, v3
	v_mov_b32_e32 v2, 0x7f800001
	s_and_saveexec_b64 s[36:37], vcc
	s_cbranch_execz .LBB4_1796
; %bb.1795:                             ;   in Loop: Header=BB4_1539 Depth=2
	v_and_b32_e32 v36, 7, v25
	v_ffbh_u32_e32 v2, v36
	v_min_u32_e32 v48, 32, v2
	v_subrev_u32_e32 v2, 28, v48
	v_lshrrev_b32_e32 v37, 3, v3
	v_cmp_gt_u32_e32 vcc, 8, v3
	v_lshlrev_b64 v[2:3], v2, v[25:26]
	v_sub_u32_e32 v3, 29, v48
	v_and_b32_e32 v2, 7, v2
	v_cndmask_b32_e32 v3, v37, v3, vcc
	v_cndmask_b32_e32 v2, v36, v2, vcc
	v_lshlrev_b32_e32 v36, 24, v25
	v_lshlrev_b32_e32 v2, 20, v2
	v_and_b32_e32 v36, 0x80000000, v36
	v_lshl_add_u32 v3, v3, 23, v43
	v_or3_b32 v2, v36, v3, v2
.LBB4_1796:                             ;   in Loop: Header=BB4_1539 Depth=2
	s_or_b64 exec, exec, s[36:37]
.LBB4_1797:                             ;   in Loop: Header=BB4_1539 Depth=2
	s_or_b64 exec, exec, s[28:29]
.LBB4_1798:                             ;   in Loop: Header=BB4_1539 Depth=2
	s_or_b64 exec, exec, s[26:27]
	v_cmp_gt_i16_sdwa s[28:29], v24, s54 src0_sel:BYTE_0 src1_sel:DWORD
	s_mov_b64 s[26:27], 0
	s_and_saveexec_b64 vcc, s[28:29]
	s_xor_b64 s[28:29], exec, vcc
	s_cbranch_execz .LBB4_2215
; %bb.1799:                             ;   in Loop: Header=BB4_1539 Depth=2
	v_cmp_eq_u16_sdwa s[36:37], v24, s53 src0_sel:BYTE_0 src1_sel:DWORD
	s_mov_b64 s[26:27], -1
	s_and_saveexec_b64 vcc, s[36:37]
; %bb.1800:                             ;   in Loop: Header=BB4_1539 Depth=2
	s_xor_b64 s[26:27], exec, -1
; %bb.1801:                             ;   in Loop: Header=BB4_1539 Depth=2
	s_or_b64 exec, exec, vcc
	s_and_b64 s[26:27], s[26:27], exec
	s_or_saveexec_b64 s[28:29], s[28:29]
	v_bfrev_b32_e32 v3, 1
	s_xor_b64 exec, exec, s[28:29]
	s_cbranch_execnz .LBB4_2216
.LBB4_1802:                             ;   in Loop: Header=BB4_1539 Depth=2
	s_or_b64 exec, exec, s[28:29]
	s_and_saveexec_b64 s[28:29], s[26:27]
.LBB4_1803:                             ;   in Loop: Header=BB4_1539 Depth=2
	v_mov_b32_e32 v3, 0x7f800001
	v_cndmask_b32_e64 v3, v1, v3, s[22:23]
.LBB4_1804:                             ;   in Loop: Header=BB4_1539 Depth=2
	s_or_b64 exec, exec, s[28:29]
	v_max_f32_e32 v3, v3, v3
	v_max_f32_e32 v2, v2, v2
	;; [unrolled: 1-line block ×3, first 2 shown]
	s_mov_b64 s[26:27], 0
.LBB4_1805:                             ;   in Loop: Header=BB4_1539 Depth=2
	s_and_b64 vcc, exec, s[26:27]
	s_cbranch_vccz .LBB4_1819
; %bb.1806:                             ;   in Loop: Header=BB4_1539 Depth=2
	v_mov_b32_e32 v2, 0
	s_and_saveexec_b64 s[26:27], s[24:25]
	s_cbranch_execz .LBB4_1812
; %bb.1807:                             ;   in Loop: Header=BB4_1539 Depth=2
	v_cmp_ne_u16_sdwa s[28:29], v25, s53 src0_sel:BYTE_0 src1_sel:DWORD
	v_bfrev_b32_e32 v2, 1
	s_and_saveexec_b64 s[24:25], s[28:29]
	s_cbranch_execz .LBB4_1811
; %bb.1808:                             ;   in Loop: Header=BB4_1539 Depth=2
	v_bfe_u32 v3, v11, 16, 7
	v_cmp_ne_u32_e32 vcc, s54, v3
	v_mov_b32_e32 v2, 0x7f800001
	s_and_saveexec_b64 s[28:29], vcc
	s_cbranch_execz .LBB4_1810
; %bb.1809:                             ;   in Loop: Header=BB4_1539 Depth=2
	v_and_b32_e32 v36, 7, v25
	v_ffbh_u32_e32 v2, v36
	v_min_u32_e32 v48, 32, v2
	v_subrev_u32_e32 v2, 28, v48
	v_lshrrev_b32_e32 v37, 3, v3
	v_cmp_gt_u32_e32 vcc, 8, v3
	v_lshlrev_b64 v[2:3], v2, v[25:26]
	v_sub_u32_e32 v3, 29, v48
	v_and_b32_e32 v2, 7, v2
	v_cndmask_b32_e32 v3, v37, v3, vcc
	v_cndmask_b32_e32 v2, v36, v2, vcc
	v_lshlrev_b32_e32 v25, 24, v25
	v_lshlrev_b32_e32 v2, 20, v2
	v_and_b32_e32 v25, 0x80000000, v25
	v_lshl_add_u32 v3, v3, 23, v43
	v_or3_b32 v2, v25, v3, v2
.LBB4_1810:                             ;   in Loop: Header=BB4_1539 Depth=2
	s_or_b64 exec, exec, s[28:29]
.LBB4_1811:                             ;   in Loop: Header=BB4_1539 Depth=2
	s_or_b64 exec, exec, s[24:25]
.LBB4_1812:                             ;   in Loop: Header=BB4_1539 Depth=2
	s_or_b64 exec, exec, s[26:27]
	v_cmp_gt_i16_sdwa s[26:27], v24, s54 src0_sel:BYTE_0 src1_sel:DWORD
	s_mov_b64 s[24:25], 0
	s_and_saveexec_b64 s[28:29], s[26:27]
	s_xor_b64 s[26:27], exec, s[28:29]
	s_cbranch_execz .LBB4_2217
; %bb.1813:                             ;   in Loop: Header=BB4_1539 Depth=2
	v_cmp_eq_u16_sdwa vcc, v24, s53 src0_sel:BYTE_0 src1_sel:DWORD
	s_mov_b64 s[24:25], -1
	s_and_saveexec_b64 s[28:29], vcc
; %bb.1814:                             ;   in Loop: Header=BB4_1539 Depth=2
	s_xor_b64 s[24:25], exec, -1
; %bb.1815:                             ;   in Loop: Header=BB4_1539 Depth=2
	s_or_b64 exec, exec, s[28:29]
	s_and_b64 s[24:25], s[24:25], exec
                                        ; implicit-def: $vgpr24
	s_or_saveexec_b64 s[26:27], s[26:27]
	v_bfrev_b32_e32 v3, 1
	s_xor_b64 exec, exec, s[26:27]
	s_cbranch_execnz .LBB4_2218
.LBB4_1816:                             ;   in Loop: Header=BB4_1539 Depth=2
	s_or_b64 exec, exec, s[26:27]
	s_and_saveexec_b64 s[26:27], s[24:25]
.LBB4_1817:                             ;   in Loop: Header=BB4_1539 Depth=2
	v_mov_b32_e32 v3, 0x7f800001
	v_cndmask_b32_e64 v3, v1, v3, s[22:23]
.LBB4_1818:                             ;   in Loop: Header=BB4_1539 Depth=2
	s_or_b64 exec, exec, s[26:27]
	v_max_f32_e32 v1, v3, v3
	v_max_f32_e32 v2, v2, v2
	v_min_f32_e32 v2, v2, v1
.LBB4_1819:                             ;   in Loop: Header=BB4_1539 Depth=2
	v_and_b32_e32 v52, 0x7f800000, v2
	v_cmp_ne_u64_e32 vcc, s[72:73], v[52:53]
                                        ; implicit-def: $vgpr25
	s_and_saveexec_b64 s[22:23], vcc
	s_xor_b64 s[24:25], exec, s[22:23]
	s_cbranch_execz .LBB4_1833
; %bb.1820:                             ;   in Loop: Header=BB4_1539 Depth=2
	v_and_b32_e32 v52, 0x7fffffff, v2
	v_cmp_gt_u64_e32 vcc, s[74:75], v[52:53]
	v_and_b32_sdwa v1, v2, s53 dst_sel:DWORD dst_unused:UNUSED_PAD src0_sel:BYTE_3 src1_sel:DWORD
                                        ; implicit-def: $vgpr25
	s_and_saveexec_b64 s[22:23], vcc
	s_xor_b64 s[26:27], exec, s[22:23]
	s_cbranch_execz .LBB4_1830
; %bb.1821:                             ;   in Loop: Header=BB4_1539 Depth=2
	v_mov_b32_e32 v25, 0
	v_cmp_ne_u32_e32 vcc, 0, v2
	s_and_saveexec_b64 s[28:29], vcc
	s_cbranch_execz .LBB4_1829
; %bb.1822:                             ;   in Loop: Header=BB4_1539 Depth=2
	v_bfe_u32 v48, v2, 23, 8
	v_and_b32_e32 v3, 0x7fffff, v2
	v_cmp_gt_u32_e64 s[22:23], s64, v48
	v_sub_u32_e32 v2, 0x79, v48
	v_cmp_eq_u32_e32 vcc, 0, v48
	v_cndmask_b32_e64 v2, 0, v2, s[22:23]
	v_mov_b32_e32 v25, 0x78
	v_cndmask_b32_e32 v49, v2, v25, vcc
	v_or_b32_e32 v24, 0x800000, v3
	v_add_u32_e32 v2, 20, v49
	v_cndmask_b32_e32 v52, v24, v3, vcc
	v_lshlrev_b64 v[2:3], v2, -1
	v_add_u32_e32 v24, 19, v49
	v_lshlrev_b64 v[24:25], v24, 1
	v_bfi_b32 v3, v3, 0, 0
	v_bfi_b32 v2, v2, 0, v52
	v_cmp_eq_u64_e64 s[22:23], v[2:3], v[24:25]
	v_lshrrev_b64 v[24:25], v49, v[52:53]
	v_mov_b32_e32 v36, 0xffffff82
	v_mov_b32_e32 v2, v24
	;; [unrolled: 1-line block ×3, first 2 shown]
	s_and_saveexec_b64 s[36:37], s[22:23]
; %bb.1823:                             ;   in Loop: Header=BB4_1539 Depth=2
	v_bfe_u32 v2, v24, 20, 1
	v_add_co_u32_e64 v2, s[22:23], v24, v2
	v_add_co_u32_e64 v2, s[22:23], -1, v2
; %bb.1824:                             ;   in Loop: Header=BB4_1539 Depth=2
	s_or_b64 exec, exec, s[36:37]
	v_add_u32_e32 v3, 0xffffff81, v48
	v_cndmask_b32_e32 v3, v3, v36, vcc
	v_lshrrev_b32_e32 v25, 23, v24
	v_add3_u32 v48, v49, v3, v25
	v_add_u32_e32 v3, 6, v48
	v_and_b32_e32 v2, 0xfffff, v2
	v_add_u32_e32 v52, v2, v24
	v_cmp_ne_u32_e32 vcc, 0, v3
                                        ; implicit-def: $vgpr24_vgpr25
                                        ; implicit-def: $vgpr2
	s_and_saveexec_b64 s[22:23], vcc
	s_xor_b64 s[22:23], exec, s[22:23]
; %bb.1825:                             ;   in Loop: Header=BB4_1539 Depth=2
	v_cmp_lt_u64_e32 vcc, s[76:77], v[52:53]
	v_add_u32_e32 v2, 7, v48
	v_cndmask_b32_e32 v2, v3, v2, vcc
	v_cndmask_b32_e64 v3, 0, 1, vcc
	v_lshrrev_b64 v[24:25], v3, v[52:53]
; %bb.1826:                             ;   in Loop: Header=BB4_1539 Depth=2
	s_andn2_saveexec_b64 s[22:23], s[22:23]
; %bb.1827:                             ;   in Loop: Header=BB4_1539 Depth=2
	v_mov_b32_e32 v24, v52
	v_bfe_u32 v2, v52, 23, 1
	v_mov_b32_e32 v25, v53
; %bb.1828:                             ;   in Loop: Header=BB4_1539 Depth=2
	s_or_b64 exec, exec, s[22:23]
	v_lshrrev_b64 v[24:25], 20, v[24:25]
	v_cmp_gt_i32_e32 vcc, 16, v2
	v_cndmask_b32_e32 v25, 0, v25, vcc
	v_cndmask_b32_e32 v24, 7, v24, vcc
	v_cmp_eq_u32_e32 vcc, 0, v2
	v_min_i32_e32 v2, 15, v2
	v_cmp_eq_u64_e64 s[22:23], 0, v[24:25]
	v_lshlrev_b32_e32 v2, 3, v2
	v_and_b32_e32 v2, 0xf8, v2
	v_and_or_b32 v2, v24, 7, v2
	s_and_b64 s[22:23], vcc, s[22:23]
	v_cndmask_b32_e64 v2, v2, 0, s[22:23]
	v_or_b32_e32 v25, v2, v1
	v_mov_b32_e32 v49, 0xffffff82
.LBB4_1829:                             ;   in Loop: Header=BB4_1539 Depth=2
	s_or_b64 exec, exec, s[28:29]
                                        ; implicit-def: $vgpr1
.LBB4_1830:                             ;   in Loop: Header=BB4_1539 Depth=2
	s_andn2_saveexec_b64 s[22:23], s[26:27]
; %bb.1831:                             ;   in Loop: Header=BB4_1539 Depth=2
	v_or_b32_e32 v25, 0x7e, v1
; %bb.1832:                             ;   in Loop: Header=BB4_1539 Depth=2
	s_or_b64 exec, exec, s[22:23]
                                        ; implicit-def: $vgpr2
.LBB4_1833:                             ;   in Loop: Header=BB4_1539 Depth=2
	s_andn2_saveexec_b64 s[22:23], s[24:25]
; %bb.1834:                             ;   in Loop: Header=BB4_1539 Depth=2
	v_or_b32_sdwa v25, v2, s54 dst_sel:DWORD dst_unused:UNUSED_PAD src0_sel:BYTE_3 src1_sel:DWORD
; %bb.1835:                             ;   in Loop: Header=BB4_1539 Depth=2
	s_or_b64 exec, exec, s[22:23]
	v_bfe_u32 v3, v15, 24, 3
	v_bfe_u32 v2, v15, 24, 7
	v_cmp_eq_u32_e64 s[26:27], s54, v2
	v_cmp_gt_u32_e32 vcc, 8, v2
	v_ffbh_u32_e32 v2, v3
	v_min_u32_e32 v36, 32, v2
	v_lshrrev_b32_e32 v1, 24, v15
	v_subrev_u32_e32 v2, 28, v36
	v_cmp_gt_u64_e64 s[22:23], s[58:59], v[14:15]
	v_bfe_u32 v14, v1, 3, 4
	v_cmp_eq_u32_e64 s[24:25], s53, v1
	v_lshlrev_b64 v[1:2], v2, v[1:2]
	v_sub_u32_e32 v2, 29, v36
	v_and_b32_e32 v1, 7, v1
	v_cndmask_b32_e32 v2, v14, v2, vcc
	v_cndmask_b32_e32 v1, v3, v1, vcc
	v_lshlrev_b32_e32 v1, 20, v1
	v_and_b32_e32 v3, 0x80000000, v15
	v_lshl_add_u32 v2, v2, 23, v43
	v_cmp_lt_u64_e64 s[28:29], s[78:79], v[10:11]
	v_lshrrev_b32_e32 v24, 24, v11
	v_or3_b32 v1, v3, v2, v1
	s_mov_b64 s[36:37], -1
	s_and_b64 vcc, exec, s[34:35]
                                        ; implicit-def: $vgpr2
	s_cbranch_vccz .LBB4_1843
; %bb.1836:                             ;   in Loop: Header=BB4_1539 Depth=2
	v_mov_b32_e32 v2, 0
	s_and_saveexec_b64 s[36:37], s[28:29]
	s_cbranch_execz .LBB4_1842
; %bb.1837:                             ;   in Loop: Header=BB4_1539 Depth=2
	v_cmp_ne_u32_e32 vcc, s53, v24
	v_bfrev_b32_e32 v2, 1
	s_and_saveexec_b64 s[38:39], vcc
	s_cbranch_execz .LBB4_1841
; %bb.1838:                             ;   in Loop: Header=BB4_1539 Depth=2
	v_bfe_u32 v3, v11, 24, 7
	v_cmp_ne_u32_e32 vcc, s54, v3
	v_mov_b32_e32 v2, 0x7f800001
	s_and_saveexec_b64 s[48:49], vcc
	s_cbranch_execz .LBB4_1840
; %bb.1839:                             ;   in Loop: Header=BB4_1539 Depth=2
	v_and_b32_e32 v10, 7, v24
	v_ffbh_u32_e32 v2, v10
	v_min_u32_e32 v15, 32, v2
	v_subrev_u32_e32 v2, 28, v15
	v_lshrrev_b32_e32 v14, 3, v3
	v_cmp_gt_u32_e32 vcc, 8, v3
	v_lshlrev_b64 v[2:3], v2, v[24:25]
	v_sub_u32_e32 v3, 29, v15
	v_and_b32_e32 v2, 7, v2
	v_cndmask_b32_e32 v3, v14, v3, vcc
	v_cndmask_b32_e32 v2, v10, v2, vcc
	v_lshlrev_b32_e32 v10, 24, v24
	v_lshlrev_b32_e32 v2, 20, v2
	v_and_b32_e32 v10, 0x80000000, v10
	v_lshl_add_u32 v3, v3, 23, v43
	v_or3_b32 v2, v10, v3, v2
.LBB4_1840:                             ;   in Loop: Header=BB4_1539 Depth=2
	s_or_b64 exec, exec, s[48:49]
.LBB4_1841:                             ;   in Loop: Header=BB4_1539 Depth=2
	s_or_b64 exec, exec, s[38:39]
.LBB4_1842:                             ;   in Loop: Header=BB4_1539 Depth=2
	s_or_b64 exec, exec, s[36:37]
	v_mov_b32_e32 v3, 0x7f800001
	v_cndmask_b32_e64 v3, v1, v3, s[26:27]
	v_bfrev_b32_e32 v10, 1
	v_cndmask_b32_e64 v3, v3, v10, s[24:25]
	v_cndmask_b32_e64 v3, v3, 0, s[22:23]
	v_max_f32_e32 v3, v3, v3
	v_max_f32_e32 v2, v2, v2
	;; [unrolled: 1-line block ×3, first 2 shown]
	s_mov_b64 s[36:37], 0
.LBB4_1843:                             ;   in Loop: Header=BB4_1539 Depth=2
	s_and_b64 vcc, exec, s[36:37]
	s_cbranch_vccz .LBB4_1851
; %bb.1844:                             ;   in Loop: Header=BB4_1539 Depth=2
	v_mov_b32_e32 v2, 0
	s_and_saveexec_b64 s[36:37], s[28:29]
	s_cbranch_execz .LBB4_1850
; %bb.1845:                             ;   in Loop: Header=BB4_1539 Depth=2
	v_cmp_ne_u32_e32 vcc, s53, v24
	v_bfrev_b32_e32 v2, 1
	s_and_saveexec_b64 s[28:29], vcc
	s_cbranch_execz .LBB4_1849
; %bb.1846:                             ;   in Loop: Header=BB4_1539 Depth=2
	v_bfe_u32 v3, v11, 24, 7
	v_cmp_ne_u32_e32 vcc, s54, v3
	v_mov_b32_e32 v2, 0x7f800001
	s_and_saveexec_b64 s[38:39], vcc
	s_cbranch_execz .LBB4_1848
; %bb.1847:                             ;   in Loop: Header=BB4_1539 Depth=2
	v_and_b32_e32 v10, 7, v24
	v_ffbh_u32_e32 v2, v10
	v_min_u32_e32 v14, 32, v2
	v_subrev_u32_e32 v2, 28, v14
	v_lshrrev_b32_e32 v11, 3, v3
	v_cmp_gt_u32_e32 vcc, 8, v3
	v_lshlrev_b64 v[2:3], v2, v[24:25]
	v_sub_u32_e32 v3, 29, v14
	v_and_b32_e32 v2, 7, v2
	v_cndmask_b32_e32 v3, v11, v3, vcc
	v_cndmask_b32_e32 v2, v10, v2, vcc
	v_lshlrev_b32_e32 v10, 24, v24
	v_lshlrev_b32_e32 v2, 20, v2
	v_and_b32_e32 v10, 0x80000000, v10
	v_lshl_add_u32 v3, v3, 23, v43
	v_or3_b32 v2, v10, v3, v2
.LBB4_1848:                             ;   in Loop: Header=BB4_1539 Depth=2
	s_or_b64 exec, exec, s[38:39]
.LBB4_1849:                             ;   in Loop: Header=BB4_1539 Depth=2
	s_or_b64 exec, exec, s[28:29]
.LBB4_1850:                             ;   in Loop: Header=BB4_1539 Depth=2
	s_or_b64 exec, exec, s[36:37]
	v_mov_b32_e32 v3, 0x7f800001
	v_cndmask_b32_e64 v1, v1, v3, s[26:27]
	v_bfrev_b32_e32 v3, 1
	v_cndmask_b32_e64 v1, v1, v3, s[24:25]
	v_cndmask_b32_e64 v1, v1, 0, s[22:23]
	v_max_f32_e32 v1, v1, v1
	v_max_f32_e32 v2, v2, v2
	v_min_f32_e32 v2, v2, v1
.LBB4_1851:                             ;   in Loop: Header=BB4_1539 Depth=2
	v_and_b32_e32 v52, 0x7f800000, v2
	v_cmp_ne_u64_e32 vcc, s[72:73], v[52:53]
                                        ; implicit-def: $vgpr1
	s_and_saveexec_b64 s[22:23], vcc
	s_xor_b64 s[24:25], exec, s[22:23]
	s_cbranch_execz .LBB4_1865
; %bb.1852:                             ;   in Loop: Header=BB4_1539 Depth=2
	v_and_b32_e32 v52, 0x7fffffff, v2
	v_cmp_gt_u64_e32 vcc, s[74:75], v[52:53]
	v_and_b32_sdwa v14, v2, s53 dst_sel:DWORD dst_unused:UNUSED_PAD src0_sel:BYTE_3 src1_sel:DWORD
                                        ; implicit-def: $vgpr1
	s_and_saveexec_b64 s[22:23], vcc
	s_xor_b64 s[26:27], exec, s[22:23]
	s_cbranch_execz .LBB4_1862
; %bb.1853:                             ;   in Loop: Header=BB4_1539 Depth=2
	v_mov_b32_e32 v1, 0
	v_cmp_ne_u32_e32 vcc, 0, v2
	s_and_saveexec_b64 s[28:29], vcc
	s_cbranch_execz .LBB4_1861
; %bb.1854:                             ;   in Loop: Header=BB4_1539 Depth=2
	v_bfe_u32 v1, v2, 23, 8
	v_and_b32_e32 v3, 0x7fffff, v2
	v_cmp_gt_u32_e64 s[22:23], s64, v1
	v_sub_u32_e32 v2, 0x79, v1
	v_cmp_eq_u32_e32 vcc, 0, v1
	v_cndmask_b32_e64 v2, 0, v2, s[22:23]
	v_mov_b32_e32 v11, 0x78
	v_cndmask_b32_e32 v15, v2, v11, vcc
	v_or_b32_e32 v10, 0x800000, v3
	v_add_u32_e32 v2, 20, v15
	v_cndmask_b32_e32 v52, v10, v3, vcc
	v_lshlrev_b64 v[2:3], v2, -1
	v_add_u32_e32 v10, 19, v15
	v_lshlrev_b64 v[10:11], v10, 1
	v_bfi_b32 v3, v3, 0, 0
	v_bfi_b32 v2, v2, 0, v52
	v_cmp_eq_u64_e64 s[22:23], v[2:3], v[10:11]
	v_lshrrev_b64 v[10:11], v15, v[52:53]
	v_mov_b32_e32 v2, v10
	v_mov_b32_e32 v3, v11
	s_and_saveexec_b64 s[36:37], s[22:23]
; %bb.1855:                             ;   in Loop: Header=BB4_1539 Depth=2
	v_bfe_u32 v2, v10, 20, 1
	v_add_co_u32_e64 v2, s[22:23], v10, v2
	v_add_co_u32_e64 v2, s[22:23], -1, v2
; %bb.1856:                             ;   in Loop: Header=BB4_1539 Depth=2
	s_or_b64 exec, exec, s[36:37]
	v_add_u32_e32 v1, 0xffffff81, v1
	v_cndmask_b32_e32 v1, v1, v49, vcc
	v_lshrrev_b32_e32 v3, 23, v10
	v_add3_u32 v15, v15, v1, v3
	v_add_u32_e32 v3, 6, v15
	v_and_b32_e32 v1, 0xfffff, v2
	v_add_u32_e32 v52, v1, v10
	v_cmp_ne_u32_e32 vcc, 0, v3
                                        ; implicit-def: $vgpr10_vgpr11
                                        ; implicit-def: $vgpr1
	s_and_saveexec_b64 s[22:23], vcc
	s_xor_b64 s[22:23], exec, s[22:23]
; %bb.1857:                             ;   in Loop: Header=BB4_1539 Depth=2
	v_cmp_lt_u64_e32 vcc, s[76:77], v[52:53]
	v_add_u32_e32 v1, 7, v15
	v_cndmask_b32_e64 v2, 0, 1, vcc
	v_cndmask_b32_e32 v1, v3, v1, vcc
	v_lshrrev_b64 v[10:11], v2, v[52:53]
; %bb.1858:                             ;   in Loop: Header=BB4_1539 Depth=2
	s_andn2_saveexec_b64 s[22:23], s[22:23]
; %bb.1859:                             ;   in Loop: Header=BB4_1539 Depth=2
	v_mov_b32_e32 v10, v52
	v_bfe_u32 v1, v52, 23, 1
	v_mov_b32_e32 v11, v53
; %bb.1860:                             ;   in Loop: Header=BB4_1539 Depth=2
	s_or_b64 exec, exec, s[22:23]
	v_lshrrev_b64 v[2:3], 20, v[10:11]
	v_cmp_gt_i32_e32 vcc, 16, v1
	v_cndmask_b32_e32 v3, 0, v3, vcc
	v_cndmask_b32_e32 v2, 7, v2, vcc
	v_cmp_eq_u32_e32 vcc, 0, v1
	v_min_i32_e32 v1, 15, v1
	v_cmp_eq_u64_e64 s[22:23], 0, v[2:3]
	v_lshlrev_b32_e32 v1, 3, v1
	v_and_b32_e32 v1, 0xf8, v1
	v_and_or_b32 v1, v2, 7, v1
	s_and_b64 s[22:23], vcc, s[22:23]
	v_cndmask_b32_e64 v1, v1, 0, s[22:23]
	v_or_b32_e32 v1, v1, v14
.LBB4_1861:                             ;   in Loop: Header=BB4_1539 Depth=2
	s_or_b64 exec, exec, s[28:29]
                                        ; implicit-def: $vgpr14
.LBB4_1862:                             ;   in Loop: Header=BB4_1539 Depth=2
	s_andn2_saveexec_b64 s[22:23], s[26:27]
; %bb.1863:                             ;   in Loop: Header=BB4_1539 Depth=2
	v_or_b32_e32 v1, 0x7e, v14
; %bb.1864:                             ;   in Loop: Header=BB4_1539 Depth=2
	s_or_b64 exec, exec, s[22:23]
                                        ; implicit-def: $vgpr2
.LBB4_1865:                             ;   in Loop: Header=BB4_1539 Depth=2
	s_andn2_saveexec_b64 s[22:23], s[24:25]
; %bb.1866:                             ;   in Loop: Header=BB4_1539 Depth=2
	v_or_b32_sdwa v1, v2, s54 dst_sel:DWORD dst_unused:UNUSED_PAD src0_sel:BYTE_3 src1_sel:DWORD
; %bb.1867:                             ;   in Loop: Header=BB4_1539 Depth=2
	s_or_b64 exec, exec, s[22:23]
	v_and_b32_e32 v2, 7, v16
	v_ffbh_u32_e32 v2, v2
	v_and_b32_e32 v3, 0x7f, v16
	v_min_u32_e32 v2, 32, v2
	v_bfe_u32 v10, v16, 3, 4
	v_cmp_eq_u32_e64 s[22:23], s54, v3
	v_cmp_gt_u32_e32 vcc, 8, v3
	v_subrev_u32_e32 v3, 28, v2
	v_sub_u32_e32 v2, 29, v2
	v_cndmask_b32_e32 v10, v10, v2, vcc
	v_cndmask_b32_e32 v2, 0, v3, vcc
	v_lshlrev_b64 v[2:3], v2, v[16:17]
	v_lshlrev_b32_e32 v3, 24, v16
	v_lshlrev_b32_e32 v2, 20, v2
	v_and_b32_e32 v2, 0x700000, v2
	v_and_b32_e32 v3, 0x80000000, v3
	v_lshl_add_u32 v10, v10, 23, v43
	v_or3_b32 v2, v3, v10, v2
	v_cmp_ne_u16_sdwa s[24:25], v12, v53 src0_sel:BYTE_0 src1_sel:DWORD
	s_mov_b64 s[26:27], -1
	s_and_b64 vcc, exec, s[34:35]
                                        ; implicit-def: $vgpr3
	s_cbranch_vccz .LBB4_1881
; %bb.1868:                             ;   in Loop: Header=BB4_1539 Depth=2
	v_mov_b32_e32 v3, 0
	s_and_saveexec_b64 s[26:27], s[24:25]
	s_cbranch_execz .LBB4_1874
; %bb.1869:                             ;   in Loop: Header=BB4_1539 Depth=2
	v_cmp_ne_u16_sdwa vcc, v12, s53 src0_sel:BYTE_0 src1_sel:DWORD
	v_bfrev_b32_e32 v3, 1
	s_and_saveexec_b64 s[28:29], vcc
	s_cbranch_execz .LBB4_1873
; %bb.1870:                             ;   in Loop: Header=BB4_1539 Depth=2
	v_and_b32_e32 v10, 0x7f, v12
	v_cmp_ne_u32_e32 vcc, s54, v10
	v_mov_b32_e32 v3, 0x7f800001
	s_and_saveexec_b64 s[36:37], vcc
	s_cbranch_execz .LBB4_1872
; %bb.1871:                             ;   in Loop: Header=BB4_1539 Depth=2
	v_and_b32_e32 v3, 7, v12
	v_ffbh_u32_e32 v3, v3
	v_min_u32_e32 v3, 32, v3
	v_lshrrev_b32_e32 v11, 3, v10
	v_cmp_gt_u32_e32 vcc, 8, v10
	v_subrev_u32_e32 v10, 28, v3
	v_sub_u32_e32 v3, 29, v3
	v_cndmask_b32_e32 v10, 0, v10, vcc
	v_cndmask_b32_e32 v3, v11, v3, vcc
	v_lshlrev_b64 v[10:11], v10, v[12:13]
	v_lshlrev_b32_e32 v11, 24, v12
	v_lshlrev_b32_e32 v10, 20, v10
	v_and_b32_e32 v10, 0x700000, v10
	v_and_b32_e32 v11, 0x80000000, v11
	v_lshl_add_u32 v3, v3, 23, v43
	v_or3_b32 v3, v11, v3, v10
.LBB4_1872:                             ;   in Loop: Header=BB4_1539 Depth=2
	s_or_b64 exec, exec, s[36:37]
.LBB4_1873:                             ;   in Loop: Header=BB4_1539 Depth=2
	s_or_b64 exec, exec, s[28:29]
.LBB4_1874:                             ;   in Loop: Header=BB4_1539 Depth=2
	s_or_b64 exec, exec, s[26:27]
	v_cmp_gt_i16_sdwa s[28:29], v16, s54 src0_sel:BYTE_0 src1_sel:DWORD
	s_mov_b64 s[26:27], 0
	s_and_saveexec_b64 vcc, s[28:29]
	s_xor_b64 s[28:29], exec, vcc
	s_cbranch_execz .LBB4_2219
; %bb.1875:                             ;   in Loop: Header=BB4_1539 Depth=2
	v_cmp_eq_u16_sdwa s[36:37], v16, s53 src0_sel:BYTE_0 src1_sel:DWORD
	s_mov_b64 s[26:27], -1
	s_and_saveexec_b64 vcc, s[36:37]
; %bb.1876:                             ;   in Loop: Header=BB4_1539 Depth=2
	s_xor_b64 s[26:27], exec, -1
; %bb.1877:                             ;   in Loop: Header=BB4_1539 Depth=2
	s_or_b64 exec, exec, vcc
	s_and_b64 s[26:27], s[26:27], exec
	s_or_saveexec_b64 s[28:29], s[28:29]
	v_bfrev_b32_e32 v10, 1
	s_xor_b64 exec, exec, s[28:29]
	s_cbranch_execnz .LBB4_2220
.LBB4_1878:                             ;   in Loop: Header=BB4_1539 Depth=2
	s_or_b64 exec, exec, s[28:29]
	s_and_saveexec_b64 s[28:29], s[26:27]
.LBB4_1879:                             ;   in Loop: Header=BB4_1539 Depth=2
	v_mov_b32_e32 v10, 0x7f800001
	v_cndmask_b32_e64 v10, v2, v10, s[22:23]
.LBB4_1880:                             ;   in Loop: Header=BB4_1539 Depth=2
	s_or_b64 exec, exec, s[28:29]
	v_max_f32_e32 v10, v10, v10
	v_max_f32_e32 v3, v3, v3
	;; [unrolled: 1-line block ×3, first 2 shown]
	s_mov_b64 s[26:27], 0
.LBB4_1881:                             ;   in Loop: Header=BB4_1539 Depth=2
	s_and_b64 vcc, exec, s[26:27]
	s_cbranch_vccz .LBB4_1895
; %bb.1882:                             ;   in Loop: Header=BB4_1539 Depth=2
	v_mov_b32_e32 v3, 0
	s_and_saveexec_b64 s[26:27], s[24:25]
	s_cbranch_execz .LBB4_1888
; %bb.1883:                             ;   in Loop: Header=BB4_1539 Depth=2
	v_cmp_ne_u16_sdwa s[28:29], v12, s53 src0_sel:BYTE_0 src1_sel:DWORD
	v_bfrev_b32_e32 v3, 1
	s_and_saveexec_b64 s[24:25], s[28:29]
	s_cbranch_execz .LBB4_1887
; %bb.1884:                             ;   in Loop: Header=BB4_1539 Depth=2
	v_and_b32_e32 v10, 0x7f, v12
	v_cmp_ne_u32_e32 vcc, s54, v10
	v_mov_b32_e32 v3, 0x7f800001
	s_and_saveexec_b64 s[28:29], vcc
	s_cbranch_execz .LBB4_1886
; %bb.1885:                             ;   in Loop: Header=BB4_1539 Depth=2
	v_and_b32_e32 v3, 7, v12
	v_ffbh_u32_e32 v3, v3
	v_min_u32_e32 v3, 32, v3
	v_lshrrev_b32_e32 v11, 3, v10
	v_cmp_gt_u32_e32 vcc, 8, v10
	v_subrev_u32_e32 v10, 28, v3
	v_sub_u32_e32 v3, 29, v3
	v_cndmask_b32_e32 v10, 0, v10, vcc
	v_cndmask_b32_e32 v3, v11, v3, vcc
	v_lshlrev_b64 v[10:11], v10, v[12:13]
	v_lshlrev_b32_e32 v11, 24, v12
	v_lshlrev_b32_e32 v10, 20, v10
	v_and_b32_e32 v10, 0x700000, v10
	v_and_b32_e32 v11, 0x80000000, v11
	v_lshl_add_u32 v3, v3, 23, v43
	v_or3_b32 v3, v11, v3, v10
.LBB4_1886:                             ;   in Loop: Header=BB4_1539 Depth=2
	s_or_b64 exec, exec, s[28:29]
.LBB4_1887:                             ;   in Loop: Header=BB4_1539 Depth=2
	s_or_b64 exec, exec, s[24:25]
.LBB4_1888:                             ;   in Loop: Header=BB4_1539 Depth=2
	s_or_b64 exec, exec, s[26:27]
	v_cmp_gt_i16_sdwa s[26:27], v16, s54 src0_sel:BYTE_0 src1_sel:DWORD
	s_mov_b64 s[24:25], 0
	s_and_saveexec_b64 s[28:29], s[26:27]
	s_xor_b64 s[26:27], exec, s[28:29]
	s_cbranch_execz .LBB4_2221
; %bb.1889:                             ;   in Loop: Header=BB4_1539 Depth=2
	v_cmp_eq_u16_sdwa vcc, v16, s53 src0_sel:BYTE_0 src1_sel:DWORD
	s_mov_b64 s[24:25], -1
	s_and_saveexec_b64 s[28:29], vcc
; %bb.1890:                             ;   in Loop: Header=BB4_1539 Depth=2
	s_xor_b64 s[24:25], exec, -1
; %bb.1891:                             ;   in Loop: Header=BB4_1539 Depth=2
	s_or_b64 exec, exec, s[28:29]
	s_and_b64 s[24:25], s[24:25], exec
	s_or_saveexec_b64 s[26:27], s[26:27]
	v_bfrev_b32_e32 v10, 1
	s_xor_b64 exec, exec, s[26:27]
	s_cbranch_execnz .LBB4_2222
.LBB4_1892:                             ;   in Loop: Header=BB4_1539 Depth=2
	s_or_b64 exec, exec, s[26:27]
	s_and_saveexec_b64 s[26:27], s[24:25]
.LBB4_1893:                             ;   in Loop: Header=BB4_1539 Depth=2
	v_mov_b32_e32 v10, 0x7f800001
	v_cndmask_b32_e64 v10, v2, v10, s[22:23]
.LBB4_1894:                             ;   in Loop: Header=BB4_1539 Depth=2
	s_or_b64 exec, exec, s[26:27]
	v_max_f32_e32 v2, v10, v10
	v_max_f32_e32 v3, v3, v3
	v_min_f32_e32 v3, v3, v2
.LBB4_1895:                             ;   in Loop: Header=BB4_1539 Depth=2
	v_and_b32_e32 v52, 0x7f800000, v3
	v_cmp_ne_u64_e32 vcc, s[72:73], v[52:53]
                                        ; implicit-def: $vgpr24
	s_and_saveexec_b64 s[22:23], vcc
	s_xor_b64 s[24:25], exec, s[22:23]
	s_cbranch_execz .LBB4_1909
; %bb.1896:                             ;   in Loop: Header=BB4_1539 Depth=2
	v_and_b32_e32 v52, 0x7fffffff, v3
	v_cmp_gt_u64_e32 vcc, s[74:75], v[52:53]
	v_and_b32_sdwa v14, v3, s53 dst_sel:DWORD dst_unused:UNUSED_PAD src0_sel:BYTE_3 src1_sel:DWORD
                                        ; implicit-def: $vgpr24
	s_and_saveexec_b64 s[22:23], vcc
	s_xor_b64 s[26:27], exec, s[22:23]
	s_cbranch_execz .LBB4_1906
; %bb.1897:                             ;   in Loop: Header=BB4_1539 Depth=2
	v_mov_b32_e32 v24, 0
	v_cmp_ne_u32_e32 vcc, 0, v3
	s_and_saveexec_b64 s[28:29], vcc
	s_cbranch_execz .LBB4_1905
; %bb.1898:                             ;   in Loop: Header=BB4_1539 Depth=2
	v_bfe_u32 v15, v3, 23, 8
	v_and_b32_e32 v2, 0x7fffff, v3
	v_cmp_gt_u32_e64 s[22:23], s64, v15
	v_sub_u32_e32 v3, 0x79, v15
	v_cmp_eq_u32_e32 vcc, 0, v15
	v_cndmask_b32_e64 v3, 0, v3, s[22:23]
	v_mov_b32_e32 v11, 0x78
	v_or_b32_e32 v10, 0x800000, v2
	v_cndmask_b32_e32 v24, v3, v11, vcc
	v_cndmask_b32_e32 v52, v10, v2, vcc
	v_add_u32_e32 v2, 20, v24
	v_lshlrev_b64 v[2:3], v2, -1
	v_add_u32_e32 v10, 19, v24
	v_lshlrev_b64 v[10:11], v10, 1
	v_bfi_b32 v3, v3, 0, 0
	v_bfi_b32 v2, v2, 0, v52
	v_cmp_eq_u64_e64 s[22:23], v[2:3], v[10:11]
	v_lshrrev_b64 v[10:11], v24, v[52:53]
	v_mov_b32_e32 v2, v10
	v_mov_b32_e32 v3, v11
	s_and_saveexec_b64 s[36:37], s[22:23]
; %bb.1899:                             ;   in Loop: Header=BB4_1539 Depth=2
	v_bfe_u32 v2, v10, 20, 1
	v_add_co_u32_e64 v2, s[22:23], v10, v2
	v_add_co_u32_e64 v2, s[22:23], -1, v2
; %bb.1900:                             ;   in Loop: Header=BB4_1539 Depth=2
	s_or_b64 exec, exec, s[36:37]
	v_add_u32_e32 v3, 0xffffff81, v15
	v_cndmask_b32_e32 v3, v3, v49, vcc
	v_lshrrev_b32_e32 v11, 23, v10
	v_add3_u32 v15, v24, v3, v11
	v_add_u32_e32 v3, 6, v15
	v_and_b32_e32 v2, 0xfffff, v2
	v_add_u32_e32 v52, v2, v10
	v_cmp_ne_u32_e32 vcc, 0, v3
                                        ; implicit-def: $vgpr10_vgpr11
                                        ; implicit-def: $vgpr2
	s_and_saveexec_b64 s[22:23], vcc
	s_xor_b64 s[22:23], exec, s[22:23]
; %bb.1901:                             ;   in Loop: Header=BB4_1539 Depth=2
	v_cmp_lt_u64_e32 vcc, s[76:77], v[52:53]
	v_add_u32_e32 v2, 7, v15
	v_cndmask_b32_e32 v2, v3, v2, vcc
	v_cndmask_b32_e64 v3, 0, 1, vcc
	v_lshrrev_b64 v[10:11], v3, v[52:53]
; %bb.1902:                             ;   in Loop: Header=BB4_1539 Depth=2
	s_andn2_saveexec_b64 s[22:23], s[22:23]
; %bb.1903:                             ;   in Loop: Header=BB4_1539 Depth=2
	v_mov_b32_e32 v10, v52
	v_bfe_u32 v2, v52, 23, 1
	v_mov_b32_e32 v11, v53
; %bb.1904:                             ;   in Loop: Header=BB4_1539 Depth=2
	s_or_b64 exec, exec, s[22:23]
	v_lshrrev_b64 v[10:11], 20, v[10:11]
	v_cmp_gt_i32_e32 vcc, 16, v2
	v_cndmask_b32_e32 v11, 0, v11, vcc
	v_cndmask_b32_e32 v10, 7, v10, vcc
	v_cmp_eq_u32_e32 vcc, 0, v2
	v_min_i32_e32 v2, 15, v2
	v_cmp_eq_u64_e64 s[22:23], 0, v[10:11]
	v_lshlrev_b32_e32 v2, 3, v2
	v_and_b32_e32 v2, 0xf8, v2
	v_and_or_b32 v2, v10, 7, v2
	s_and_b64 s[22:23], vcc, s[22:23]
	v_cndmask_b32_e64 v2, v2, 0, s[22:23]
	v_or_b32_e32 v24, v2, v14
.LBB4_1905:                             ;   in Loop: Header=BB4_1539 Depth=2
	s_or_b64 exec, exec, s[28:29]
                                        ; implicit-def: $vgpr14
.LBB4_1906:                             ;   in Loop: Header=BB4_1539 Depth=2
	s_andn2_saveexec_b64 s[22:23], s[26:27]
; %bb.1907:                             ;   in Loop: Header=BB4_1539 Depth=2
	v_or_b32_e32 v24, 0x7e, v14
; %bb.1908:                             ;   in Loop: Header=BB4_1539 Depth=2
	s_or_b64 exec, exec, s[22:23]
                                        ; implicit-def: $vgpr3
.LBB4_1909:                             ;   in Loop: Header=BB4_1539 Depth=2
	s_andn2_saveexec_b64 s[22:23], s[24:25]
; %bb.1910:                             ;   in Loop: Header=BB4_1539 Depth=2
	v_or_b32_sdwa v24, v3, s54 dst_sel:DWORD dst_unused:UNUSED_PAD src0_sel:BYTE_3 src1_sel:DWORD
; %bb.1911:                             ;   in Loop: Header=BB4_1539 Depth=2
	s_or_b64 exec, exec, s[22:23]
	v_lshrrev_b16_e32 v52, 8, v16
	v_and_b32_e32 v11, 7, v52
	v_and_b32_e32 v2, 0x7f, v52
	v_cmp_eq_u32_e64 s[22:23], s54, v2
	v_cmp_gt_u32_e32 vcc, 8, v2
	v_ffbh_u32_e32 v2, v11
	v_min_u32_e32 v15, 32, v2
	v_subrev_u32_e32 v2, 28, v15
	v_lshlrev_b64 v[2:3], v2, v[52:53]
	v_bfe_u32 v14, v52, 3, 4
	v_sub_u32_e32 v3, 29, v15
	v_and_b32_e32 v2, 7, v2
	v_cndmask_b32_e32 v3, v14, v3, vcc
	v_cndmask_b32_e32 v2, v11, v2, vcc
	v_lshlrev_b32_e32 v11, 24, v52
	v_lshrrev_b16_e32 v10, 8, v12
	v_lshlrev_b32_e32 v2, 20, v2
	v_and_b32_e32 v11, 0x80000000, v11
	v_lshl_add_u32 v3, v3, 23, v43
	v_or3_b32 v2, v11, v3, v2
	v_cmp_ne_u16_e64 s[24:25], 0, v10
	s_mov_b64 s[26:27], -1
	s_and_b64 vcc, exec, s[34:35]
                                        ; implicit-def: $vgpr3
	s_cbranch_vccz .LBB4_1925
; %bb.1912:                             ;   in Loop: Header=BB4_1539 Depth=2
	v_mov_b32_e32 v3, 0
	s_and_saveexec_b64 s[26:27], s[24:25]
	s_cbranch_execz .LBB4_1918
; %bb.1913:                             ;   in Loop: Header=BB4_1539 Depth=2
	v_cmp_ne_u16_e32 vcc, s53, v10
	v_bfrev_b32_e32 v3, 1
	s_and_saveexec_b64 s[28:29], vcc
	s_cbranch_execz .LBB4_1917
; %bb.1914:                             ;   in Loop: Header=BB4_1539 Depth=2
	v_and_b32_e32 v11, 0x7f, v10
	v_cmp_ne_u32_e32 vcc, s54, v11
	v_mov_b32_e32 v3, 0x7f800001
	s_and_saveexec_b64 s[36:37], vcc
	s_cbranch_execz .LBB4_1916
; %bb.1915:                             ;   in Loop: Header=BB4_1539 Depth=2
	v_and_b32_e32 v3, 7, v10
	v_lshrrev_b32_e32 v36, 3, v11
	v_cmp_gt_u32_e32 vcc, 8, v11
	v_ffbh_u32_e32 v11, v3
	v_min_u32_e32 v11, 32, v11
	v_subrev_u32_e32 v14, 28, v11
	v_lshlrev_b64 v[14:15], v14, v[10:11]
	v_sub_u32_e32 v11, 29, v11
	v_and_b32_e32 v14, 7, v14
	v_cndmask_b32_e32 v11, v36, v11, vcc
	v_cndmask_b32_e32 v3, v3, v14, vcc
	v_lshlrev_b32_e32 v14, 16, v12
	v_lshlrev_b32_e32 v3, 20, v3
	v_and_b32_e32 v14, 0x80000000, v14
	v_lshl_add_u32 v11, v11, 23, v43
	v_or3_b32 v3, v14, v11, v3
.LBB4_1916:                             ;   in Loop: Header=BB4_1539 Depth=2
	s_or_b64 exec, exec, s[36:37]
.LBB4_1917:                             ;   in Loop: Header=BB4_1539 Depth=2
	s_or_b64 exec, exec, s[28:29]
.LBB4_1918:                             ;   in Loop: Header=BB4_1539 Depth=2
	s_or_b64 exec, exec, s[26:27]
	v_cmp_lt_i16_e32 vcc, s54, v52
	s_mov_b64 s[26:27], 0
	s_and_saveexec_b64 s[28:29], vcc
	s_xor_b64 s[28:29], exec, s[28:29]
	s_cbranch_execz .LBB4_2223
; %bb.1919:                             ;   in Loop: Header=BB4_1539 Depth=2
	v_cmp_eq_u16_e32 vcc, s53, v52
	s_mov_b64 s[26:27], -1
	s_and_saveexec_b64 s[36:37], vcc
; %bb.1920:                             ;   in Loop: Header=BB4_1539 Depth=2
	s_xor_b64 s[26:27], exec, -1
; %bb.1921:                             ;   in Loop: Header=BB4_1539 Depth=2
	s_or_b64 exec, exec, s[36:37]
	s_and_b64 s[26:27], s[26:27], exec
	s_or_saveexec_b64 s[28:29], s[28:29]
	v_bfrev_b32_e32 v11, 1
	s_xor_b64 exec, exec, s[28:29]
	s_cbranch_execnz .LBB4_2224
.LBB4_1922:                             ;   in Loop: Header=BB4_1539 Depth=2
	s_or_b64 exec, exec, s[28:29]
	s_and_saveexec_b64 s[28:29], s[26:27]
.LBB4_1923:                             ;   in Loop: Header=BB4_1539 Depth=2
	v_mov_b32_e32 v11, 0x7f800001
	v_cndmask_b32_e64 v11, v2, v11, s[22:23]
.LBB4_1924:                             ;   in Loop: Header=BB4_1539 Depth=2
	s_or_b64 exec, exec, s[28:29]
	v_max_f32_e32 v11, v11, v11
	v_max_f32_e32 v3, v3, v3
	v_max_f32_e32 v3, v3, v11
	s_mov_b64 s[26:27], 0
.LBB4_1925:                             ;   in Loop: Header=BB4_1539 Depth=2
	s_and_b64 vcc, exec, s[26:27]
	s_cbranch_vccz .LBB4_1939
; %bb.1926:                             ;   in Loop: Header=BB4_1539 Depth=2
	v_mov_b32_e32 v3, 0
	s_and_saveexec_b64 s[26:27], s[24:25]
	s_cbranch_execz .LBB4_1932
; %bb.1927:                             ;   in Loop: Header=BB4_1539 Depth=2
	v_cmp_ne_u16_e32 vcc, s53, v10
	v_bfrev_b32_e32 v3, 1
	s_and_saveexec_b64 s[24:25], vcc
	s_cbranch_execz .LBB4_1931
; %bb.1928:                             ;   in Loop: Header=BB4_1539 Depth=2
	v_and_b32_e32 v11, 0x7f, v10
	v_cmp_ne_u32_e32 vcc, s54, v11
	v_mov_b32_e32 v3, 0x7f800001
	s_and_saveexec_b64 s[28:29], vcc
	s_cbranch_execz .LBB4_1930
; %bb.1929:                             ;   in Loop: Header=BB4_1539 Depth=2
	v_and_b32_e32 v3, 7, v10
	v_lshrrev_b32_e32 v14, 3, v11
	v_cmp_gt_u32_e32 vcc, 8, v11
	v_ffbh_u32_e32 v11, v3
	v_min_u32_e32 v15, 32, v11
	v_subrev_u32_e32 v11, 28, v15
	v_lshlrev_b64 v[10:11], v11, v[10:11]
	v_sub_u32_e32 v11, 29, v15
	v_and_b32_e32 v10, 7, v10
	v_cndmask_b32_e32 v11, v14, v11, vcc
	v_cndmask_b32_e32 v3, v3, v10, vcc
	v_lshlrev_b32_e32 v10, 16, v12
	v_lshlrev_b32_e32 v3, 20, v3
	v_and_b32_e32 v10, 0x80000000, v10
	v_lshl_add_u32 v11, v11, 23, v43
	v_or3_b32 v3, v10, v11, v3
.LBB4_1930:                             ;   in Loop: Header=BB4_1539 Depth=2
	s_or_b64 exec, exec, s[28:29]
.LBB4_1931:                             ;   in Loop: Header=BB4_1539 Depth=2
	s_or_b64 exec, exec, s[24:25]
.LBB4_1932:                             ;   in Loop: Header=BB4_1539 Depth=2
	s_or_b64 exec, exec, s[26:27]
	v_cmp_lt_i16_e32 vcc, s54, v52
	s_mov_b64 s[24:25], 0
	s_and_saveexec_b64 s[26:27], vcc
	s_xor_b64 s[26:27], exec, s[26:27]
	s_cbranch_execz .LBB4_2225
; %bb.1933:                             ;   in Loop: Header=BB4_1539 Depth=2
	v_cmp_eq_u16_e32 vcc, s53, v52
	s_mov_b64 s[24:25], -1
	s_and_saveexec_b64 s[28:29], vcc
; %bb.1934:                             ;   in Loop: Header=BB4_1539 Depth=2
	s_xor_b64 s[24:25], exec, -1
; %bb.1935:                             ;   in Loop: Header=BB4_1539 Depth=2
	s_or_b64 exec, exec, s[28:29]
	s_and_b64 s[24:25], s[24:25], exec
	s_or_saveexec_b64 s[26:27], s[26:27]
	v_bfrev_b32_e32 v10, 1
	s_xor_b64 exec, exec, s[26:27]
	s_cbranch_execnz .LBB4_2226
.LBB4_1936:                             ;   in Loop: Header=BB4_1539 Depth=2
	s_or_b64 exec, exec, s[26:27]
	s_and_saveexec_b64 s[26:27], s[24:25]
.LBB4_1937:                             ;   in Loop: Header=BB4_1539 Depth=2
	v_mov_b32_e32 v10, 0x7f800001
	v_cndmask_b32_e64 v10, v2, v10, s[22:23]
.LBB4_1938:                             ;   in Loop: Header=BB4_1539 Depth=2
	s_or_b64 exec, exec, s[26:27]
	v_max_f32_e32 v2, v10, v10
	v_max_f32_e32 v3, v3, v3
	v_min_f32_e32 v3, v3, v2
.LBB4_1939:                             ;   in Loop: Header=BB4_1539 Depth=2
	v_and_b32_e32 v52, 0x7f800000, v3
	v_cmp_ne_u64_e32 vcc, s[72:73], v[52:53]
                                        ; implicit-def: $vgpr41
	s_and_saveexec_b64 s[22:23], vcc
	s_xor_b64 s[24:25], exec, s[22:23]
	s_cbranch_execz .LBB4_1953
; %bb.1940:                             ;   in Loop: Header=BB4_1539 Depth=2
	v_and_b32_e32 v52, 0x7fffffff, v3
	v_cmp_gt_u64_e32 vcc, s[74:75], v[52:53]
	v_and_b32_sdwa v14, v3, s53 dst_sel:DWORD dst_unused:UNUSED_PAD src0_sel:BYTE_3 src1_sel:DWORD
                                        ; implicit-def: $vgpr41
	s_and_saveexec_b64 s[22:23], vcc
	s_xor_b64 s[26:27], exec, s[22:23]
	s_cbranch_execz .LBB4_1950
; %bb.1941:                             ;   in Loop: Header=BB4_1539 Depth=2
	v_mov_b32_e32 v41, 0
	v_cmp_ne_u32_e32 vcc, 0, v3
	s_and_saveexec_b64 s[28:29], vcc
	s_cbranch_execz .LBB4_1949
; %bb.1942:                             ;   in Loop: Header=BB4_1539 Depth=2
	v_bfe_u32 v15, v3, 23, 8
	v_and_b32_e32 v2, 0x7fffff, v3
	v_cmp_gt_u32_e64 s[22:23], s64, v15
	v_sub_u32_e32 v3, 0x79, v15
	v_cmp_eq_u32_e32 vcc, 0, v15
	v_cndmask_b32_e64 v3, 0, v3, s[22:23]
	v_mov_b32_e32 v11, 0x78
	v_or_b32_e32 v10, 0x800000, v2
	v_cndmask_b32_e32 v48, v3, v11, vcc
	v_cndmask_b32_e32 v52, v10, v2, vcc
	v_add_u32_e32 v2, 20, v48
	v_lshlrev_b64 v[2:3], v2, -1
	v_add_u32_e32 v10, 19, v48
	v_lshlrev_b64 v[10:11], v10, 1
	v_bfi_b32 v3, v3, 0, 0
	v_bfi_b32 v2, v2, 0, v52
	v_cmp_eq_u64_e64 s[22:23], v[2:3], v[10:11]
	v_lshrrev_b64 v[10:11], v48, v[52:53]
	v_mov_b32_e32 v2, v10
	v_mov_b32_e32 v3, v11
	s_and_saveexec_b64 s[36:37], s[22:23]
; %bb.1943:                             ;   in Loop: Header=BB4_1539 Depth=2
	v_bfe_u32 v2, v10, 20, 1
	v_add_co_u32_e64 v2, s[22:23], v10, v2
	v_add_co_u32_e64 v2, s[22:23], -1, v2
; %bb.1944:                             ;   in Loop: Header=BB4_1539 Depth=2
	s_or_b64 exec, exec, s[36:37]
	v_add_u32_e32 v3, 0xffffff81, v15
	v_cndmask_b32_e32 v3, v3, v49, vcc
	v_lshrrev_b32_e32 v11, 23, v10
	v_add3_u32 v15, v48, v3, v11
	v_add_u32_e32 v3, 6, v15
	v_and_b32_e32 v2, 0xfffff, v2
	v_add_u32_e32 v52, v2, v10
	v_cmp_ne_u32_e32 vcc, 0, v3
                                        ; implicit-def: $vgpr10_vgpr11
                                        ; implicit-def: $vgpr2
	s_and_saveexec_b64 s[22:23], vcc
	s_xor_b64 s[22:23], exec, s[22:23]
; %bb.1945:                             ;   in Loop: Header=BB4_1539 Depth=2
	v_cmp_lt_u64_e32 vcc, s[76:77], v[52:53]
	v_add_u32_e32 v2, 7, v15
	v_cndmask_b32_e32 v2, v3, v2, vcc
	v_cndmask_b32_e64 v3, 0, 1, vcc
	v_lshrrev_b64 v[10:11], v3, v[52:53]
; %bb.1946:                             ;   in Loop: Header=BB4_1539 Depth=2
	s_andn2_saveexec_b64 s[22:23], s[22:23]
; %bb.1947:                             ;   in Loop: Header=BB4_1539 Depth=2
	v_mov_b32_e32 v10, v52
	v_bfe_u32 v2, v52, 23, 1
	v_mov_b32_e32 v11, v53
; %bb.1948:                             ;   in Loop: Header=BB4_1539 Depth=2
	s_or_b64 exec, exec, s[22:23]
	v_lshrrev_b64 v[10:11], 20, v[10:11]
	v_cmp_gt_i32_e32 vcc, 16, v2
	v_cndmask_b32_e32 v11, 0, v11, vcc
	v_cndmask_b32_e32 v10, 7, v10, vcc
	v_cmp_eq_u32_e32 vcc, 0, v2
	v_min_i32_e32 v2, 15, v2
	v_cmp_eq_u64_e64 s[22:23], 0, v[10:11]
	v_lshlrev_b32_e32 v2, 3, v2
	v_and_b32_e32 v2, 0xf8, v2
	v_and_or_b32 v2, v10, 7, v2
	s_and_b64 s[22:23], vcc, s[22:23]
	v_cndmask_b32_e64 v2, v2, 0, s[22:23]
	v_or_b32_e32 v41, v2, v14
.LBB4_1949:                             ;   in Loop: Header=BB4_1539 Depth=2
	s_or_b64 exec, exec, s[28:29]
                                        ; implicit-def: $vgpr14
.LBB4_1950:                             ;   in Loop: Header=BB4_1539 Depth=2
	s_andn2_saveexec_b64 s[22:23], s[26:27]
; %bb.1951:                             ;   in Loop: Header=BB4_1539 Depth=2
	v_or_b32_e32 v41, 0x7e, v14
; %bb.1952:                             ;   in Loop: Header=BB4_1539 Depth=2
	s_or_b64 exec, exec, s[22:23]
                                        ; implicit-def: $vgpr3
.LBB4_1953:                             ;   in Loop: Header=BB4_1539 Depth=2
	s_andn2_saveexec_b64 s[22:23], s[24:25]
; %bb.1954:                             ;   in Loop: Header=BB4_1539 Depth=2
	v_or_b32_sdwa v41, v3, s54 dst_sel:DWORD dst_unused:UNUSED_PAD src0_sel:BYTE_3 src1_sel:DWORD
; %bb.1955:                             ;   in Loop: Header=BB4_1539 Depth=2
	s_or_b64 exec, exec, s[22:23]
	v_bfe_u32 v11, v16, 16, 3
	v_bfe_u32 v2, v16, 16, 7
	v_cmp_eq_u32_e64 s[22:23], s54, v2
	v_cmp_gt_u32_e32 vcc, 8, v2
	v_ffbh_u32_e32 v2, v11
	v_min_u32_e32 v15, 32, v2
	v_lshrrev_b32_e32 v10, 16, v16
	v_subrev_u32_e32 v2, 28, v15
	v_lshlrev_b64 v[2:3], v2, v[10:11]
	v_bfe_u32 v14, v10, 3, 4
	v_sub_u32_e32 v3, 29, v15
	v_and_b32_e32 v2, 7, v2
	v_cndmask_b32_e32 v3, v14, v3, vcc
	v_cndmask_b32_e32 v2, v11, v2, vcc
	v_lshlrev_b32_e32 v11, 8, v16
	v_lshlrev_b32_e32 v2, 20, v2
	v_and_b32_e32 v11, 0x80000000, v11
	v_lshl_add_u32 v3, v3, 23, v43
	v_or3_b32 v2, v11, v3, v2
	v_lshrrev_b32_e32 v11, 16, v12
	v_cmp_ne_u16_sdwa s[24:25], v11, v53 src0_sel:BYTE_0 src1_sel:DWORD
	s_mov_b64 s[26:27], -1
	s_and_b64 vcc, exec, s[34:35]
                                        ; implicit-def: $vgpr3
	s_cbranch_vccz .LBB4_1969
; %bb.1956:                             ;   in Loop: Header=BB4_1539 Depth=2
	v_mov_b32_e32 v3, 0
	s_and_saveexec_b64 s[26:27], s[24:25]
	s_cbranch_execz .LBB4_1962
; %bb.1957:                             ;   in Loop: Header=BB4_1539 Depth=2
	v_cmp_ne_u16_sdwa vcc, v11, s53 src0_sel:BYTE_0 src1_sel:DWORD
	v_bfrev_b32_e32 v3, 1
	s_and_saveexec_b64 s[28:29], vcc
	s_cbranch_execz .LBB4_1961
; %bb.1958:                             ;   in Loop: Header=BB4_1539 Depth=2
	v_bfe_u32 v14, v12, 16, 7
	v_cmp_ne_u32_e32 vcc, s54, v14
	v_mov_b32_e32 v3, 0x7f800001
	s_and_saveexec_b64 s[36:37], vcc
	s_cbranch_execz .LBB4_1960
; %bb.1959:                             ;   in Loop: Header=BB4_1539 Depth=2
	v_and_b32_e32 v3, 7, v11
	v_lshrrev_b32_e32 v36, 3, v14
	v_cmp_gt_u32_e32 vcc, 8, v14
	v_ffbh_u32_e32 v14, v3
	v_min_u32_e32 v37, 32, v14
	v_subrev_u32_e32 v14, 28, v37
	v_lshlrev_b64 v[14:15], v14, v[11:12]
	v_sub_u32_e32 v15, 29, v37
	v_and_b32_e32 v14, 7, v14
	v_cndmask_b32_e32 v15, v36, v15, vcc
	v_cndmask_b32_e32 v3, v3, v14, vcc
	v_lshlrev_b32_e32 v14, 24, v11
	v_lshlrev_b32_e32 v3, 20, v3
	v_and_b32_e32 v14, 0x80000000, v14
	v_lshl_add_u32 v15, v15, 23, v43
	v_or3_b32 v3, v14, v15, v3
.LBB4_1960:                             ;   in Loop: Header=BB4_1539 Depth=2
	s_or_b64 exec, exec, s[36:37]
.LBB4_1961:                             ;   in Loop: Header=BB4_1539 Depth=2
	s_or_b64 exec, exec, s[28:29]
.LBB4_1962:                             ;   in Loop: Header=BB4_1539 Depth=2
	s_or_b64 exec, exec, s[26:27]
	v_cmp_gt_i16_sdwa s[28:29], v10, s54 src0_sel:BYTE_0 src1_sel:DWORD
	s_mov_b64 s[26:27], 0
	s_and_saveexec_b64 vcc, s[28:29]
	s_xor_b64 s[28:29], exec, vcc
	s_cbranch_execz .LBB4_2227
; %bb.1963:                             ;   in Loop: Header=BB4_1539 Depth=2
	v_cmp_eq_u16_sdwa s[36:37], v10, s53 src0_sel:BYTE_0 src1_sel:DWORD
	s_mov_b64 s[26:27], -1
	s_and_saveexec_b64 vcc, s[36:37]
; %bb.1964:                             ;   in Loop: Header=BB4_1539 Depth=2
	s_xor_b64 s[26:27], exec, -1
; %bb.1965:                             ;   in Loop: Header=BB4_1539 Depth=2
	s_or_b64 exec, exec, vcc
	s_and_b64 s[26:27], s[26:27], exec
	s_or_saveexec_b64 s[28:29], s[28:29]
	v_bfrev_b32_e32 v14, 1
	s_xor_b64 exec, exec, s[28:29]
	s_cbranch_execnz .LBB4_2228
.LBB4_1966:                             ;   in Loop: Header=BB4_1539 Depth=2
	s_or_b64 exec, exec, s[28:29]
	s_and_saveexec_b64 s[28:29], s[26:27]
.LBB4_1967:                             ;   in Loop: Header=BB4_1539 Depth=2
	v_mov_b32_e32 v14, 0x7f800001
	v_cndmask_b32_e64 v14, v2, v14, s[22:23]
.LBB4_1968:                             ;   in Loop: Header=BB4_1539 Depth=2
	s_or_b64 exec, exec, s[28:29]
	v_max_f32_e32 v14, v14, v14
	v_max_f32_e32 v3, v3, v3
	;; [unrolled: 1-line block ×3, first 2 shown]
	s_mov_b64 s[26:27], 0
.LBB4_1969:                             ;   in Loop: Header=BB4_1539 Depth=2
	s_and_b64 vcc, exec, s[26:27]
	s_cbranch_vccz .LBB4_1983
; %bb.1970:                             ;   in Loop: Header=BB4_1539 Depth=2
	v_mov_b32_e32 v3, 0
	s_and_saveexec_b64 s[26:27], s[24:25]
	s_cbranch_execz .LBB4_1976
; %bb.1971:                             ;   in Loop: Header=BB4_1539 Depth=2
	v_cmp_ne_u16_sdwa s[28:29], v11, s53 src0_sel:BYTE_0 src1_sel:DWORD
	v_bfrev_b32_e32 v3, 1
	s_and_saveexec_b64 s[24:25], s[28:29]
	s_cbranch_execz .LBB4_1975
; %bb.1972:                             ;   in Loop: Header=BB4_1539 Depth=2
	v_bfe_u32 v14, v12, 16, 7
	v_cmp_ne_u32_e32 vcc, s54, v14
	v_mov_b32_e32 v3, 0x7f800001
	s_and_saveexec_b64 s[28:29], vcc
	s_cbranch_execz .LBB4_1974
; %bb.1973:                             ;   in Loop: Header=BB4_1539 Depth=2
	v_and_b32_e32 v3, 7, v11
	v_lshrrev_b32_e32 v36, 3, v14
	v_cmp_gt_u32_e32 vcc, 8, v14
	v_ffbh_u32_e32 v14, v3
	v_min_u32_e32 v37, 32, v14
	v_subrev_u32_e32 v14, 28, v37
	v_lshlrev_b64 v[14:15], v14, v[11:12]
	v_sub_u32_e32 v15, 29, v37
	v_and_b32_e32 v14, 7, v14
	v_cndmask_b32_e32 v15, v36, v15, vcc
	v_cndmask_b32_e32 v3, v3, v14, vcc
	v_lshlrev_b32_e32 v11, 24, v11
	v_lshlrev_b32_e32 v3, 20, v3
	v_and_b32_e32 v11, 0x80000000, v11
	v_lshl_add_u32 v14, v15, 23, v43
	v_or3_b32 v3, v11, v14, v3
.LBB4_1974:                             ;   in Loop: Header=BB4_1539 Depth=2
	s_or_b64 exec, exec, s[28:29]
.LBB4_1975:                             ;   in Loop: Header=BB4_1539 Depth=2
	s_or_b64 exec, exec, s[24:25]
.LBB4_1976:                             ;   in Loop: Header=BB4_1539 Depth=2
	s_or_b64 exec, exec, s[26:27]
	v_cmp_gt_i16_sdwa s[26:27], v10, s54 src0_sel:BYTE_0 src1_sel:DWORD
	s_mov_b64 s[24:25], 0
	s_and_saveexec_b64 s[28:29], s[26:27]
	s_xor_b64 s[26:27], exec, s[28:29]
	s_cbranch_execz .LBB4_2229
; %bb.1977:                             ;   in Loop: Header=BB4_1539 Depth=2
	v_cmp_eq_u16_sdwa vcc, v10, s53 src0_sel:BYTE_0 src1_sel:DWORD
	s_mov_b64 s[24:25], -1
	s_and_saveexec_b64 s[28:29], vcc
; %bb.1978:                             ;   in Loop: Header=BB4_1539 Depth=2
	s_xor_b64 s[24:25], exec, -1
; %bb.1979:                             ;   in Loop: Header=BB4_1539 Depth=2
	s_or_b64 exec, exec, s[28:29]
	s_and_b64 s[24:25], s[24:25], exec
                                        ; implicit-def: $vgpr10
	s_or_saveexec_b64 s[26:27], s[26:27]
	v_bfrev_b32_e32 v11, 1
	s_xor_b64 exec, exec, s[26:27]
	s_cbranch_execnz .LBB4_2230
.LBB4_1980:                             ;   in Loop: Header=BB4_1539 Depth=2
	s_or_b64 exec, exec, s[26:27]
	s_and_saveexec_b64 s[26:27], s[24:25]
.LBB4_1981:                             ;   in Loop: Header=BB4_1539 Depth=2
	v_mov_b32_e32 v10, 0x7f800001
	v_cndmask_b32_e64 v11, v2, v10, s[22:23]
.LBB4_1982:                             ;   in Loop: Header=BB4_1539 Depth=2
	s_or_b64 exec, exec, s[26:27]
	v_max_f32_e32 v2, v11, v11
	v_max_f32_e32 v3, v3, v3
	v_min_f32_e32 v3, v3, v2
.LBB4_1983:                             ;   in Loop: Header=BB4_1539 Depth=2
	v_and_b32_e32 v52, 0x7f800000, v3
	v_cmp_ne_u64_e32 vcc, s[72:73], v[52:53]
                                        ; implicit-def: $vgpr42
	s_and_saveexec_b64 s[22:23], vcc
	s_xor_b64 s[24:25], exec, s[22:23]
	s_cbranch_execz .LBB4_1997
; %bb.1984:                             ;   in Loop: Header=BB4_1539 Depth=2
	v_and_b32_e32 v52, 0x7fffffff, v3
	v_cmp_gt_u64_e32 vcc, s[74:75], v[52:53]
	v_and_b32_sdwa v14, v3, s53 dst_sel:DWORD dst_unused:UNUSED_PAD src0_sel:BYTE_3 src1_sel:DWORD
                                        ; implicit-def: $vgpr42
	s_and_saveexec_b64 s[22:23], vcc
	s_xor_b64 s[26:27], exec, s[22:23]
	s_cbranch_execz .LBB4_1994
; %bb.1985:                             ;   in Loop: Header=BB4_1539 Depth=2
	v_mov_b32_e32 v42, 0
	v_cmp_ne_u32_e32 vcc, 0, v3
	s_and_saveexec_b64 s[28:29], vcc
	s_cbranch_execz .LBB4_1993
; %bb.1986:                             ;   in Loop: Header=BB4_1539 Depth=2
	v_bfe_u32 v15, v3, 23, 8
	v_and_b32_e32 v2, 0x7fffff, v3
	v_cmp_gt_u32_e64 s[22:23], s64, v15
	v_sub_u32_e32 v3, 0x79, v15
	v_cmp_eq_u32_e32 vcc, 0, v15
	v_cndmask_b32_e64 v3, 0, v3, s[22:23]
	v_mov_b32_e32 v11, 0x78
	v_or_b32_e32 v10, 0x800000, v2
	v_cndmask_b32_e32 v48, v3, v11, vcc
	v_cndmask_b32_e32 v52, v10, v2, vcc
	v_add_u32_e32 v2, 20, v48
	v_lshlrev_b64 v[2:3], v2, -1
	v_add_u32_e32 v10, 19, v48
	v_lshlrev_b64 v[10:11], v10, 1
	v_bfi_b32 v3, v3, 0, 0
	v_bfi_b32 v2, v2, 0, v52
	v_cmp_eq_u64_e64 s[22:23], v[2:3], v[10:11]
	v_lshrrev_b64 v[10:11], v48, v[52:53]
	v_mov_b32_e32 v2, v10
	v_mov_b32_e32 v3, v11
	s_and_saveexec_b64 s[36:37], s[22:23]
; %bb.1987:                             ;   in Loop: Header=BB4_1539 Depth=2
	v_bfe_u32 v2, v10, 20, 1
	v_add_co_u32_e64 v2, s[22:23], v10, v2
	v_add_co_u32_e64 v2, s[22:23], -1, v2
; %bb.1988:                             ;   in Loop: Header=BB4_1539 Depth=2
	s_or_b64 exec, exec, s[36:37]
	v_add_u32_e32 v3, 0xffffff81, v15
	v_cndmask_b32_e32 v3, v3, v49, vcc
	v_lshrrev_b32_e32 v11, 23, v10
	v_add3_u32 v15, v48, v3, v11
	v_add_u32_e32 v3, 6, v15
	v_and_b32_e32 v2, 0xfffff, v2
	v_add_u32_e32 v52, v2, v10
	v_cmp_ne_u32_e32 vcc, 0, v3
                                        ; implicit-def: $vgpr10_vgpr11
                                        ; implicit-def: $vgpr2
	s_and_saveexec_b64 s[22:23], vcc
	s_xor_b64 s[22:23], exec, s[22:23]
; %bb.1989:                             ;   in Loop: Header=BB4_1539 Depth=2
	v_cmp_lt_u64_e32 vcc, s[76:77], v[52:53]
	v_add_u32_e32 v2, 7, v15
	v_cndmask_b32_e32 v2, v3, v2, vcc
	v_cndmask_b32_e64 v3, 0, 1, vcc
	v_lshrrev_b64 v[10:11], v3, v[52:53]
; %bb.1990:                             ;   in Loop: Header=BB4_1539 Depth=2
	s_andn2_saveexec_b64 s[22:23], s[22:23]
; %bb.1991:                             ;   in Loop: Header=BB4_1539 Depth=2
	v_mov_b32_e32 v10, v52
	v_bfe_u32 v2, v52, 23, 1
	v_mov_b32_e32 v11, v53
; %bb.1992:                             ;   in Loop: Header=BB4_1539 Depth=2
	s_or_b64 exec, exec, s[22:23]
	v_lshrrev_b64 v[10:11], 20, v[10:11]
	v_cmp_gt_i32_e32 vcc, 16, v2
	v_cndmask_b32_e32 v11, 0, v11, vcc
	v_cndmask_b32_e32 v10, 7, v10, vcc
	v_cmp_eq_u32_e32 vcc, 0, v2
	v_min_i32_e32 v2, 15, v2
	v_cmp_eq_u64_e64 s[22:23], 0, v[10:11]
	v_lshlrev_b32_e32 v2, 3, v2
	v_and_b32_e32 v2, 0xf8, v2
	v_and_or_b32 v2, v10, 7, v2
	s_and_b64 s[22:23], vcc, s[22:23]
	v_cndmask_b32_e64 v2, v2, 0, s[22:23]
	v_or_b32_e32 v42, v2, v14
.LBB4_1993:                             ;   in Loop: Header=BB4_1539 Depth=2
	s_or_b64 exec, exec, s[28:29]
                                        ; implicit-def: $vgpr14
.LBB4_1994:                             ;   in Loop: Header=BB4_1539 Depth=2
	s_andn2_saveexec_b64 s[22:23], s[26:27]
; %bb.1995:                             ;   in Loop: Header=BB4_1539 Depth=2
	v_or_b32_e32 v42, 0x7e, v14
; %bb.1996:                             ;   in Loop: Header=BB4_1539 Depth=2
	s_or_b64 exec, exec, s[22:23]
                                        ; implicit-def: $vgpr3
.LBB4_1997:                             ;   in Loop: Header=BB4_1539 Depth=2
	s_andn2_saveexec_b64 s[22:23], s[24:25]
; %bb.1998:                             ;   in Loop: Header=BB4_1539 Depth=2
	v_or_b32_sdwa v42, v3, s54 dst_sel:DWORD dst_unused:UNUSED_PAD src0_sel:BYTE_3 src1_sel:DWORD
; %bb.1999:                             ;   in Loop: Header=BB4_1539 Depth=2
	s_or_b64 exec, exec, s[22:23]
	v_bfe_u32 v11, v16, 24, 3
	v_bfe_u32 v3, v16, 24, 7
	v_cmp_eq_u32_e64 s[26:27], s54, v3
	v_cmp_gt_u32_e32 vcc, 8, v3
	v_ffbh_u32_e32 v3, v11
	v_min_u32_e32 v15, 32, v3
	v_lshrrev_b32_e32 v2, 24, v16
	v_subrev_u32_e32 v3, 28, v15
	v_bfe_u32 v14, v2, 3, 4
	v_cmp_eq_u32_e64 s[24:25], s53, v2
	v_lshlrev_b64 v[2:3], v3, v[2:3]
	v_sub_u32_e32 v3, 29, v15
	v_and_b32_e32 v2, 7, v2
	v_cndmask_b32_e32 v3, v14, v3, vcc
	v_cndmask_b32_e32 v2, v11, v2, vcc
	v_lshlrev_b32_e32 v2, 20, v2
	v_and_b32_e32 v11, 0x80000000, v16
	v_lshl_add_u32 v3, v3, 23, v43
	v_lshrrev_b32_e32 v10, 24, v12
	v_cmp_gt_u32_e64 s[22:23], s59, v16
	v_or3_b32 v2, v11, v3, v2
	v_cmp_lt_u32_e64 s[28:29], s79, v12
	s_mov_b64 s[36:37], -1
	s_and_b64 vcc, exec, s[34:35]
                                        ; implicit-def: $vgpr3
	s_cbranch_vccz .LBB4_2007
; %bb.2000:                             ;   in Loop: Header=BB4_1539 Depth=2
	v_mov_b32_e32 v3, 0
	s_and_saveexec_b64 s[36:37], s[28:29]
	s_cbranch_execz .LBB4_2006
; %bb.2001:                             ;   in Loop: Header=BB4_1539 Depth=2
	v_cmp_ne_u32_e32 vcc, s53, v10
	v_bfrev_b32_e32 v3, 1
	s_and_saveexec_b64 s[38:39], vcc
	s_cbranch_execz .LBB4_2005
; %bb.2002:                             ;   in Loop: Header=BB4_1539 Depth=2
	v_bfe_u32 v11, v12, 24, 7
	v_cmp_ne_u32_e32 vcc, s54, v11
	v_mov_b32_e32 v3, 0x7f800001
	s_and_saveexec_b64 s[48:49], vcc
	s_cbranch_execz .LBB4_2004
; %bb.2003:                             ;   in Loop: Header=BB4_1539 Depth=2
	v_and_b32_e32 v3, 7, v10
	v_lshrrev_b32_e32 v36, 3, v11
	v_cmp_gt_u32_e32 vcc, 8, v11
	v_ffbh_u32_e32 v11, v3
	v_min_u32_e32 v11, 32, v11
	v_subrev_u32_e32 v14, 28, v11
	v_lshlrev_b64 v[14:15], v14, v[10:11]
	v_sub_u32_e32 v11, 29, v11
	v_and_b32_e32 v14, 7, v14
	v_cndmask_b32_e32 v11, v36, v11, vcc
	v_cndmask_b32_e32 v3, v3, v14, vcc
	v_lshlrev_b32_e32 v14, 24, v10
	v_lshlrev_b32_e32 v3, 20, v3
	v_and_b32_e32 v14, 0x80000000, v14
	v_lshl_add_u32 v11, v11, 23, v43
	v_or3_b32 v3, v14, v11, v3
.LBB4_2004:                             ;   in Loop: Header=BB4_1539 Depth=2
	s_or_b64 exec, exec, s[48:49]
.LBB4_2005:                             ;   in Loop: Header=BB4_1539 Depth=2
	s_or_b64 exec, exec, s[38:39]
.LBB4_2006:                             ;   in Loop: Header=BB4_1539 Depth=2
	s_or_b64 exec, exec, s[36:37]
	v_mov_b32_e32 v11, 0x7f800001
	v_cndmask_b32_e64 v11, v2, v11, s[26:27]
	v_bfrev_b32_e32 v14, 1
	v_cndmask_b32_e64 v11, v11, v14, s[24:25]
	v_cndmask_b32_e64 v11, v11, 0, s[22:23]
	v_max_f32_e32 v11, v11, v11
	v_max_f32_e32 v3, v3, v3
	;; [unrolled: 1-line block ×3, first 2 shown]
	s_mov_b64 s[36:37], 0
.LBB4_2007:                             ;   in Loop: Header=BB4_1539 Depth=2
	s_and_b64 vcc, exec, s[36:37]
	s_cbranch_vccz .LBB4_2015
; %bb.2008:                             ;   in Loop: Header=BB4_1539 Depth=2
	v_mov_b32_e32 v3, 0
	s_and_saveexec_b64 s[36:37], s[28:29]
	s_cbranch_execz .LBB4_2014
; %bb.2009:                             ;   in Loop: Header=BB4_1539 Depth=2
	v_cmp_ne_u32_e32 vcc, s53, v10
	v_bfrev_b32_e32 v3, 1
	s_and_saveexec_b64 s[28:29], vcc
	s_cbranch_execz .LBB4_2013
; %bb.2010:                             ;   in Loop: Header=BB4_1539 Depth=2
	v_bfe_u32 v11, v12, 24, 7
	v_cmp_ne_u32_e32 vcc, s54, v11
	v_mov_b32_e32 v3, 0x7f800001
	s_and_saveexec_b64 s[38:39], vcc
	s_cbranch_execz .LBB4_2012
; %bb.2011:                             ;   in Loop: Header=BB4_1539 Depth=2
	v_and_b32_e32 v3, 7, v10
	v_lshrrev_b32_e32 v36, 3, v11
	v_cmp_gt_u32_e32 vcc, 8, v11
	v_ffbh_u32_e32 v11, v3
	v_min_u32_e32 v11, 32, v11
	v_subrev_u32_e32 v14, 28, v11
	v_lshlrev_b64 v[14:15], v14, v[10:11]
	v_sub_u32_e32 v11, 29, v11
	v_and_b32_e32 v14, 7, v14
	v_cndmask_b32_e32 v11, v36, v11, vcc
	v_cndmask_b32_e32 v3, v3, v14, vcc
	v_lshlrev_b32_e32 v10, 24, v10
	v_lshlrev_b32_e32 v3, 20, v3
	v_and_b32_e32 v10, 0x80000000, v10
	v_lshl_add_u32 v11, v11, 23, v43
	v_or3_b32 v3, v10, v11, v3
.LBB4_2012:                             ;   in Loop: Header=BB4_1539 Depth=2
	s_or_b64 exec, exec, s[38:39]
.LBB4_2013:                             ;   in Loop: Header=BB4_1539 Depth=2
	s_or_b64 exec, exec, s[28:29]
.LBB4_2014:                             ;   in Loop: Header=BB4_1539 Depth=2
	s_or_b64 exec, exec, s[36:37]
	v_mov_b32_e32 v10, 0x7f800001
	v_cndmask_b32_e64 v2, v2, v10, s[26:27]
	v_bfrev_b32_e32 v10, 1
	v_cndmask_b32_e64 v2, v2, v10, s[24:25]
	v_cndmask_b32_e64 v2, v2, 0, s[22:23]
	v_max_f32_e32 v2, v2, v2
	v_max_f32_e32 v3, v3, v3
	v_min_f32_e32 v3, v3, v2
.LBB4_2015:                             ;   in Loop: Header=BB4_1539 Depth=2
	v_and_b32_e32 v52, 0x7f800000, v3
	v_cmp_ne_u64_e32 vcc, s[72:73], v[52:53]
                                        ; implicit-def: $vgpr44
	s_and_saveexec_b64 s[22:23], vcc
	s_xor_b64 s[24:25], exec, s[22:23]
	s_cbranch_execz .LBB4_2029
; %bb.2016:                             ;   in Loop: Header=BB4_1539 Depth=2
	v_and_b32_e32 v52, 0x7fffffff, v3
	v_cmp_gt_u64_e32 vcc, s[74:75], v[52:53]
	v_and_b32_sdwa v14, v3, s53 dst_sel:DWORD dst_unused:UNUSED_PAD src0_sel:BYTE_3 src1_sel:DWORD
                                        ; implicit-def: $vgpr44
	s_and_saveexec_b64 s[22:23], vcc
	s_xor_b64 s[26:27], exec, s[22:23]
	s_cbranch_execz .LBB4_2026
; %bb.2017:                             ;   in Loop: Header=BB4_1539 Depth=2
	v_mov_b32_e32 v44, 0
	v_cmp_ne_u32_e32 vcc, 0, v3
	s_and_saveexec_b64 s[28:29], vcc
	s_cbranch_execz .LBB4_2025
; %bb.2018:                             ;   in Loop: Header=BB4_1539 Depth=2
	v_bfe_u32 v15, v3, 23, 8
	v_and_b32_e32 v2, 0x7fffff, v3
	v_cmp_gt_u32_e64 s[22:23], s64, v15
	v_sub_u32_e32 v3, 0x79, v15
	v_cmp_eq_u32_e32 vcc, 0, v15
	v_cndmask_b32_e64 v3, 0, v3, s[22:23]
	v_mov_b32_e32 v11, 0x78
	v_or_b32_e32 v10, 0x800000, v2
	v_cndmask_b32_e32 v48, v3, v11, vcc
	v_cndmask_b32_e32 v52, v10, v2, vcc
	v_add_u32_e32 v2, 20, v48
	v_lshlrev_b64 v[2:3], v2, -1
	v_add_u32_e32 v10, 19, v48
	v_lshlrev_b64 v[10:11], v10, 1
	v_bfi_b32 v3, v3, 0, 0
	v_bfi_b32 v2, v2, 0, v52
	v_cmp_eq_u64_e64 s[22:23], v[2:3], v[10:11]
	v_lshrrev_b64 v[10:11], v48, v[52:53]
	v_mov_b32_e32 v2, v10
	v_mov_b32_e32 v3, v11
	s_and_saveexec_b64 s[36:37], s[22:23]
; %bb.2019:                             ;   in Loop: Header=BB4_1539 Depth=2
	v_bfe_u32 v2, v10, 20, 1
	v_add_co_u32_e64 v2, s[22:23], v10, v2
	v_add_co_u32_e64 v2, s[22:23], -1, v2
; %bb.2020:                             ;   in Loop: Header=BB4_1539 Depth=2
	s_or_b64 exec, exec, s[36:37]
	v_add_u32_e32 v3, 0xffffff81, v15
	v_cndmask_b32_e32 v3, v3, v49, vcc
	v_lshrrev_b32_e32 v11, 23, v10
	v_add3_u32 v15, v48, v3, v11
	v_add_u32_e32 v3, 6, v15
	v_and_b32_e32 v2, 0xfffff, v2
	v_add_u32_e32 v52, v2, v10
	v_cmp_ne_u32_e32 vcc, 0, v3
                                        ; implicit-def: $vgpr10_vgpr11
                                        ; implicit-def: $vgpr2
	s_and_saveexec_b64 s[22:23], vcc
	s_xor_b64 s[22:23], exec, s[22:23]
; %bb.2021:                             ;   in Loop: Header=BB4_1539 Depth=2
	v_cmp_lt_u64_e32 vcc, s[76:77], v[52:53]
	v_add_u32_e32 v2, 7, v15
	v_cndmask_b32_e32 v2, v3, v2, vcc
	v_cndmask_b32_e64 v3, 0, 1, vcc
	v_lshrrev_b64 v[10:11], v3, v[52:53]
; %bb.2022:                             ;   in Loop: Header=BB4_1539 Depth=2
	s_andn2_saveexec_b64 s[22:23], s[22:23]
; %bb.2023:                             ;   in Loop: Header=BB4_1539 Depth=2
	v_mov_b32_e32 v10, v52
	v_bfe_u32 v2, v52, 23, 1
	v_mov_b32_e32 v11, v53
; %bb.2024:                             ;   in Loop: Header=BB4_1539 Depth=2
	s_or_b64 exec, exec, s[22:23]
	v_lshrrev_b64 v[10:11], 20, v[10:11]
	v_cmp_gt_i32_e32 vcc, 16, v2
	v_cndmask_b32_e32 v11, 0, v11, vcc
	v_cndmask_b32_e32 v10, 7, v10, vcc
	v_cmp_eq_u32_e32 vcc, 0, v2
	v_min_i32_e32 v2, 15, v2
	v_cmp_eq_u64_e64 s[22:23], 0, v[10:11]
	v_lshlrev_b32_e32 v2, 3, v2
	v_and_b32_e32 v2, 0xf8, v2
	v_and_or_b32 v2, v10, 7, v2
	s_and_b64 s[22:23], vcc, s[22:23]
	v_cndmask_b32_e64 v2, v2, 0, s[22:23]
	v_or_b32_e32 v44, v2, v14
.LBB4_2025:                             ;   in Loop: Header=BB4_1539 Depth=2
	s_or_b64 exec, exec, s[28:29]
                                        ; implicit-def: $vgpr14
.LBB4_2026:                             ;   in Loop: Header=BB4_1539 Depth=2
	s_andn2_saveexec_b64 s[22:23], s[26:27]
; %bb.2027:                             ;   in Loop: Header=BB4_1539 Depth=2
	v_or_b32_e32 v44, 0x7e, v14
; %bb.2028:                             ;   in Loop: Header=BB4_1539 Depth=2
	s_or_b64 exec, exec, s[22:23]
                                        ; implicit-def: $vgpr3
.LBB4_2029:                             ;   in Loop: Header=BB4_1539 Depth=2
	s_andn2_saveexec_b64 s[22:23], s[24:25]
; %bb.2030:                             ;   in Loop: Header=BB4_1539 Depth=2
	v_or_b32_sdwa v44, v3, s54 dst_sel:DWORD dst_unused:UNUSED_PAD src0_sel:BYTE_3 src1_sel:DWORD
; %bb.2031:                             ;   in Loop: Header=BB4_1539 Depth=2
	s_or_b64 exec, exec, s[22:23]
	v_and_b32_e32 v2, 7, v17
	v_ffbh_u32_e32 v2, v2
	v_and_b32_e32 v3, 0x7f, v17
	v_min_u32_e32 v2, 32, v2
	v_bfe_u32 v14, v17, 3, 4
	v_cmp_eq_u32_e64 s[22:23], s54, v3
	v_cmp_gt_u32_e32 vcc, 8, v3
	v_subrev_u32_e32 v3, 28, v2
	v_sub_u32_e32 v2, 29, v2
	v_mov_b32_e32 v10, v17
	v_mov_b32_e32 v11, v53
	v_cndmask_b32_e32 v14, v14, v2, vcc
	v_cndmask_b32_e32 v2, 0, v3, vcc
	v_lshlrev_b64 v[2:3], v2, v[10:11]
	v_lshlrev_b32_e32 v3, 24, v17
	v_lshlrev_b32_e32 v2, 20, v2
	v_and_b32_e32 v2, 0x700000, v2
	v_and_b32_e32 v3, 0x80000000, v3
	v_lshl_add_u32 v11, v14, 23, v43
	v_mov_b32_e32 v52, v13
	v_or3_b32 v2, v3, v11, v2
	v_cmp_ne_u16_sdwa s[24:25], v13, v53 src0_sel:BYTE_0 src1_sel:DWORD
	s_mov_b64 s[26:27], -1
	s_and_b64 vcc, exec, s[34:35]
                                        ; implicit-def: $vgpr3
	s_cbranch_vccz .LBB4_2045
; %bb.2032:                             ;   in Loop: Header=BB4_1539 Depth=2
	v_mov_b32_e32 v3, 0
	s_and_saveexec_b64 s[26:27], s[24:25]
	s_cbranch_execz .LBB4_2038
; %bb.2033:                             ;   in Loop: Header=BB4_1539 Depth=2
	v_cmp_ne_u16_sdwa vcc, v13, s53 src0_sel:BYTE_0 src1_sel:DWORD
	v_bfrev_b32_e32 v3, 1
	s_and_saveexec_b64 s[28:29], vcc
	s_cbranch_execz .LBB4_2037
; %bb.2034:                             ;   in Loop: Header=BB4_1539 Depth=2
	v_and_b32_e32 v11, 0x7f, v13
	v_cmp_ne_u32_e32 vcc, s54, v11
	v_mov_b32_e32 v3, 0x7f800001
	s_and_saveexec_b64 s[36:37], vcc
	s_cbranch_execz .LBB4_2036
; %bb.2035:                             ;   in Loop: Header=BB4_1539 Depth=2
	v_and_b32_e32 v3, 7, v13
	v_ffbh_u32_e32 v3, v3
	v_min_u32_e32 v3, 32, v3
	v_lshrrev_b32_e32 v14, 3, v11
	v_cmp_gt_u32_e32 vcc, 8, v11
	v_subrev_u32_e32 v11, 28, v3
	v_sub_u32_e32 v3, 29, v3
	v_cndmask_b32_e32 v11, 0, v11, vcc
	v_cndmask_b32_e32 v3, v14, v3, vcc
	v_lshlrev_b64 v[14:15], v11, v[52:53]
	v_lshl_add_u32 v3, v3, 23, v43
	v_lshlrev_b32_e32 v11, 20, v14
	v_lshlrev_b32_e32 v14, 24, v52
	v_and_b32_e32 v11, 0x700000, v11
	v_and_b32_e32 v14, 0x80000000, v14
	v_or3_b32 v3, v14, v3, v11
.LBB4_2036:                             ;   in Loop: Header=BB4_1539 Depth=2
	s_or_b64 exec, exec, s[36:37]
.LBB4_2037:                             ;   in Loop: Header=BB4_1539 Depth=2
	s_or_b64 exec, exec, s[28:29]
.LBB4_2038:                             ;   in Loop: Header=BB4_1539 Depth=2
	s_or_b64 exec, exec, s[26:27]
	v_cmp_gt_i16_sdwa s[28:29], v17, s54 src0_sel:BYTE_0 src1_sel:DWORD
	s_mov_b64 s[26:27], 0
	s_and_saveexec_b64 vcc, s[28:29]
	s_xor_b64 s[28:29], exec, vcc
	s_cbranch_execz .LBB4_2231
; %bb.2039:                             ;   in Loop: Header=BB4_1539 Depth=2
	v_cmp_eq_u16_sdwa s[36:37], v17, s53 src0_sel:BYTE_0 src1_sel:DWORD
	s_mov_b64 s[26:27], -1
	s_and_saveexec_b64 vcc, s[36:37]
; %bb.2040:                             ;   in Loop: Header=BB4_1539 Depth=2
	s_xor_b64 s[26:27], exec, -1
; %bb.2041:                             ;   in Loop: Header=BB4_1539 Depth=2
	s_or_b64 exec, exec, vcc
	s_and_b64 s[26:27], s[26:27], exec
	s_or_saveexec_b64 s[28:29], s[28:29]
	v_bfrev_b32_e32 v11, 1
	s_xor_b64 exec, exec, s[28:29]
	s_cbranch_execnz .LBB4_2232
.LBB4_2042:                             ;   in Loop: Header=BB4_1539 Depth=2
	s_or_b64 exec, exec, s[28:29]
	s_and_saveexec_b64 s[28:29], s[26:27]
.LBB4_2043:                             ;   in Loop: Header=BB4_1539 Depth=2
	v_mov_b32_e32 v11, 0x7f800001
	v_cndmask_b32_e64 v11, v2, v11, s[22:23]
.LBB4_2044:                             ;   in Loop: Header=BB4_1539 Depth=2
	s_or_b64 exec, exec, s[28:29]
	v_max_f32_e32 v11, v11, v11
	v_max_f32_e32 v3, v3, v3
	;; [unrolled: 1-line block ×3, first 2 shown]
	s_mov_b64 s[26:27], 0
.LBB4_2045:                             ;   in Loop: Header=BB4_1539 Depth=2
	s_and_b64 vcc, exec, s[26:27]
	s_cbranch_vccz .LBB4_2059
; %bb.2046:                             ;   in Loop: Header=BB4_1539 Depth=2
	v_mov_b32_e32 v3, 0
	s_and_saveexec_b64 s[26:27], s[24:25]
	s_cbranch_execz .LBB4_2052
; %bb.2047:                             ;   in Loop: Header=BB4_1539 Depth=2
	v_cmp_ne_u16_sdwa s[28:29], v13, s53 src0_sel:BYTE_0 src1_sel:DWORD
	v_bfrev_b32_e32 v3, 1
	s_and_saveexec_b64 s[24:25], s[28:29]
	s_cbranch_execz .LBB4_2051
; %bb.2048:                             ;   in Loop: Header=BB4_1539 Depth=2
	v_and_b32_e32 v11, 0x7f, v13
	v_cmp_ne_u32_e32 vcc, s54, v11
	v_mov_b32_e32 v3, 0x7f800001
	s_and_saveexec_b64 s[28:29], vcc
	s_cbranch_execz .LBB4_2050
; %bb.2049:                             ;   in Loop: Header=BB4_1539 Depth=2
	v_and_b32_e32 v3, 7, v13
	v_ffbh_u32_e32 v3, v3
	v_min_u32_e32 v3, 32, v3
	v_lshrrev_b32_e32 v14, 3, v11
	v_cmp_gt_u32_e32 vcc, 8, v11
	v_subrev_u32_e32 v11, 28, v3
	v_sub_u32_e32 v3, 29, v3
	v_cndmask_b32_e32 v11, 0, v11, vcc
	v_cndmask_b32_e32 v3, v14, v3, vcc
	v_lshlrev_b64 v[14:15], v11, v[52:53]
	v_lshl_add_u32 v3, v3, 23, v43
	v_lshlrev_b32_e32 v11, 20, v14
	v_lshlrev_b32_e32 v14, 24, v52
	v_and_b32_e32 v11, 0x700000, v11
	v_and_b32_e32 v14, 0x80000000, v14
	v_or3_b32 v3, v14, v3, v11
.LBB4_2050:                             ;   in Loop: Header=BB4_1539 Depth=2
	s_or_b64 exec, exec, s[28:29]
.LBB4_2051:                             ;   in Loop: Header=BB4_1539 Depth=2
	s_or_b64 exec, exec, s[24:25]
.LBB4_2052:                             ;   in Loop: Header=BB4_1539 Depth=2
	s_or_b64 exec, exec, s[26:27]
	v_cmp_gt_i16_sdwa s[26:27], v17, s54 src0_sel:BYTE_0 src1_sel:DWORD
	s_mov_b64 s[24:25], 0
	s_and_saveexec_b64 s[28:29], s[26:27]
	s_xor_b64 s[26:27], exec, s[28:29]
	s_cbranch_execz .LBB4_2233
; %bb.2053:                             ;   in Loop: Header=BB4_1539 Depth=2
	v_cmp_eq_u16_sdwa vcc, v17, s53 src0_sel:BYTE_0 src1_sel:DWORD
	s_mov_b64 s[24:25], -1
	s_and_saveexec_b64 s[28:29], vcc
; %bb.2054:                             ;   in Loop: Header=BB4_1539 Depth=2
	s_xor_b64 s[24:25], exec, -1
; %bb.2055:                             ;   in Loop: Header=BB4_1539 Depth=2
	s_or_b64 exec, exec, s[28:29]
	s_and_b64 s[24:25], s[24:25], exec
	s_or_saveexec_b64 s[26:27], s[26:27]
	v_bfrev_b32_e32 v11, 1
	s_xor_b64 exec, exec, s[26:27]
	s_cbranch_execnz .LBB4_2234
.LBB4_2056:                             ;   in Loop: Header=BB4_1539 Depth=2
	s_or_b64 exec, exec, s[26:27]
	s_and_saveexec_b64 s[26:27], s[24:25]
.LBB4_2057:                             ;   in Loop: Header=BB4_1539 Depth=2
	v_mov_b32_e32 v11, 0x7f800001
	v_cndmask_b32_e64 v11, v2, v11, s[22:23]
.LBB4_2058:                             ;   in Loop: Header=BB4_1539 Depth=2
	s_or_b64 exec, exec, s[26:27]
	v_max_f32_e32 v2, v11, v11
	v_max_f32_e32 v3, v3, v3
	v_min_f32_e32 v3, v3, v2
.LBB4_2059:                             ;   in Loop: Header=BB4_1539 Depth=2
	v_and_b32_e32 v14, 0x7f800000, v3
	v_mov_b32_e32 v15, v53
	v_cmp_ne_u64_e32 vcc, s[72:73], v[14:15]
                                        ; implicit-def: $vgpr15
	s_and_saveexec_b64 s[22:23], vcc
	s_xor_b64 s[24:25], exec, s[22:23]
	s_cbranch_execz .LBB4_2073
; %bb.2060:                             ;   in Loop: Header=BB4_1539 Depth=2
	v_and_b32_e32 v14, 0x7fffffff, v3
	v_mov_b32_e32 v15, v53
	v_cmp_gt_u64_e32 vcc, s[74:75], v[14:15]
	v_and_b32_sdwa v11, v3, s53 dst_sel:DWORD dst_unused:UNUSED_PAD src0_sel:BYTE_3 src1_sel:DWORD
                                        ; implicit-def: $vgpr15
	s_and_saveexec_b64 s[22:23], vcc
	s_xor_b64 s[26:27], exec, s[22:23]
	s_cbranch_execz .LBB4_2070
; %bb.2061:                             ;   in Loop: Header=BB4_1539 Depth=2
	v_mov_b32_e32 v15, 0
	v_cmp_ne_u32_e32 vcc, 0, v3
	s_and_saveexec_b64 s[28:29], vcc
	s_cbranch_execz .LBB4_2069
; %bb.2062:                             ;   in Loop: Header=BB4_1539 Depth=2
	v_bfe_u32 v48, v3, 23, 8
	v_and_b32_e32 v2, 0x7fffff, v3
	v_cmp_gt_u32_e64 s[22:23], s64, v48
	v_sub_u32_e32 v3, 0x79, v48
	v_cmp_eq_u32_e32 vcc, 0, v48
	v_cndmask_b32_e64 v3, 0, v3, s[22:23]
	v_mov_b32_e32 v15, 0x78
	v_or_b32_e32 v14, 0x800000, v2
	v_cndmask_b32_e32 v49, v3, v15, vcc
	v_cndmask_b32_e32 v2, v14, v2, vcc
	v_add_u32_e32 v14, 20, v49
	v_lshlrev_b64 v[14:15], v14, -1
	v_add_u32_e32 v36, 19, v49
	v_lshlrev_b64 v[36:37], v36, 1
	v_mov_b32_e32 v3, v53
	v_bfi_b32 v15, v15, 0, 0
	v_bfi_b32 v14, v14, 0, v2
	v_cmp_eq_u64_e64 s[22:23], v[14:15], v[36:37]
	v_lshrrev_b64 v[14:15], v49, v[2:3]
	v_mov_b32_e32 v40, 0xffffff82
	v_mov_b32_e32 v2, v14
	;; [unrolled: 1-line block ×3, first 2 shown]
	s_and_saveexec_b64 s[36:37], s[22:23]
; %bb.2063:                             ;   in Loop: Header=BB4_1539 Depth=2
	v_bfe_u32 v2, v14, 20, 1
	v_add_co_u32_e64 v2, s[22:23], v14, v2
	v_add_co_u32_e64 v2, s[22:23], -1, v2
; %bb.2064:                             ;   in Loop: Header=BB4_1539 Depth=2
	s_or_b64 exec, exec, s[36:37]
	v_add_u32_e32 v3, 0xffffff81, v48
	v_cndmask_b32_e32 v3, v3, v40, vcc
	v_lshrrev_b32_e32 v15, 23, v14
	v_add3_u32 v48, v49, v3, v15
	v_add_u32_e32 v3, 6, v48
	v_and_b32_e32 v2, 0xfffff, v2
	v_add_u32_e32 v14, v2, v14
	v_mov_b32_e32 v15, v53
	v_cmp_ne_u32_e32 vcc, 0, v3
                                        ; implicit-def: $vgpr2
	s_and_saveexec_b64 s[22:23], vcc
	s_xor_b64 s[22:23], exec, s[22:23]
; %bb.2065:                             ;   in Loop: Header=BB4_1539 Depth=2
	v_cmp_lt_u64_e32 vcc, s[76:77], v[14:15]
	v_add_u32_e32 v2, 7, v48
	v_cndmask_b32_e32 v2, v3, v2, vcc
	v_cndmask_b32_e64 v3, 0, 1, vcc
	v_lshrrev_b64 v[14:15], v3, v[14:15]
; %bb.2066:                             ;   in Loop: Header=BB4_1539 Depth=2
	s_andn2_saveexec_b64 s[22:23], s[22:23]
; %bb.2067:                             ;   in Loop: Header=BB4_1539 Depth=2
	v_bfe_u32 v2, v14, 23, 1
; %bb.2068:                             ;   in Loop: Header=BB4_1539 Depth=2
	s_or_b64 exec, exec, s[22:23]
	v_lshrrev_b64 v[14:15], 20, v[14:15]
	v_cmp_gt_i32_e32 vcc, 16, v2
	v_cndmask_b32_e32 v15, 0, v15, vcc
	v_cndmask_b32_e32 v14, 7, v14, vcc
	v_cmp_eq_u32_e32 vcc, 0, v2
	v_min_i32_e32 v2, 15, v2
	v_cmp_eq_u64_e64 s[22:23], 0, v[14:15]
	v_lshlrev_b32_e32 v2, 3, v2
	v_and_b32_e32 v2, 0xf8, v2
	v_and_or_b32 v2, v14, 7, v2
	s_and_b64 s[22:23], vcc, s[22:23]
	v_cndmask_b32_e64 v2, v2, 0, s[22:23]
	v_or_b32_e32 v15, v2, v11
	v_mov_b32_e32 v49, 0xffffff82
.LBB4_2069:                             ;   in Loop: Header=BB4_1539 Depth=2
	s_or_b64 exec, exec, s[28:29]
                                        ; implicit-def: $vgpr11
.LBB4_2070:                             ;   in Loop: Header=BB4_1539 Depth=2
	s_andn2_saveexec_b64 s[22:23], s[26:27]
; %bb.2071:                             ;   in Loop: Header=BB4_1539 Depth=2
	v_or_b32_e32 v15, 0x7e, v11
; %bb.2072:                             ;   in Loop: Header=BB4_1539 Depth=2
	s_or_b64 exec, exec, s[22:23]
                                        ; implicit-def: $vgpr3
.LBB4_2073:                             ;   in Loop: Header=BB4_1539 Depth=2
	s_andn2_saveexec_b64 s[22:23], s[24:25]
; %bb.2074:                             ;   in Loop: Header=BB4_1539 Depth=2
	v_or_b32_sdwa v15, v3, s54 dst_sel:DWORD dst_unused:UNUSED_PAD src0_sel:BYTE_3 src1_sel:DWORD
; %bb.2075:                             ;   in Loop: Header=BB4_1539 Depth=2
	s_or_b64 exec, exec, s[22:23]
	v_lshrrev_b16_e32 v10, 8, v10
	v_and_b32_e32 v36, 7, v10
	v_and_b32_e32 v2, 0x7f, v10
	v_cmp_eq_u32_e64 s[22:23], s54, v2
	v_cmp_gt_u32_e32 vcc, 8, v2
	v_ffbh_u32_e32 v2, v36
	v_min_u32_e32 v48, 32, v2
	v_mov_b32_e32 v11, v53
	v_subrev_u32_e32 v2, 28, v48
	v_lshlrev_b64 v[2:3], v2, v[10:11]
	v_bfe_u32 v37, v10, 3, 4
	v_sub_u32_e32 v3, 29, v48
	v_and_b32_e32 v2, 7, v2
	v_cndmask_b32_e32 v3, v37, v3, vcc
	v_cndmask_b32_e32 v2, v36, v2, vcc
	v_lshlrev_b32_e32 v11, 24, v10
	v_lshrrev_b16_e32 v14, 8, v52
	v_lshlrev_b32_e32 v2, 20, v2
	v_and_b32_e32 v11, 0x80000000, v11
	v_lshl_add_u32 v3, v3, 23, v43
	v_or3_b32 v2, v11, v3, v2
	v_cmp_ne_u16_e64 s[24:25], 0, v14
	s_mov_b64 s[26:27], -1
	s_and_b64 vcc, exec, s[34:35]
                                        ; implicit-def: $vgpr3
	s_cbranch_vccz .LBB4_2089
; %bb.2076:                             ;   in Loop: Header=BB4_1539 Depth=2
	v_mov_b32_e32 v3, 0
	s_and_saveexec_b64 s[26:27], s[24:25]
	s_cbranch_execz .LBB4_2082
; %bb.2077:                             ;   in Loop: Header=BB4_1539 Depth=2
	v_cmp_ne_u16_e32 vcc, s53, v14
	v_bfrev_b32_e32 v3, 1
	s_and_saveexec_b64 s[28:29], vcc
	s_cbranch_execz .LBB4_2081
; %bb.2078:                             ;   in Loop: Header=BB4_1539 Depth=2
	v_and_b32_e32 v11, 0x7f, v14
	v_cmp_ne_u32_e32 vcc, s54, v11
	v_mov_b32_e32 v3, 0x7f800001
	s_and_saveexec_b64 s[36:37], vcc
	s_cbranch_execz .LBB4_2080
; %bb.2079:                             ;   in Loop: Header=BB4_1539 Depth=2
	v_and_b32_e32 v3, 7, v14
	v_lshrrev_b32_e32 v48, 3, v11
	v_cmp_gt_u32_e32 vcc, 8, v11
	v_ffbh_u32_e32 v11, v3
	v_min_u32_e32 v11, 32, v11
	v_subrev_u32_e32 v36, 28, v11
	v_lshlrev_b64 v[36:37], v36, v[14:15]
	v_sub_u32_e32 v11, 29, v11
	v_and_b32_e32 v36, 7, v36
	v_cndmask_b32_e32 v11, v48, v11, vcc
	v_cndmask_b32_e32 v3, v3, v36, vcc
	v_lshlrev_b32_e32 v36, 16, v52
	v_lshlrev_b32_e32 v3, 20, v3
	v_and_b32_e32 v36, 0x80000000, v36
	v_lshl_add_u32 v11, v11, 23, v43
	v_or3_b32 v3, v36, v11, v3
.LBB4_2080:                             ;   in Loop: Header=BB4_1539 Depth=2
	s_or_b64 exec, exec, s[36:37]
.LBB4_2081:                             ;   in Loop: Header=BB4_1539 Depth=2
	s_or_b64 exec, exec, s[28:29]
.LBB4_2082:                             ;   in Loop: Header=BB4_1539 Depth=2
	s_or_b64 exec, exec, s[26:27]
	v_cmp_lt_i16_e32 vcc, s54, v10
	s_mov_b64 s[26:27], 0
	s_and_saveexec_b64 s[28:29], vcc
	s_xor_b64 s[28:29], exec, s[28:29]
	s_cbranch_execz .LBB4_2235
; %bb.2083:                             ;   in Loop: Header=BB4_1539 Depth=2
	v_cmp_eq_u16_e32 vcc, s53, v10
	s_mov_b64 s[26:27], -1
	s_and_saveexec_b64 s[36:37], vcc
; %bb.2084:                             ;   in Loop: Header=BB4_1539 Depth=2
	s_xor_b64 s[26:27], exec, -1
; %bb.2085:                             ;   in Loop: Header=BB4_1539 Depth=2
	s_or_b64 exec, exec, s[36:37]
	s_and_b64 s[26:27], s[26:27], exec
	s_or_saveexec_b64 s[28:29], s[28:29]
	v_bfrev_b32_e32 v11, 1
	s_xor_b64 exec, exec, s[28:29]
	s_cbranch_execnz .LBB4_2236
.LBB4_2086:                             ;   in Loop: Header=BB4_1539 Depth=2
	s_or_b64 exec, exec, s[28:29]
	s_and_saveexec_b64 s[28:29], s[26:27]
.LBB4_2087:                             ;   in Loop: Header=BB4_1539 Depth=2
	v_mov_b32_e32 v11, 0x7f800001
	v_cndmask_b32_e64 v11, v2, v11, s[22:23]
.LBB4_2088:                             ;   in Loop: Header=BB4_1539 Depth=2
	s_or_b64 exec, exec, s[28:29]
	v_max_f32_e32 v11, v11, v11
	v_max_f32_e32 v3, v3, v3
	;; [unrolled: 1-line block ×3, first 2 shown]
	s_mov_b64 s[26:27], 0
.LBB4_2089:                             ;   in Loop: Header=BB4_1539 Depth=2
	s_and_b64 vcc, exec, s[26:27]
	s_cbranch_vccz .LBB4_2103
; %bb.2090:                             ;   in Loop: Header=BB4_1539 Depth=2
	v_mov_b32_e32 v3, 0
	s_and_saveexec_b64 s[26:27], s[24:25]
	s_cbranch_execz .LBB4_2096
; %bb.2091:                             ;   in Loop: Header=BB4_1539 Depth=2
	v_cmp_ne_u16_e32 vcc, s53, v14
	v_bfrev_b32_e32 v3, 1
	s_and_saveexec_b64 s[24:25], vcc
	s_cbranch_execz .LBB4_2095
; %bb.2092:                             ;   in Loop: Header=BB4_1539 Depth=2
	v_and_b32_e32 v11, 0x7f, v14
	v_cmp_ne_u32_e32 vcc, s54, v11
	v_mov_b32_e32 v3, 0x7f800001
	s_and_saveexec_b64 s[28:29], vcc
	s_cbranch_execz .LBB4_2094
; %bb.2093:                             ;   in Loop: Header=BB4_1539 Depth=2
	v_and_b32_e32 v3, 7, v14
	v_lshrrev_b32_e32 v48, 3, v11
	v_cmp_gt_u32_e32 vcc, 8, v11
	v_ffbh_u32_e32 v11, v3
	v_min_u32_e32 v11, 32, v11
	v_subrev_u32_e32 v36, 28, v11
	v_lshlrev_b64 v[36:37], v36, v[14:15]
	v_sub_u32_e32 v11, 29, v11
	v_and_b32_e32 v14, 7, v36
	v_cndmask_b32_e32 v11, v48, v11, vcc
	v_cndmask_b32_e32 v3, v3, v14, vcc
	v_lshlrev_b32_e32 v14, 16, v52
	v_lshlrev_b32_e32 v3, 20, v3
	v_and_b32_e32 v14, 0x80000000, v14
	v_lshl_add_u32 v11, v11, 23, v43
	v_or3_b32 v3, v14, v11, v3
.LBB4_2094:                             ;   in Loop: Header=BB4_1539 Depth=2
	s_or_b64 exec, exec, s[28:29]
.LBB4_2095:                             ;   in Loop: Header=BB4_1539 Depth=2
	s_or_b64 exec, exec, s[24:25]
.LBB4_2096:                             ;   in Loop: Header=BB4_1539 Depth=2
	s_or_b64 exec, exec, s[26:27]
	v_cmp_lt_i16_e32 vcc, s54, v10
	s_mov_b64 s[24:25], 0
	s_and_saveexec_b64 s[26:27], vcc
	s_xor_b64 s[26:27], exec, s[26:27]
	s_cbranch_execz .LBB4_2237
; %bb.2097:                             ;   in Loop: Header=BB4_1539 Depth=2
	v_cmp_eq_u16_e32 vcc, s53, v10
	s_mov_b64 s[24:25], -1
	s_and_saveexec_b64 s[28:29], vcc
; %bb.2098:                             ;   in Loop: Header=BB4_1539 Depth=2
	s_xor_b64 s[24:25], exec, -1
; %bb.2099:                             ;   in Loop: Header=BB4_1539 Depth=2
	s_or_b64 exec, exec, s[28:29]
	s_and_b64 s[24:25], s[24:25], exec
                                        ; implicit-def: $vgpr10
	s_or_saveexec_b64 s[26:27], s[26:27]
	v_bfrev_b32_e32 v11, 1
	s_xor_b64 exec, exec, s[26:27]
	s_cbranch_execnz .LBB4_2238
.LBB4_2100:                             ;   in Loop: Header=BB4_1539 Depth=2
	s_or_b64 exec, exec, s[26:27]
	s_and_saveexec_b64 s[26:27], s[24:25]
.LBB4_2101:                             ;   in Loop: Header=BB4_1539 Depth=2
	v_mov_b32_e32 v10, 0x7f800001
	v_cndmask_b32_e64 v11, v2, v10, s[22:23]
.LBB4_2102:                             ;   in Loop: Header=BB4_1539 Depth=2
	s_or_b64 exec, exec, s[26:27]
	v_max_f32_e32 v2, v11, v11
	v_max_f32_e32 v3, v3, v3
	v_min_f32_e32 v3, v3, v2
.LBB4_2103:                             ;   in Loop: Header=BB4_1539 Depth=2
	v_and_b32_e32 v52, 0x7f800000, v3
	v_cmp_ne_u64_e32 vcc, s[72:73], v[52:53]
                                        ; implicit-def: $vgpr14
	s_and_saveexec_b64 s[22:23], vcc
	s_xor_b64 s[24:25], exec, s[22:23]
	s_cbranch_execz .LBB4_2117
; %bb.2104:                             ;   in Loop: Header=BB4_1539 Depth=2
	v_and_b32_e32 v52, 0x7fffffff, v3
	v_cmp_gt_u64_e32 vcc, s[74:75], v[52:53]
	v_and_b32_sdwa v40, v3, s53 dst_sel:DWORD dst_unused:UNUSED_PAD src0_sel:BYTE_3 src1_sel:DWORD
                                        ; implicit-def: $vgpr14
	s_and_saveexec_b64 s[22:23], vcc
	s_xor_b64 s[26:27], exec, s[22:23]
	s_cbranch_execz .LBB4_2114
; %bb.2105:                             ;   in Loop: Header=BB4_1539 Depth=2
	v_mov_b32_e32 v14, 0
	v_cmp_ne_u32_e32 vcc, 0, v3
	s_and_saveexec_b64 s[28:29], vcc
	s_cbranch_execz .LBB4_2113
; %bb.2106:                             ;   in Loop: Header=BB4_1539 Depth=2
	v_bfe_u32 v14, v3, 23, 8
	v_and_b32_e32 v2, 0x7fffff, v3
	v_cmp_gt_u32_e64 s[22:23], s64, v14
	v_sub_u32_e32 v3, 0x79, v14
	v_cmp_eq_u32_e32 vcc, 0, v14
	v_cndmask_b32_e64 v3, 0, v3, s[22:23]
	v_mov_b32_e32 v11, 0x78
	v_or_b32_e32 v10, 0x800000, v2
	v_cndmask_b32_e32 v48, v3, v11, vcc
	v_cndmask_b32_e32 v52, v10, v2, vcc
	v_add_u32_e32 v2, 20, v48
	v_lshlrev_b64 v[2:3], v2, -1
	v_add_u32_e32 v10, 19, v48
	v_lshlrev_b64 v[10:11], v10, 1
	v_bfi_b32 v3, v3, 0, 0
	v_bfi_b32 v2, v2, 0, v52
	v_cmp_eq_u64_e64 s[22:23], v[2:3], v[10:11]
	v_lshrrev_b64 v[10:11], v48, v[52:53]
	v_mov_b32_e32 v2, v10
	v_mov_b32_e32 v3, v11
	s_and_saveexec_b64 s[36:37], s[22:23]
; %bb.2107:                             ;   in Loop: Header=BB4_1539 Depth=2
	v_bfe_u32 v2, v10, 20, 1
	v_add_co_u32_e64 v2, s[22:23], v10, v2
	v_add_co_u32_e64 v2, s[22:23], -1, v2
; %bb.2108:                             ;   in Loop: Header=BB4_1539 Depth=2
	s_or_b64 exec, exec, s[36:37]
	v_add_u32_e32 v3, 0xffffff81, v14
	v_cndmask_b32_e32 v3, v3, v49, vcc
	v_lshrrev_b32_e32 v11, 23, v10
	v_add3_u32 v14, v48, v3, v11
	v_add_u32_e32 v3, 6, v14
	v_and_b32_e32 v2, 0xfffff, v2
	v_add_u32_e32 v52, v2, v10
	v_cmp_ne_u32_e32 vcc, 0, v3
                                        ; implicit-def: $vgpr10_vgpr11
                                        ; implicit-def: $vgpr2
	s_and_saveexec_b64 s[22:23], vcc
	s_xor_b64 s[22:23], exec, s[22:23]
; %bb.2109:                             ;   in Loop: Header=BB4_1539 Depth=2
	v_cmp_lt_u64_e32 vcc, s[76:77], v[52:53]
	v_add_u32_e32 v2, 7, v14
	v_cndmask_b32_e32 v2, v3, v2, vcc
	v_cndmask_b32_e64 v3, 0, 1, vcc
	v_lshrrev_b64 v[10:11], v3, v[52:53]
; %bb.2110:                             ;   in Loop: Header=BB4_1539 Depth=2
	s_andn2_saveexec_b64 s[22:23], s[22:23]
; %bb.2111:                             ;   in Loop: Header=BB4_1539 Depth=2
	v_mov_b32_e32 v10, v52
	v_bfe_u32 v2, v52, 23, 1
	v_mov_b32_e32 v11, v53
; %bb.2112:                             ;   in Loop: Header=BB4_1539 Depth=2
	s_or_b64 exec, exec, s[22:23]
	v_lshrrev_b64 v[10:11], 20, v[10:11]
	v_cmp_gt_i32_e32 vcc, 16, v2
	v_cndmask_b32_e32 v11, 0, v11, vcc
	v_cndmask_b32_e32 v10, 7, v10, vcc
	v_cmp_eq_u32_e32 vcc, 0, v2
	v_min_i32_e32 v2, 15, v2
	v_cmp_eq_u64_e64 s[22:23], 0, v[10:11]
	v_lshlrev_b32_e32 v2, 3, v2
	v_and_b32_e32 v2, 0xf8, v2
	v_and_or_b32 v2, v10, 7, v2
	s_and_b64 s[22:23], vcc, s[22:23]
	v_cndmask_b32_e64 v2, v2, 0, s[22:23]
	v_or_b32_e32 v14, v2, v40
.LBB4_2113:                             ;   in Loop: Header=BB4_1539 Depth=2
	s_or_b64 exec, exec, s[28:29]
                                        ; implicit-def: $vgpr40
.LBB4_2114:                             ;   in Loop: Header=BB4_1539 Depth=2
	s_andn2_saveexec_b64 s[22:23], s[26:27]
; %bb.2115:                             ;   in Loop: Header=BB4_1539 Depth=2
	v_or_b32_e32 v14, 0x7e, v40
; %bb.2116:                             ;   in Loop: Header=BB4_1539 Depth=2
	s_or_b64 exec, exec, s[22:23]
                                        ; implicit-def: $vgpr3
.LBB4_2117:                             ;   in Loop: Header=BB4_1539 Depth=2
	s_andn2_saveexec_b64 s[22:23], s[24:25]
; %bb.2118:                             ;   in Loop: Header=BB4_1539 Depth=2
	v_or_b32_sdwa v14, v3, s54 dst_sel:DWORD dst_unused:UNUSED_PAD src0_sel:BYTE_3 src1_sel:DWORD
; %bb.2119:                             ;   in Loop: Header=BB4_1539 Depth=2
	s_or_b64 exec, exec, s[22:23]
	v_bfe_u32 v11, v17, 16, 3
	v_bfe_u32 v2, v17, 16, 7
	v_cmp_eq_u32_e64 s[22:23], s54, v2
	v_cmp_gt_u32_e32 vcc, 8, v2
	v_ffbh_u32_e32 v2, v11
	v_min_u32_e32 v37, 32, v2
	v_lshrrev_b32_e32 v10, 16, v17
	v_subrev_u32_e32 v2, 28, v37
	v_lshlrev_b64 v[2:3], v2, v[10:11]
	v_bfe_u32 v36, v10, 3, 4
	v_sub_u32_e32 v3, 29, v37
	v_and_b32_e32 v2, 7, v2
	v_cndmask_b32_e32 v3, v36, v3, vcc
	v_cndmask_b32_e32 v2, v11, v2, vcc
	v_lshlrev_b32_e32 v11, 8, v17
	v_lshlrev_b32_e32 v2, 20, v2
	v_and_b32_e32 v11, 0x80000000, v11
	v_lshl_add_u32 v3, v3, 23, v43
	v_or3_b32 v2, v11, v3, v2
	v_lshrrev_b32_e32 v11, 16, v13
	v_cmp_ne_u16_sdwa s[24:25], v11, v53 src0_sel:BYTE_0 src1_sel:DWORD
	s_mov_b64 s[26:27], -1
	s_and_b64 vcc, exec, s[34:35]
                                        ; implicit-def: $vgpr3
	s_cbranch_vccz .LBB4_2133
; %bb.2120:                             ;   in Loop: Header=BB4_1539 Depth=2
	v_mov_b32_e32 v3, 0
	s_and_saveexec_b64 s[26:27], s[24:25]
	s_cbranch_execz .LBB4_2126
; %bb.2121:                             ;   in Loop: Header=BB4_1539 Depth=2
	v_cmp_ne_u16_sdwa vcc, v11, s53 src0_sel:BYTE_0 src1_sel:DWORD
	v_bfrev_b32_e32 v3, 1
	s_and_saveexec_b64 s[28:29], vcc
	s_cbranch_execz .LBB4_2125
; %bb.2122:                             ;   in Loop: Header=BB4_1539 Depth=2
	v_bfe_u32 v48, v13, 16, 7
	v_cmp_ne_u32_e32 vcc, s54, v48
	v_mov_b32_e32 v3, 0x7f800001
	s_and_saveexec_b64 s[36:37], vcc
	s_cbranch_execz .LBB4_2124
; %bb.2123:                             ;   in Loop: Header=BB4_1539 Depth=2
	v_and_b32_e32 v3, 7, v11
	v_ffbh_u32_e32 v36, v3
	v_lshrrev_b32_e32 v49, 3, v48
	v_cmp_gt_u32_e32 vcc, 8, v48
	v_min_u32_e32 v48, 32, v36
	v_subrev_u32_e32 v36, 28, v48
	v_lshlrev_b64 v[36:37], v36, v[11:12]
	v_sub_u32_e32 v37, 29, v48
	v_and_b32_e32 v36, 7, v36
	v_cndmask_b32_e32 v37, v49, v37, vcc
	v_cndmask_b32_e32 v3, v3, v36, vcc
	v_lshlrev_b32_e32 v36, 24, v11
	v_lshlrev_b32_e32 v3, 20, v3
	v_and_b32_e32 v36, 0x80000000, v36
	v_lshl_add_u32 v37, v37, 23, v43
	v_mov_b32_e32 v49, 0xffffff82
	v_or3_b32 v3, v36, v37, v3
.LBB4_2124:                             ;   in Loop: Header=BB4_1539 Depth=2
	s_or_b64 exec, exec, s[36:37]
.LBB4_2125:                             ;   in Loop: Header=BB4_1539 Depth=2
	s_or_b64 exec, exec, s[28:29]
.LBB4_2126:                             ;   in Loop: Header=BB4_1539 Depth=2
	s_or_b64 exec, exec, s[26:27]
	v_cmp_gt_i16_sdwa s[28:29], v10, s54 src0_sel:BYTE_0 src1_sel:DWORD
	s_mov_b64 s[26:27], 0
	s_and_saveexec_b64 vcc, s[28:29]
	s_xor_b64 s[28:29], exec, vcc
	s_cbranch_execz .LBB4_2239
; %bb.2127:                             ;   in Loop: Header=BB4_1539 Depth=2
	v_cmp_eq_u16_sdwa s[36:37], v10, s53 src0_sel:BYTE_0 src1_sel:DWORD
	s_mov_b64 s[26:27], -1
	s_and_saveexec_b64 vcc, s[36:37]
; %bb.2128:                             ;   in Loop: Header=BB4_1539 Depth=2
	s_xor_b64 s[26:27], exec, -1
; %bb.2129:                             ;   in Loop: Header=BB4_1539 Depth=2
	s_or_b64 exec, exec, vcc
	s_and_b64 s[26:27], s[26:27], exec
	s_or_saveexec_b64 s[28:29], s[28:29]
	v_bfrev_b32_e32 v48, 1
	s_xor_b64 exec, exec, s[28:29]
	s_cbranch_execnz .LBB4_2240
.LBB4_2130:                             ;   in Loop: Header=BB4_1539 Depth=2
	s_or_b64 exec, exec, s[28:29]
	s_and_saveexec_b64 s[28:29], s[26:27]
.LBB4_2131:                             ;   in Loop: Header=BB4_1539 Depth=2
	v_mov_b32_e32 v36, 0x7f800001
	v_cndmask_b32_e64 v48, v2, v36, s[22:23]
.LBB4_2132:                             ;   in Loop: Header=BB4_1539 Depth=2
	s_or_b64 exec, exec, s[28:29]
	v_max_f32_e32 v36, v48, v48
	v_max_f32_e32 v3, v3, v3
	;; [unrolled: 1-line block ×3, first 2 shown]
	s_mov_b64 s[26:27], 0
.LBB4_2133:                             ;   in Loop: Header=BB4_1539 Depth=2
	s_and_b64 vcc, exec, s[26:27]
	s_cbranch_vccz .LBB4_2147
; %bb.2134:                             ;   in Loop: Header=BB4_1539 Depth=2
	v_mov_b32_e32 v3, 0
	s_and_saveexec_b64 s[26:27], s[24:25]
	s_cbranch_execz .LBB4_2140
; %bb.2135:                             ;   in Loop: Header=BB4_1539 Depth=2
	v_cmp_ne_u16_sdwa s[28:29], v11, s53 src0_sel:BYTE_0 src1_sel:DWORD
	v_bfrev_b32_e32 v3, 1
	s_and_saveexec_b64 s[24:25], s[28:29]
	s_cbranch_execz .LBB4_2139
; %bb.2136:                             ;   in Loop: Header=BB4_1539 Depth=2
	v_bfe_u32 v48, v13, 16, 7
	v_cmp_ne_u32_e32 vcc, s54, v48
	v_mov_b32_e32 v3, 0x7f800001
	s_and_saveexec_b64 s[28:29], vcc
	s_cbranch_execz .LBB4_2138
; %bb.2137:                             ;   in Loop: Header=BB4_1539 Depth=2
	v_and_b32_e32 v3, 7, v11
	v_ffbh_u32_e32 v36, v3
	v_lshrrev_b32_e32 v49, 3, v48
	v_cmp_gt_u32_e32 vcc, 8, v48
	v_min_u32_e32 v48, 32, v36
	v_subrev_u32_e32 v36, 28, v48
	v_lshlrev_b64 v[36:37], v36, v[11:12]
	v_sub_u32_e32 v37, 29, v48
	v_and_b32_e32 v36, 7, v36
	v_cndmask_b32_e32 v37, v49, v37, vcc
	v_cndmask_b32_e32 v3, v3, v36, vcc
	v_lshlrev_b32_e32 v11, 24, v11
	v_lshlrev_b32_e32 v3, 20, v3
	v_and_b32_e32 v11, 0x80000000, v11
	v_lshl_add_u32 v36, v37, 23, v43
	v_mov_b32_e32 v49, 0xffffff82
	v_or3_b32 v3, v11, v36, v3
.LBB4_2138:                             ;   in Loop: Header=BB4_1539 Depth=2
	s_or_b64 exec, exec, s[28:29]
.LBB4_2139:                             ;   in Loop: Header=BB4_1539 Depth=2
	s_or_b64 exec, exec, s[24:25]
.LBB4_2140:                             ;   in Loop: Header=BB4_1539 Depth=2
	s_or_b64 exec, exec, s[26:27]
	v_cmp_gt_i16_sdwa s[26:27], v10, s54 src0_sel:BYTE_0 src1_sel:DWORD
	s_mov_b64 s[24:25], 0
	s_and_saveexec_b64 s[28:29], s[26:27]
	s_xor_b64 s[26:27], exec, s[28:29]
	s_cbranch_execz .LBB4_2241
; %bb.2141:                             ;   in Loop: Header=BB4_1539 Depth=2
	v_cmp_eq_u16_sdwa vcc, v10, s53 src0_sel:BYTE_0 src1_sel:DWORD
	s_mov_b64 s[24:25], -1
	s_and_saveexec_b64 s[28:29], vcc
; %bb.2142:                             ;   in Loop: Header=BB4_1539 Depth=2
	s_xor_b64 s[24:25], exec, -1
; %bb.2143:                             ;   in Loop: Header=BB4_1539 Depth=2
	s_or_b64 exec, exec, s[28:29]
	s_and_b64 s[24:25], s[24:25], exec
                                        ; implicit-def: $vgpr10
	s_or_saveexec_b64 s[26:27], s[26:27]
	v_bfrev_b32_e32 v11, 1
	s_xor_b64 exec, exec, s[26:27]
	s_cbranch_execnz .LBB4_2242
.LBB4_2144:                             ;   in Loop: Header=BB4_1539 Depth=2
	s_or_b64 exec, exec, s[26:27]
	s_and_saveexec_b64 s[26:27], s[24:25]
.LBB4_2145:                             ;   in Loop: Header=BB4_1539 Depth=2
	v_mov_b32_e32 v10, 0x7f800001
	v_cndmask_b32_e64 v11, v2, v10, s[22:23]
.LBB4_2146:                             ;   in Loop: Header=BB4_1539 Depth=2
	s_or_b64 exec, exec, s[26:27]
	v_max_f32_e32 v2, v11, v11
	v_max_f32_e32 v3, v3, v3
	v_min_f32_e32 v3, v3, v2
.LBB4_2147:                             ;   in Loop: Header=BB4_1539 Depth=2
	v_and_b32_e32 v52, 0x7f800000, v3
	v_cmp_ne_u64_e32 vcc, s[72:73], v[52:53]
                                        ; implicit-def: $vgpr40
	s_and_saveexec_b64 s[22:23], vcc
	s_xor_b64 s[24:25], exec, s[22:23]
	s_cbranch_execz .LBB4_2161
; %bb.2148:                             ;   in Loop: Header=BB4_1539 Depth=2
	v_and_b32_e32 v52, 0x7fffffff, v3
	v_cmp_gt_u64_e32 vcc, s[74:75], v[52:53]
	v_and_b32_sdwa v45, v3, s53 dst_sel:DWORD dst_unused:UNUSED_PAD src0_sel:BYTE_3 src1_sel:DWORD
                                        ; implicit-def: $vgpr40
	s_and_saveexec_b64 s[22:23], vcc
	s_xor_b64 s[26:27], exec, s[22:23]
	s_cbranch_execz .LBB4_2158
; %bb.2149:                             ;   in Loop: Header=BB4_1539 Depth=2
	v_mov_b32_e32 v40, 0
	v_cmp_ne_u32_e32 vcc, 0, v3
	s_and_saveexec_b64 s[28:29], vcc
	s_cbranch_execz .LBB4_2157
; %bb.2150:                             ;   in Loop: Header=BB4_1539 Depth=2
	v_bfe_u32 v48, v3, 23, 8
	v_and_b32_e32 v2, 0x7fffff, v3
	v_cmp_gt_u32_e64 s[22:23], s64, v48
	v_sub_u32_e32 v3, 0x79, v48
	v_cmp_eq_u32_e32 vcc, 0, v48
	v_cndmask_b32_e64 v3, 0, v3, s[22:23]
	v_mov_b32_e32 v11, 0x78
	v_or_b32_e32 v10, 0x800000, v2
	v_cndmask_b32_e32 v49, v3, v11, vcc
	v_cndmask_b32_e32 v52, v10, v2, vcc
	v_add_u32_e32 v2, 20, v49
	v_lshlrev_b64 v[2:3], v2, -1
	v_add_u32_e32 v10, 19, v49
	v_lshlrev_b64 v[10:11], v10, 1
	v_bfi_b32 v3, v3, 0, 0
	v_bfi_b32 v2, v2, 0, v52
	v_cmp_eq_u64_e64 s[22:23], v[2:3], v[10:11]
	v_lshrrev_b64 v[10:11], v49, v[52:53]
	v_mov_b32_e32 v36, 0xffffff82
	v_mov_b32_e32 v2, v10
	;; [unrolled: 1-line block ×3, first 2 shown]
	s_and_saveexec_b64 s[36:37], s[22:23]
; %bb.2151:                             ;   in Loop: Header=BB4_1539 Depth=2
	v_bfe_u32 v2, v10, 20, 1
	v_add_co_u32_e64 v2, s[22:23], v10, v2
	v_add_co_u32_e64 v2, s[22:23], -1, v2
; %bb.2152:                             ;   in Loop: Header=BB4_1539 Depth=2
	s_or_b64 exec, exec, s[36:37]
	v_add_u32_e32 v3, 0xffffff81, v48
	v_cndmask_b32_e32 v3, v3, v36, vcc
	v_lshrrev_b32_e32 v11, 23, v10
	v_add3_u32 v48, v49, v3, v11
	v_add_u32_e32 v3, 6, v48
	v_and_b32_e32 v2, 0xfffff, v2
	v_add_u32_e32 v52, v2, v10
	v_cmp_ne_u32_e32 vcc, 0, v3
                                        ; implicit-def: $vgpr10_vgpr11
                                        ; implicit-def: $vgpr2
	s_and_saveexec_b64 s[22:23], vcc
	s_xor_b64 s[22:23], exec, s[22:23]
; %bb.2153:                             ;   in Loop: Header=BB4_1539 Depth=2
	v_cmp_lt_u64_e32 vcc, s[76:77], v[52:53]
	v_add_u32_e32 v2, 7, v48
	v_cndmask_b32_e32 v2, v3, v2, vcc
	v_cndmask_b32_e64 v3, 0, 1, vcc
	v_lshrrev_b64 v[10:11], v3, v[52:53]
; %bb.2154:                             ;   in Loop: Header=BB4_1539 Depth=2
	s_andn2_saveexec_b64 s[22:23], s[22:23]
; %bb.2155:                             ;   in Loop: Header=BB4_1539 Depth=2
	v_mov_b32_e32 v10, v52
	v_bfe_u32 v2, v52, 23, 1
	v_mov_b32_e32 v11, v53
; %bb.2156:                             ;   in Loop: Header=BB4_1539 Depth=2
	s_or_b64 exec, exec, s[22:23]
	v_lshrrev_b64 v[10:11], 20, v[10:11]
	v_cmp_gt_i32_e32 vcc, 16, v2
	v_cndmask_b32_e32 v11, 0, v11, vcc
	v_cndmask_b32_e32 v10, 7, v10, vcc
	v_cmp_eq_u32_e32 vcc, 0, v2
	v_min_i32_e32 v2, 15, v2
	v_cmp_eq_u64_e64 s[22:23], 0, v[10:11]
	v_lshlrev_b32_e32 v2, 3, v2
	v_and_b32_e32 v2, 0xf8, v2
	v_and_or_b32 v2, v10, 7, v2
	s_and_b64 s[22:23], vcc, s[22:23]
	v_cndmask_b32_e64 v2, v2, 0, s[22:23]
	v_or_b32_e32 v40, v2, v45
	v_mov_b32_e32 v49, 0xffffff82
.LBB4_2157:                             ;   in Loop: Header=BB4_1539 Depth=2
	s_or_b64 exec, exec, s[28:29]
                                        ; implicit-def: $vgpr45
.LBB4_2158:                             ;   in Loop: Header=BB4_1539 Depth=2
	s_andn2_saveexec_b64 s[22:23], s[26:27]
; %bb.2159:                             ;   in Loop: Header=BB4_1539 Depth=2
	v_or_b32_e32 v40, 0x7e, v45
; %bb.2160:                             ;   in Loop: Header=BB4_1539 Depth=2
	s_or_b64 exec, exec, s[22:23]
                                        ; implicit-def: $vgpr3
.LBB4_2161:                             ;   in Loop: Header=BB4_1539 Depth=2
	s_andn2_saveexec_b64 s[22:23], s[24:25]
; %bb.2162:                             ;   in Loop: Header=BB4_1539 Depth=2
	v_or_b32_sdwa v40, v3, s54 dst_sel:DWORD dst_unused:UNUSED_PAD src0_sel:BYTE_3 src1_sel:DWORD
; %bb.2163:                             ;   in Loop: Header=BB4_1539 Depth=2
	s_or_b64 exec, exec, s[22:23]
	v_bfe_u32 v11, v17, 24, 3
	v_bfe_u32 v3, v17, 24, 7
	v_cmp_eq_u32_e64 s[26:27], s54, v3
	v_cmp_gt_u32_e32 vcc, 8, v3
	v_ffbh_u32_e32 v3, v11
	v_min_u32_e32 v36, 32, v3
	v_lshrrev_b32_e32 v2, 24, v17
	v_subrev_u32_e32 v3, 28, v36
	v_cmp_gt_u64_e64 s[22:23], s[58:59], v[16:17]
	v_bfe_u32 v16, v2, 3, 4
	v_cmp_eq_u32_e64 s[24:25], s53, v2
	v_lshlrev_b64 v[2:3], v3, v[2:3]
	v_sub_u32_e32 v3, 29, v36
	v_and_b32_e32 v2, 7, v2
	v_cndmask_b32_e32 v3, v16, v3, vcc
	v_cndmask_b32_e32 v2, v11, v2, vcc
	v_lshlrev_b32_e32 v2, 20, v2
	v_and_b32_e32 v11, 0x80000000, v17
	v_lshl_add_u32 v3, v3, 23, v43
	v_cmp_lt_u64_e64 s[28:29], s[78:79], v[12:13]
	v_lshrrev_b32_e32 v10, 24, v13
	v_or3_b32 v2, v11, v3, v2
	s_mov_b64 s[36:37], -1
	s_and_b64 vcc, exec, s[34:35]
                                        ; implicit-def: $vgpr3
	s_cbranch_vccz .LBB4_2171
; %bb.2164:                             ;   in Loop: Header=BB4_1539 Depth=2
	v_mov_b32_e32 v3, 0
	s_and_saveexec_b64 s[36:37], s[28:29]
	s_cbranch_execz .LBB4_2170
; %bb.2165:                             ;   in Loop: Header=BB4_1539 Depth=2
	v_cmp_ne_u32_e32 vcc, s53, v10
	v_bfrev_b32_e32 v3, 1
	s_and_saveexec_b64 s[38:39], vcc
	s_cbranch_execz .LBB4_2169
; %bb.2166:                             ;   in Loop: Header=BB4_1539 Depth=2
	v_bfe_u32 v11, v13, 24, 7
	v_cmp_ne_u32_e32 vcc, s54, v11
	v_mov_b32_e32 v3, 0x7f800001
	s_and_saveexec_b64 s[48:49], vcc
	s_cbranch_execz .LBB4_2168
; %bb.2167:                             ;   in Loop: Header=BB4_1539 Depth=2
	v_and_b32_e32 v3, 7, v10
	v_lshrrev_b32_e32 v16, 3, v11
	v_cmp_gt_u32_e32 vcc, 8, v11
	v_ffbh_u32_e32 v11, v3
	v_min_u32_e32 v17, 32, v11
	v_subrev_u32_e32 v11, 28, v17
	v_lshlrev_b64 v[11:12], v11, v[10:11]
	v_sub_u32_e32 v12, 29, v17
	v_and_b32_e32 v11, 7, v11
	v_cndmask_b32_e32 v12, v16, v12, vcc
	v_cndmask_b32_e32 v3, v3, v11, vcc
	v_lshlrev_b32_e32 v11, 24, v10
	v_lshlrev_b32_e32 v3, 20, v3
	v_and_b32_e32 v11, 0x80000000, v11
	v_lshl_add_u32 v12, v12, 23, v43
	v_or3_b32 v3, v11, v12, v3
.LBB4_2168:                             ;   in Loop: Header=BB4_1539 Depth=2
	s_or_b64 exec, exec, s[48:49]
.LBB4_2169:                             ;   in Loop: Header=BB4_1539 Depth=2
	s_or_b64 exec, exec, s[38:39]
.LBB4_2170:                             ;   in Loop: Header=BB4_1539 Depth=2
	s_or_b64 exec, exec, s[36:37]
	v_mov_b32_e32 v11, 0x7f800001
	v_cndmask_b32_e64 v11, v2, v11, s[26:27]
	v_bfrev_b32_e32 v12, 1
	v_cndmask_b32_e64 v11, v11, v12, s[24:25]
	v_cndmask_b32_e64 v11, v11, 0, s[22:23]
	v_max_f32_e32 v11, v11, v11
	v_max_f32_e32 v3, v3, v3
	;; [unrolled: 1-line block ×3, first 2 shown]
	s_mov_b64 s[36:37], 0
.LBB4_2171:                             ;   in Loop: Header=BB4_1539 Depth=2
	s_and_b64 vcc, exec, s[36:37]
	s_cbranch_vccz .LBB4_2179
; %bb.2172:                             ;   in Loop: Header=BB4_1539 Depth=2
	v_mov_b32_e32 v3, 0
	s_and_saveexec_b64 s[36:37], s[28:29]
	s_cbranch_execz .LBB4_2178
; %bb.2173:                             ;   in Loop: Header=BB4_1539 Depth=2
	v_cmp_ne_u32_e32 vcc, s53, v10
	v_bfrev_b32_e32 v3, 1
	s_and_saveexec_b64 s[28:29], vcc
	s_cbranch_execz .LBB4_2177
; %bb.2174:                             ;   in Loop: Header=BB4_1539 Depth=2
	v_bfe_u32 v11, v13, 24, 7
	v_cmp_ne_u32_e32 vcc, s54, v11
	v_mov_b32_e32 v3, 0x7f800001
	s_and_saveexec_b64 s[38:39], vcc
	s_cbranch_execz .LBB4_2176
; %bb.2175:                             ;   in Loop: Header=BB4_1539 Depth=2
	v_and_b32_e32 v3, 7, v10
	v_lshrrev_b32_e32 v13, 3, v11
	v_cmp_gt_u32_e32 vcc, 8, v11
	v_ffbh_u32_e32 v11, v3
	v_min_u32_e32 v16, 32, v11
	v_subrev_u32_e32 v11, 28, v16
	v_lshlrev_b64 v[11:12], v11, v[10:11]
	v_sub_u32_e32 v12, 29, v16
	v_and_b32_e32 v11, 7, v11
	v_cndmask_b32_e32 v12, v13, v12, vcc
	v_cndmask_b32_e32 v3, v3, v11, vcc
	v_lshlrev_b32_e32 v10, 24, v10
	v_lshlrev_b32_e32 v3, 20, v3
	v_and_b32_e32 v10, 0x80000000, v10
	v_lshl_add_u32 v11, v12, 23, v43
	v_or3_b32 v3, v10, v11, v3
.LBB4_2176:                             ;   in Loop: Header=BB4_1539 Depth=2
	s_or_b64 exec, exec, s[38:39]
.LBB4_2177:                             ;   in Loop: Header=BB4_1539 Depth=2
	s_or_b64 exec, exec, s[28:29]
.LBB4_2178:                             ;   in Loop: Header=BB4_1539 Depth=2
	s_or_b64 exec, exec, s[36:37]
	v_mov_b32_e32 v10, 0x7f800001
	v_cndmask_b32_e64 v2, v2, v10, s[26:27]
	v_bfrev_b32_e32 v10, 1
	v_cndmask_b32_e64 v2, v2, v10, s[24:25]
	v_cndmask_b32_e64 v2, v2, 0, s[22:23]
	v_max_f32_e32 v2, v2, v2
	v_max_f32_e32 v3, v3, v3
	v_min_f32_e32 v3, v3, v2
.LBB4_2179:                             ;   in Loop: Header=BB4_1539 Depth=2
	v_and_b32_e32 v52, 0x7f800000, v3
	v_cmp_ne_u64_e32 vcc, s[72:73], v[52:53]
                                        ; implicit-def: $vgpr2
	s_and_saveexec_b64 s[22:23], vcc
	s_xor_b64 s[24:25], exec, s[22:23]
	s_cbranch_execz .LBB4_2193
; %bb.2180:                             ;   in Loop: Header=BB4_1539 Depth=2
	v_and_b32_e32 v52, 0x7fffffff, v3
	v_cmp_gt_u64_e32 vcc, s[74:75], v[52:53]
	v_and_b32_sdwa v12, v3, s53 dst_sel:DWORD dst_unused:UNUSED_PAD src0_sel:BYTE_3 src1_sel:DWORD
                                        ; implicit-def: $vgpr2
	s_and_saveexec_b64 s[22:23], vcc
	s_xor_b64 s[26:27], exec, s[22:23]
	s_cbranch_execz .LBB4_2190
; %bb.2181:                             ;   in Loop: Header=BB4_1539 Depth=2
	v_mov_b32_e32 v2, 0
	v_cmp_ne_u32_e32 vcc, 0, v3
	s_and_saveexec_b64 s[28:29], vcc
	s_cbranch_execz .LBB4_2189
; %bb.2182:                             ;   in Loop: Header=BB4_1539 Depth=2
	v_bfe_u32 v13, v3, 23, 8
	v_and_b32_e32 v2, 0x7fffff, v3
	v_cmp_gt_u32_e64 s[22:23], s64, v13
	v_sub_u32_e32 v3, 0x79, v13
	v_cmp_eq_u32_e32 vcc, 0, v13
	v_cndmask_b32_e64 v3, 0, v3, s[22:23]
	v_mov_b32_e32 v11, 0x78
	v_or_b32_e32 v10, 0x800000, v2
	v_cndmask_b32_e32 v16, v3, v11, vcc
	v_cndmask_b32_e32 v52, v10, v2, vcc
	v_add_u32_e32 v2, 20, v16
	v_lshlrev_b64 v[2:3], v2, -1
	v_add_u32_e32 v10, 19, v16
	v_lshlrev_b64 v[10:11], v10, 1
	v_bfi_b32 v3, v3, 0, 0
	v_bfi_b32 v2, v2, 0, v52
	v_cmp_eq_u64_e64 s[22:23], v[2:3], v[10:11]
	v_lshrrev_b64 v[10:11], v16, v[52:53]
	v_mov_b32_e32 v2, v10
	v_mov_b32_e32 v3, v11
	s_and_saveexec_b64 s[36:37], s[22:23]
; %bb.2183:                             ;   in Loop: Header=BB4_1539 Depth=2
	v_bfe_u32 v2, v10, 20, 1
	v_add_co_u32_e64 v2, s[22:23], v10, v2
	v_add_co_u32_e64 v2, s[22:23], -1, v2
; %bb.2184:                             ;   in Loop: Header=BB4_1539 Depth=2
	s_or_b64 exec, exec, s[36:37]
	v_add_u32_e32 v3, 0xffffff81, v13
	v_cndmask_b32_e32 v3, v3, v49, vcc
	v_lshrrev_b32_e32 v11, 23, v10
	v_add3_u32 v13, v16, v3, v11
	v_add_u32_e32 v3, 6, v13
	v_and_b32_e32 v2, 0xfffff, v2
	v_add_u32_e32 v52, v2, v10
	v_cmp_ne_u32_e32 vcc, 0, v3
                                        ; implicit-def: $vgpr10_vgpr11
                                        ; implicit-def: $vgpr2
	s_and_saveexec_b64 s[22:23], vcc
	s_xor_b64 s[22:23], exec, s[22:23]
; %bb.2185:                             ;   in Loop: Header=BB4_1539 Depth=2
	v_cmp_lt_u64_e32 vcc, s[76:77], v[52:53]
	v_add_u32_e32 v2, 7, v13
	v_cndmask_b32_e32 v2, v3, v2, vcc
	v_cndmask_b32_e64 v3, 0, 1, vcc
	v_lshrrev_b64 v[10:11], v3, v[52:53]
; %bb.2186:                             ;   in Loop: Header=BB4_1539 Depth=2
	s_andn2_saveexec_b64 s[22:23], s[22:23]
; %bb.2187:                             ;   in Loop: Header=BB4_1539 Depth=2
	v_mov_b32_e32 v10, v52
	v_bfe_u32 v2, v52, 23, 1
	v_mov_b32_e32 v11, v53
; %bb.2188:                             ;   in Loop: Header=BB4_1539 Depth=2
	s_or_b64 exec, exec, s[22:23]
	v_lshrrev_b64 v[10:11], 20, v[10:11]
	v_cmp_gt_i32_e32 vcc, 16, v2
	v_cndmask_b32_e32 v11, 0, v11, vcc
	v_cndmask_b32_e32 v10, 7, v10, vcc
	v_cmp_eq_u32_e32 vcc, 0, v2
	v_min_i32_e32 v2, 15, v2
	v_cmp_eq_u64_e64 s[22:23], 0, v[10:11]
	v_lshlrev_b32_e32 v2, 3, v2
	v_and_b32_e32 v2, 0xf8, v2
	v_and_or_b32 v2, v10, 7, v2
	s_and_b64 s[22:23], vcc, s[22:23]
	v_cndmask_b32_e64 v2, v2, 0, s[22:23]
	v_or_b32_e32 v2, v2, v12
.LBB4_2189:                             ;   in Loop: Header=BB4_1539 Depth=2
	s_or_b64 exec, exec, s[28:29]
                                        ; implicit-def: $vgpr12
.LBB4_2190:                             ;   in Loop: Header=BB4_1539 Depth=2
	s_andn2_saveexec_b64 s[22:23], s[26:27]
; %bb.2191:                             ;   in Loop: Header=BB4_1539 Depth=2
	v_or_b32_e32 v2, 0x7e, v12
; %bb.2192:                             ;   in Loop: Header=BB4_1539 Depth=2
	s_or_b64 exec, exec, s[22:23]
                                        ; implicit-def: $vgpr3
.LBB4_2193:                             ;   in Loop: Header=BB4_1539 Depth=2
	s_andn2_saveexec_b64 s[22:23], s[24:25]
	s_cbranch_execz .LBB4_1538
; %bb.2194:                             ;   in Loop: Header=BB4_1539 Depth=2
	v_or_b32_sdwa v2, v3, s54 dst_sel:DWORD dst_unused:UNUSED_PAD src0_sel:BYTE_3 src1_sel:DWORD
	s_branch .LBB4_1538
.LBB4_2195:                             ;   in Loop: Header=BB4_1539 Depth=2
	s_or_saveexec_b64 s[28:29], s[28:29]
	v_bfrev_b32_e32 v2, 1
	s_xor_b64 exec, exec, s[28:29]
	s_cbranch_execz .LBB4_1550
.LBB4_2196:                             ;   in Loop: Header=BB4_1539 Depth=2
	v_cmp_ne_u16_sdwa vcc, v14, v53 src0_sel:BYTE_0 src1_sel:DWORD
	s_andn2_b64 s[26:27], s[26:27], exec
	s_and_b64 vcc, vcc, exec
	v_mov_b32_e32 v2, 0
	s_or_b64 s[26:27], s[26:27], vcc
	s_or_b64 exec, exec, s[28:29]
	s_and_saveexec_b64 s[28:29], s[26:27]
	s_cbranch_execnz .LBB4_1551
	s_branch .LBB4_1552
.LBB4_2197:                             ;   in Loop: Header=BB4_1539 Depth=2
	s_or_saveexec_b64 s[26:27], s[26:27]
	v_bfrev_b32_e32 v2, 1
	s_xor_b64 exec, exec, s[26:27]
	s_cbranch_execz .LBB4_1564
.LBB4_2198:                             ;   in Loop: Header=BB4_1539 Depth=2
	v_cmp_ne_u16_sdwa s[28:29], v14, v53 src0_sel:BYTE_0 src1_sel:DWORD
	s_andn2_b64 s[24:25], s[24:25], exec
	s_and_b64 s[28:29], s[28:29], exec
	v_mov_b32_e32 v2, 0
	s_or_b64 s[24:25], s[24:25], s[28:29]
	s_or_b64 exec, exec, s[26:27]
	s_and_saveexec_b64 s[26:27], s[24:25]
	s_cbranch_execnz .LBB4_1565
	s_branch .LBB4_1566
.LBB4_2199:                             ;   in Loop: Header=BB4_1539 Depth=2
	s_or_saveexec_b64 s[28:29], s[28:29]
	v_bfrev_b32_e32 v2, 1
	s_xor_b64 exec, exec, s[28:29]
	s_cbranch_execz .LBB4_1594
.LBB4_2200:                             ;   in Loop: Header=BB4_1539 Depth=2
	v_cmp_ne_u16_e32 vcc, 0, v52
	s_andn2_b64 s[26:27], s[26:27], exec
	s_and_b64 vcc, vcc, exec
	v_mov_b32_e32 v2, 0
	s_or_b64 s[26:27], s[26:27], vcc
	s_or_b64 exec, exec, s[28:29]
	s_and_saveexec_b64 s[28:29], s[26:27]
	s_cbranch_execnz .LBB4_1595
	s_branch .LBB4_1596
.LBB4_2201:                             ;   in Loop: Header=BB4_1539 Depth=2
	s_or_saveexec_b64 s[26:27], s[26:27]
	v_bfrev_b32_e32 v2, 1
	s_xor_b64 exec, exec, s[26:27]
	s_cbranch_execz .LBB4_1608
.LBB4_2202:                             ;   in Loop: Header=BB4_1539 Depth=2
	v_cmp_ne_u16_e32 vcc, 0, v52
	s_andn2_b64 s[24:25], s[24:25], exec
	s_and_b64 s[28:29], vcc, exec
	v_mov_b32_e32 v2, 0
	s_or_b64 s[24:25], s[24:25], s[28:29]
	s_or_b64 exec, exec, s[26:27]
	s_and_saveexec_b64 s[26:27], s[24:25]
	s_cbranch_execnz .LBB4_1609
	s_branch .LBB4_1610
.LBB4_2203:                             ;   in Loop: Header=BB4_1539 Depth=2
	s_or_saveexec_b64 s[28:29], s[28:29]
	v_bfrev_b32_e32 v2, 1
	s_xor_b64 exec, exec, s[28:29]
	s_cbranch_execz .LBB4_1638
.LBB4_2204:                             ;   in Loop: Header=BB4_1539 Depth=2
	v_cmp_ne_u16_sdwa vcc, v24, v53 src0_sel:BYTE_0 src1_sel:DWORD
	s_andn2_b64 s[26:27], s[26:27], exec
	s_and_b64 vcc, vcc, exec
	v_mov_b32_e32 v2, 0
	s_or_b64 s[26:27], s[26:27], vcc
	s_or_b64 exec, exec, s[28:29]
	s_and_saveexec_b64 s[28:29], s[26:27]
	s_cbranch_execnz .LBB4_1639
	s_branch .LBB4_1640
.LBB4_2205:                             ;   in Loop: Header=BB4_1539 Depth=2
	s_or_saveexec_b64 s[26:27], s[26:27]
	v_bfrev_b32_e32 v2, 1
	s_xor_b64 exec, exec, s[26:27]
	s_cbranch_execz .LBB4_1652
.LBB4_2206:                             ;   in Loop: Header=BB4_1539 Depth=2
	v_cmp_ne_u16_sdwa s[28:29], v24, v53 src0_sel:BYTE_0 src1_sel:DWORD
	s_andn2_b64 s[24:25], s[24:25], exec
	s_and_b64 s[28:29], s[28:29], exec
	v_mov_b32_e32 v2, 0
	s_or_b64 s[24:25], s[24:25], s[28:29]
	s_or_b64 exec, exec, s[26:27]
	s_and_saveexec_b64 s[26:27], s[24:25]
	s_cbranch_execnz .LBB4_1653
	s_branch .LBB4_1654
.LBB4_2207:                             ;   in Loop: Header=BB4_1539 Depth=2
	s_or_saveexec_b64 s[28:29], s[28:29]
	v_bfrev_b32_e32 v2, 1
	s_xor_b64 exec, exec, s[28:29]
	s_cbranch_execz .LBB4_1714
.LBB4_2208:                             ;   in Loop: Header=BB4_1539 Depth=2
	v_cmp_ne_u16_sdwa vcc, v15, v53 src0_sel:BYTE_0 src1_sel:DWORD
	s_andn2_b64 s[26:27], s[26:27], exec
	s_and_b64 vcc, vcc, exec
	v_mov_b32_e32 v2, 0
	s_or_b64 s[26:27], s[26:27], vcc
	s_or_b64 exec, exec, s[28:29]
	s_and_saveexec_b64 s[28:29], s[26:27]
	s_cbranch_execnz .LBB4_1715
	s_branch .LBB4_1716
.LBB4_2209:                             ;   in Loop: Header=BB4_1539 Depth=2
	s_or_saveexec_b64 s[26:27], s[26:27]
	v_bfrev_b32_e32 v2, 1
	s_xor_b64 exec, exec, s[26:27]
	s_cbranch_execz .LBB4_1728
.LBB4_2210:                             ;   in Loop: Header=BB4_1539 Depth=2
	v_cmp_ne_u16_sdwa s[28:29], v15, v53 src0_sel:BYTE_0 src1_sel:DWORD
	s_andn2_b64 s[24:25], s[24:25], exec
	s_and_b64 s[28:29], s[28:29], exec
	v_mov_b32_e32 v2, 0
	s_or_b64 s[24:25], s[24:25], s[28:29]
	s_or_b64 exec, exec, s[26:27]
	s_and_saveexec_b64 s[26:27], s[24:25]
	s_cbranch_execnz .LBB4_1729
	s_branch .LBB4_1730
.LBB4_2211:                             ;   in Loop: Header=BB4_1539 Depth=2
	s_or_saveexec_b64 s[28:29], s[28:29]
	v_bfrev_b32_e32 v2, 1
	s_xor_b64 exec, exec, s[28:29]
	s_cbranch_execz .LBB4_1758
.LBB4_2212:                             ;   in Loop: Header=BB4_1539 Depth=2
	v_cmp_ne_u16_e32 vcc, 0, v52
	s_andn2_b64 s[26:27], s[26:27], exec
	s_and_b64 vcc, vcc, exec
	v_mov_b32_e32 v2, 0
	s_or_b64 s[26:27], s[26:27], vcc
	s_or_b64 exec, exec, s[28:29]
	s_and_saveexec_b64 s[28:29], s[26:27]
	s_cbranch_execnz .LBB4_1759
	s_branch .LBB4_1760
.LBB4_2213:                             ;   in Loop: Header=BB4_1539 Depth=2
	s_or_saveexec_b64 s[26:27], s[26:27]
	v_bfrev_b32_e32 v2, 1
	s_xor_b64 exec, exec, s[26:27]
	s_cbranch_execz .LBB4_1772
.LBB4_2214:                             ;   in Loop: Header=BB4_1539 Depth=2
	v_cmp_ne_u16_e32 vcc, 0, v52
	s_andn2_b64 s[24:25], s[24:25], exec
	s_and_b64 s[28:29], vcc, exec
	v_mov_b32_e32 v2, 0
	s_or_b64 s[24:25], s[24:25], s[28:29]
	s_or_b64 exec, exec, s[26:27]
	s_and_saveexec_b64 s[26:27], s[24:25]
	s_cbranch_execnz .LBB4_1773
	s_branch .LBB4_1774
.LBB4_2215:                             ;   in Loop: Header=BB4_1539 Depth=2
	s_or_saveexec_b64 s[28:29], s[28:29]
	v_bfrev_b32_e32 v3, 1
	s_xor_b64 exec, exec, s[28:29]
	s_cbranch_execz .LBB4_1802
.LBB4_2216:                             ;   in Loop: Header=BB4_1539 Depth=2
	v_cmp_ne_u16_sdwa vcc, v24, v53 src0_sel:BYTE_0 src1_sel:DWORD
	s_andn2_b64 s[26:27], s[26:27], exec
	s_and_b64 vcc, vcc, exec
	v_mov_b32_e32 v3, 0
	s_or_b64 s[26:27], s[26:27], vcc
	s_or_b64 exec, exec, s[28:29]
	s_and_saveexec_b64 s[28:29], s[26:27]
	s_cbranch_execnz .LBB4_1803
	s_branch .LBB4_1804
.LBB4_2217:                             ;   in Loop: Header=BB4_1539 Depth=2
	s_or_saveexec_b64 s[26:27], s[26:27]
	v_bfrev_b32_e32 v3, 1
	s_xor_b64 exec, exec, s[26:27]
	s_cbranch_execz .LBB4_1816
.LBB4_2218:                             ;   in Loop: Header=BB4_1539 Depth=2
	v_cmp_ne_u16_sdwa s[28:29], v24, v53 src0_sel:BYTE_0 src1_sel:DWORD
	s_andn2_b64 s[24:25], s[24:25], exec
	s_and_b64 s[28:29], s[28:29], exec
	v_mov_b32_e32 v3, 0
	s_or_b64 s[24:25], s[24:25], s[28:29]
	s_or_b64 exec, exec, s[26:27]
	s_and_saveexec_b64 s[26:27], s[24:25]
	s_cbranch_execnz .LBB4_1817
	s_branch .LBB4_1818
.LBB4_2219:                             ;   in Loop: Header=BB4_1539 Depth=2
	s_or_saveexec_b64 s[28:29], s[28:29]
	v_bfrev_b32_e32 v10, 1
	s_xor_b64 exec, exec, s[28:29]
	s_cbranch_execz .LBB4_1878
.LBB4_2220:                             ;   in Loop: Header=BB4_1539 Depth=2
	v_cmp_ne_u16_sdwa vcc, v16, v53 src0_sel:BYTE_0 src1_sel:DWORD
	s_andn2_b64 s[26:27], s[26:27], exec
	s_and_b64 vcc, vcc, exec
	v_mov_b32_e32 v10, 0
	s_or_b64 s[26:27], s[26:27], vcc
	s_or_b64 exec, exec, s[28:29]
	s_and_saveexec_b64 s[28:29], s[26:27]
	s_cbranch_execnz .LBB4_1879
	s_branch .LBB4_1880
.LBB4_2221:                             ;   in Loop: Header=BB4_1539 Depth=2
	s_or_saveexec_b64 s[26:27], s[26:27]
	v_bfrev_b32_e32 v10, 1
	s_xor_b64 exec, exec, s[26:27]
	s_cbranch_execz .LBB4_1892
.LBB4_2222:                             ;   in Loop: Header=BB4_1539 Depth=2
	v_cmp_ne_u16_sdwa s[28:29], v16, v53 src0_sel:BYTE_0 src1_sel:DWORD
	s_andn2_b64 s[24:25], s[24:25], exec
	s_and_b64 s[28:29], s[28:29], exec
	v_mov_b32_e32 v10, 0
	s_or_b64 s[24:25], s[24:25], s[28:29]
	s_or_b64 exec, exec, s[26:27]
	s_and_saveexec_b64 s[26:27], s[24:25]
	s_cbranch_execnz .LBB4_1893
	s_branch .LBB4_1894
.LBB4_2223:                             ;   in Loop: Header=BB4_1539 Depth=2
	s_or_saveexec_b64 s[28:29], s[28:29]
	v_bfrev_b32_e32 v11, 1
	s_xor_b64 exec, exec, s[28:29]
	s_cbranch_execz .LBB4_1922
.LBB4_2224:                             ;   in Loop: Header=BB4_1539 Depth=2
	v_cmp_ne_u16_e32 vcc, 0, v52
	s_andn2_b64 s[26:27], s[26:27], exec
	s_and_b64 vcc, vcc, exec
	v_mov_b32_e32 v11, 0
	s_or_b64 s[26:27], s[26:27], vcc
	s_or_b64 exec, exec, s[28:29]
	s_and_saveexec_b64 s[28:29], s[26:27]
	s_cbranch_execnz .LBB4_1923
	s_branch .LBB4_1924
.LBB4_2225:                             ;   in Loop: Header=BB4_1539 Depth=2
	s_or_saveexec_b64 s[26:27], s[26:27]
	v_bfrev_b32_e32 v10, 1
	s_xor_b64 exec, exec, s[26:27]
	s_cbranch_execz .LBB4_1936
.LBB4_2226:                             ;   in Loop: Header=BB4_1539 Depth=2
	v_cmp_ne_u16_e32 vcc, 0, v52
	s_andn2_b64 s[24:25], s[24:25], exec
	s_and_b64 s[28:29], vcc, exec
	v_mov_b32_e32 v10, 0
	s_or_b64 s[24:25], s[24:25], s[28:29]
	s_or_b64 exec, exec, s[26:27]
	s_and_saveexec_b64 s[26:27], s[24:25]
	s_cbranch_execnz .LBB4_1937
	s_branch .LBB4_1938
.LBB4_2227:                             ;   in Loop: Header=BB4_1539 Depth=2
	s_or_saveexec_b64 s[28:29], s[28:29]
	v_bfrev_b32_e32 v14, 1
	s_xor_b64 exec, exec, s[28:29]
	s_cbranch_execz .LBB4_1966
.LBB4_2228:                             ;   in Loop: Header=BB4_1539 Depth=2
	v_cmp_ne_u16_sdwa vcc, v10, v53 src0_sel:BYTE_0 src1_sel:DWORD
	s_andn2_b64 s[26:27], s[26:27], exec
	s_and_b64 vcc, vcc, exec
	v_mov_b32_e32 v14, 0
	s_or_b64 s[26:27], s[26:27], vcc
	s_or_b64 exec, exec, s[28:29]
	s_and_saveexec_b64 s[28:29], s[26:27]
	s_cbranch_execnz .LBB4_1967
	s_branch .LBB4_1968
.LBB4_2229:                             ;   in Loop: Header=BB4_1539 Depth=2
	s_or_saveexec_b64 s[26:27], s[26:27]
	v_bfrev_b32_e32 v11, 1
	s_xor_b64 exec, exec, s[26:27]
	s_cbranch_execz .LBB4_1980
.LBB4_2230:                             ;   in Loop: Header=BB4_1539 Depth=2
	v_cmp_ne_u16_sdwa s[28:29], v10, v53 src0_sel:BYTE_0 src1_sel:DWORD
	s_andn2_b64 s[24:25], s[24:25], exec
	s_and_b64 s[28:29], s[28:29], exec
	v_mov_b32_e32 v11, 0
	s_or_b64 s[24:25], s[24:25], s[28:29]
	s_or_b64 exec, exec, s[26:27]
	s_and_saveexec_b64 s[26:27], s[24:25]
	s_cbranch_execnz .LBB4_1981
	s_branch .LBB4_1982
.LBB4_2231:                             ;   in Loop: Header=BB4_1539 Depth=2
	s_or_saveexec_b64 s[28:29], s[28:29]
	v_bfrev_b32_e32 v11, 1
	s_xor_b64 exec, exec, s[28:29]
	s_cbranch_execz .LBB4_2042
.LBB4_2232:                             ;   in Loop: Header=BB4_1539 Depth=2
	v_cmp_ne_u16_sdwa vcc, v17, v53 src0_sel:BYTE_0 src1_sel:DWORD
	s_andn2_b64 s[26:27], s[26:27], exec
	s_and_b64 vcc, vcc, exec
	v_mov_b32_e32 v11, 0
	s_or_b64 s[26:27], s[26:27], vcc
	s_or_b64 exec, exec, s[28:29]
	s_and_saveexec_b64 s[28:29], s[26:27]
	s_cbranch_execnz .LBB4_2043
	s_branch .LBB4_2044
.LBB4_2233:                             ;   in Loop: Header=BB4_1539 Depth=2
	s_or_saveexec_b64 s[26:27], s[26:27]
	v_bfrev_b32_e32 v11, 1
	s_xor_b64 exec, exec, s[26:27]
	s_cbranch_execz .LBB4_2056
.LBB4_2234:                             ;   in Loop: Header=BB4_1539 Depth=2
	v_cmp_ne_u16_sdwa s[28:29], v17, v53 src0_sel:BYTE_0 src1_sel:DWORD
	s_andn2_b64 s[24:25], s[24:25], exec
	s_and_b64 s[28:29], s[28:29], exec
	v_mov_b32_e32 v11, 0
	s_or_b64 s[24:25], s[24:25], s[28:29]
	s_or_b64 exec, exec, s[26:27]
	s_and_saveexec_b64 s[26:27], s[24:25]
	s_cbranch_execnz .LBB4_2057
	s_branch .LBB4_2058
.LBB4_2235:                             ;   in Loop: Header=BB4_1539 Depth=2
	s_or_saveexec_b64 s[28:29], s[28:29]
	v_bfrev_b32_e32 v11, 1
	s_xor_b64 exec, exec, s[28:29]
	s_cbranch_execz .LBB4_2086
.LBB4_2236:                             ;   in Loop: Header=BB4_1539 Depth=2
	v_cmp_ne_u16_e32 vcc, 0, v10
	s_andn2_b64 s[26:27], s[26:27], exec
	s_and_b64 vcc, vcc, exec
	v_mov_b32_e32 v11, 0
	s_or_b64 s[26:27], s[26:27], vcc
	s_or_b64 exec, exec, s[28:29]
	s_and_saveexec_b64 s[28:29], s[26:27]
	s_cbranch_execnz .LBB4_2087
	s_branch .LBB4_2088
.LBB4_2237:                             ;   in Loop: Header=BB4_1539 Depth=2
	s_or_saveexec_b64 s[26:27], s[26:27]
	v_bfrev_b32_e32 v11, 1
	s_xor_b64 exec, exec, s[26:27]
	s_cbranch_execz .LBB4_2100
.LBB4_2238:                             ;   in Loop: Header=BB4_1539 Depth=2
	v_cmp_ne_u16_e32 vcc, 0, v10
	s_andn2_b64 s[24:25], s[24:25], exec
	s_and_b64 s[28:29], vcc, exec
	v_mov_b32_e32 v11, 0
	s_or_b64 s[24:25], s[24:25], s[28:29]
	s_or_b64 exec, exec, s[26:27]
	s_and_saveexec_b64 s[26:27], s[24:25]
	s_cbranch_execnz .LBB4_2101
	s_branch .LBB4_2102
.LBB4_2239:                             ;   in Loop: Header=BB4_1539 Depth=2
	s_or_saveexec_b64 s[28:29], s[28:29]
	v_bfrev_b32_e32 v48, 1
	s_xor_b64 exec, exec, s[28:29]
	s_cbranch_execz .LBB4_2130
.LBB4_2240:                             ;   in Loop: Header=BB4_1539 Depth=2
	v_cmp_ne_u16_sdwa vcc, v10, v53 src0_sel:BYTE_0 src1_sel:DWORD
	s_andn2_b64 s[26:27], s[26:27], exec
	s_and_b64 vcc, vcc, exec
	v_mov_b32_e32 v48, 0
	s_or_b64 s[26:27], s[26:27], vcc
	s_or_b64 exec, exec, s[28:29]
	s_and_saveexec_b64 s[28:29], s[26:27]
	s_cbranch_execnz .LBB4_2131
	s_branch .LBB4_2132
.LBB4_2241:                             ;   in Loop: Header=BB4_1539 Depth=2
	s_or_saveexec_b64 s[26:27], s[26:27]
	v_bfrev_b32_e32 v11, 1
	s_xor_b64 exec, exec, s[26:27]
	s_cbranch_execz .LBB4_2144
.LBB4_2242:                             ;   in Loop: Header=BB4_1539 Depth=2
	v_cmp_ne_u16_sdwa s[28:29], v10, v53 src0_sel:BYTE_0 src1_sel:DWORD
	s_andn2_b64 s[24:25], s[24:25], exec
	s_and_b64 s[28:29], s[28:29], exec
	v_mov_b32_e32 v11, 0
	s_or_b64 s[24:25], s[24:25], s[28:29]
	s_or_b64 exec, exec, s[26:27]
	s_and_saveexec_b64 s[26:27], s[24:25]
	s_cbranch_execnz .LBB4_2145
	s_branch .LBB4_2146
.LBB4_2243:                             ;   in Loop: Header=BB4_49 Depth=1
	s_or_b64 exec, exec, s[30:31]
.LBB4_2244:                             ;   in Loop: Header=BB4_49 Depth=1
	s_or_b64 exec, exec, s[94:95]
	buffer_load_dword v2, off, s[0:3], s33 offset:144 ; 4-byte Folded Reload
	v_cmp_lt_i32_e32 vcc, 0, v29
	s_waitcnt vmcnt(0)
	v_and_b32_e32 v0, 15, v2
	v_cndmask_b32_e64 v5, v27, v0, s[20:21]
	buffer_load_dword v0, off, s[0:3], s33 offset:76 ; 4-byte Folded Reload
	v_and_b32_e32 v1, 0x3f0, v2
	v_cndmask_b32_e64 v1, 0, v1, s[20:21]
	v_and_or_b32 v4, v2, s66, v1
	s_waitcnt vmcnt(0)
	v_cndmask_b32_e32 v0, 0, v0, vcc
	v_sub_u32_e32 v0, v0, v29
	v_cmp_ne_u32_e32 vcc, 0, v5
	v_lshl_add_u32 v2, v0, 6, v26
	s_and_b64 s[20:21], vcc, exec
.LBB4_2245:                             ;   in Loop: Header=BB4_49 Depth=1
	s_or_b64 exec, exec, s[92:93]
	buffer_load_dword v40, off, s[0:3], s33 offset:172 ; 4-byte Folded Reload
	buffer_load_dword v41, off, s[0:3], s33 offset:176 ; 4-byte Folded Reload
	v_mov_b32_e32 v23, 0xc8
	v_mov_b32_e32 v24, 0x90
	s_and_saveexec_b64 s[26:27], s[20:21]
	s_cbranch_execz .LBB4_3070
.LBB4_2246:                             ;   in Loop: Header=BB4_49 Depth=1
	s_waitcnt vmcnt(1)
	v_ashrrev_i32_e32 v0, 31, v2
	v_lshrrev_b32_e32 v0, 26, v0
	v_add_u32_e32 v0, v2, v0
	v_ashrrev_i32_e32 v3, 6, v0
	v_lshrrev_b32_e32 v1, 10, v5
	v_sub_u32_e32 v22, v1, v3
	v_cmp_lt_i32_e32 vcc, 0, v22
	s_and_saveexec_b64 s[24:25], vcc
	s_cbranch_execz .LBB4_3018
; %bb.2247:                             ;   in Loop: Header=BB4_49 Depth=1
	v_and_b32_e32 v0, 0xffffffc0, v0
	v_sub_u32_e32 v0, v2, v0
	v_lshlrev_b32_e32 v1, 10, v3
	buffer_store_dword v2, off, s[0:3], s33 offset:88 ; 4-byte Folded Spill
	buffer_store_dword v3, off, s[0:3], s33 offset:212 ; 4-byte Folded Spill
	v_add3_u32 v2, v4, v0, v1
	s_trap 2
	ds_read_b64 v[0:1], v0
	buffer_load_dword v10, off, s[0:3], s33 offset:164 ; 4-byte Folded Reload
	buffer_load_dword v11, off, s[0:3], s33 offset:168 ; 4-byte Folded Reload
	v_ashrrev_i32_e32 v3, 31, v2
	s_bitcmp1_b32 s67, 0
	s_cselect_b64 s[28:29], -1, 0
	s_mov_b64 s[92:93], 0
	s_waitcnt vmcnt(1)
	v_add_co_u32_e32 v10, vcc, v2, v10
	s_waitcnt vmcnt(0)
	v_addc_co_u32_e32 v11, vcc, v3, v11, vcc
	s_waitcnt lgkmcnt(0)
	v_add_co_u32_e32 v12, vcc, v0, v2
	v_addc_co_u32_e32 v13, vcc, v1, v3, vcc
	v_add_co_u32_e32 v0, vcc, 0x3c0, v59
	v_addc_co_u32_e32 v1, vcc, 0, v60, vcc
	;; [unrolled: 2-line block ×3, first 2 shown]
	s_branch .LBB4_2249
.LBB4_2248:                             ;   in Loop: Header=BB4_2249 Depth=2
	s_or_b64 exec, exec, s[20:21]
	v_add_co_u32_e32 v16, vcc, 0xfffffc40, v14
	v_addc_co_u32_e32 v17, vcc, -1, v15, vcc
	flat_store_byte v[16:17], v25 glc slc
	v_add_co_u32_e32 v16, vcc, 0xfffffc80, v14
	v_addc_co_u32_e32 v17, vcc, -1, v15, vcc
	flat_store_byte v[16:17], v29 glc slc
	;; [unrolled: 3-line block ×15, first 2 shown]
	flat_store_byte v[14:15], v2 glc slc
	buffer_load_dword v1, off, s[0:3], s33 offset:100 ; 4-byte Folded Reload
	s_nop 0
	buffer_load_dword v0, off, s[0:3], s33 offset:76 ; 4-byte Folded Reload
	s_waitcnt vmcnt(0)
	v_add_co_u32_e32 v10, vcc, v10, v1
	v_addc_co_u32_e32 v11, vcc, 0, v11, vcc
	v_add_co_u32_e32 v12, vcc, v12, v1
	v_addc_co_u32_e32 v13, vcc, 0, v13, vcc
	v_sub_u32_e32 v22, v22, v0
	v_cmp_gt_i32_e32 vcc, 1, v22
	s_or_b64 s[92:93], vcc, s[92:93]
	v_add_co_u32_e32 v14, vcc, v14, v1
	v_addc_co_u32_e32 v15, vcc, 0, v15, vcc
	s_andn2_b64 exec, exec, s[92:93]
	s_cbranch_execz .LBB4_3017
.LBB4_2249:                             ;   Parent Loop BB4_49 Depth=1
                                        ; =>  This Inner Loop Header: Depth=2
	flat_load_ubyte v3, v[10:11] glc slc
	flat_load_ubyte v19, v[10:11] offset:64 glc slc
	flat_load_ubyte v20, v[10:11] offset:128 glc slc
	;; [unrolled: 1-line block ×15, first 2 shown]
	flat_load_ubyte v2, v[12:13] glc slc
	flat_load_ubyte v29, v[12:13] offset:64 glc slc
	flat_load_ubyte v34, v[12:13] offset:128 glc slc
	;; [unrolled: 1-line block ×15, first 2 shown]
	s_mov_b64 s[22:23], -1
	s_and_b64 vcc, exec, s[28:29]
                                        ; implicit-def: $vgpr16
	s_waitcnt vmcnt(0) lgkmcnt(0)
	v_cmp_ne_u16_e64 s[20:21], 0, v3
	s_cbranch_vccz .LBB4_2263
; %bb.2250:                             ;   in Loop: Header=BB4_2249 Depth=2
	v_mov_b32_e32 v17, 0
	v_mov_b32_e32 v25, 0
	s_and_saveexec_b64 s[22:23], s[20:21]
	s_cbranch_execz .LBB4_2256
; %bb.2251:                             ;   in Loop: Header=BB4_2249 Depth=2
	v_cmp_ne_u16_e32 vcc, s53, v3
	v_bfrev_b32_e32 v25, 1
	s_and_saveexec_b64 s[94:95], vcc
	s_cbranch_execz .LBB4_2255
; %bb.2252:                             ;   in Loop: Header=BB4_2249 Depth=2
	v_and_b32_e32 v16, 0xffff, v3
	v_and_b32_e32 v48, 0x7f, v16
	v_cmp_ne_u32_e32 vcc, s54, v48
	v_mov_b32_e32 v25, 0x7f800001
	s_and_saveexec_b64 s[30:31], vcc
	s_cbranch_execz .LBB4_2254
; %bb.2253:                             ;   in Loop: Header=BB4_2249 Depth=2
	v_and_b32_e32 v25, 7, v16
	v_ffbh_u32_e32 v36, v25
	v_lshrrev_b32_e32 v49, 3, v48
	v_cmp_gt_u32_e32 vcc, 8, v48
	v_min_u32_e32 v48, 32, v36
	v_subrev_u32_e32 v36, 28, v48
	v_lshlrev_b64 v[36:37], v36, v[16:17]
	v_sub_u32_e32 v16, 29, v48
	v_and_b32_e32 v36, 7, v36
	v_cndmask_b32_e32 v16, v49, v16, vcc
	v_cndmask_b32_e32 v25, v25, v36, vcc
	v_lshlrev_b32_e32 v36, 24, v3
	v_lshlrev_b32_e32 v25, 20, v25
	v_and_b32_e32 v36, 0x80000000, v36
	v_lshl_add_u32 v16, v16, 23, v43
	v_mov_b32_e32 v49, 0xffffff82
	v_or3_b32 v25, v36, v16, v25
.LBB4_2254:                             ;   in Loop: Header=BB4_2249 Depth=2
	s_or_b64 exec, exec, s[30:31]
.LBB4_2255:                             ;   in Loop: Header=BB4_2249 Depth=2
	s_or_b64 exec, exec, s[94:95]
.LBB4_2256:                             ;   in Loop: Header=BB4_2249 Depth=2
	s_or_b64 exec, exec, s[22:23]
	v_and_b32_e32 v16, 0xff, v2
	v_cmp_ne_u16_e32 vcc, 0, v16
	s_and_saveexec_b64 s[22:23], vcc
	s_cbranch_execz .LBB4_2262
; %bb.2257:                             ;   in Loop: Header=BB4_2249 Depth=2
	v_cmp_ne_u16_e32 vcc, s53, v16
	v_bfrev_b32_e32 v17, 1
	s_and_saveexec_b64 s[94:95], vcc
	s_cbranch_execz .LBB4_2261
; %bb.2258:                             ;   in Loop: Header=BB4_2249 Depth=2
	v_and_b32_e32 v48, 0x7f, v2
	v_cmp_ne_u32_e32 vcc, s54, v48
	v_mov_b32_e32 v17, 0x7f800001
	s_and_saveexec_b64 s[30:31], vcc
	s_cbranch_execz .LBB4_2260
; %bb.2259:                             ;   in Loop: Header=BB4_2249 Depth=2
	v_and_b32_e32 v36, 7, v16
	v_ffbh_u32_e32 v17, v36
	v_lshrrev_b32_e32 v37, 3, v48
	v_cmp_gt_u32_e32 vcc, 8, v48
	v_min_u32_e32 v48, 32, v17
	v_subrev_u32_e32 v17, 28, v48
	v_lshlrev_b64 v[16:17], v17, v[16:17]
	v_sub_u32_e32 v17, 29, v48
	v_and_b32_e32 v16, 7, v16
	v_cndmask_b32_e32 v17, v37, v17, vcc
	v_cndmask_b32_e32 v16, v36, v16, vcc
	v_lshlrev_b32_e32 v36, 24, v2
	v_lshlrev_b32_e32 v16, 20, v16
	v_and_b32_e32 v36, 0x80000000, v36
	v_lshl_add_u32 v17, v17, 23, v43
	v_or3_b32 v17, v36, v17, v16
.LBB4_2260:                             ;   in Loop: Header=BB4_2249 Depth=2
	s_or_b64 exec, exec, s[30:31]
.LBB4_2261:                             ;   in Loop: Header=BB4_2249 Depth=2
	s_or_b64 exec, exec, s[94:95]
.LBB4_2262:                             ;   in Loop: Header=BB4_2249 Depth=2
	s_or_b64 exec, exec, s[22:23]
	v_max_f32_e32 v16, v17, v17
	v_max_f32_e32 v17, v25, v25
	;; [unrolled: 1-line block ×3, first 2 shown]
	s_mov_b64 s[22:23], 0
.LBB4_2263:                             ;   in Loop: Header=BB4_2249 Depth=2
	s_and_b64 vcc, exec, s[22:23]
	s_cbranch_vccz .LBB4_2277
; %bb.2264:                             ;   in Loop: Header=BB4_2249 Depth=2
	v_mov_b32_e32 v17, 0
	v_mov_b32_e32 v25, 0
	s_and_saveexec_b64 s[22:23], s[20:21]
	s_cbranch_execz .LBB4_2270
; %bb.2265:                             ;   in Loop: Header=BB4_2249 Depth=2
	v_cmp_ne_u16_e32 vcc, s53, v3
	v_bfrev_b32_e32 v25, 1
	s_and_saveexec_b64 s[20:21], vcc
	s_cbranch_execz .LBB4_2269
; %bb.2266:                             ;   in Loop: Header=BB4_2249 Depth=2
	v_and_b32_e32 v16, 0xffff, v3
	v_and_b32_e32 v48, 0x7f, v16
	v_cmp_ne_u32_e32 vcc, s54, v48
	v_mov_b32_e32 v25, 0x7f800001
	s_and_saveexec_b64 s[94:95], vcc
	s_cbranch_execz .LBB4_2268
; %bb.2267:                             ;   in Loop: Header=BB4_2249 Depth=2
	v_and_b32_e32 v25, 7, v16
	v_ffbh_u32_e32 v36, v25
	v_lshrrev_b32_e32 v49, 3, v48
	v_cmp_gt_u32_e32 vcc, 8, v48
	v_min_u32_e32 v48, 32, v36
	v_subrev_u32_e32 v36, 28, v48
	v_lshlrev_b64 v[36:37], v36, v[16:17]
	v_sub_u32_e32 v16, 29, v48
	v_and_b32_e32 v36, 7, v36
	v_cndmask_b32_e32 v16, v49, v16, vcc
	v_cndmask_b32_e32 v25, v25, v36, vcc
	v_lshlrev_b32_e32 v3, 24, v3
	v_lshlrev_b32_e32 v25, 20, v25
	v_and_b32_e32 v3, 0x80000000, v3
	v_lshl_add_u32 v16, v16, 23, v43
	v_mov_b32_e32 v49, 0xffffff82
	v_or3_b32 v25, v3, v16, v25
.LBB4_2268:                             ;   in Loop: Header=BB4_2249 Depth=2
	s_or_b64 exec, exec, s[94:95]
.LBB4_2269:                             ;   in Loop: Header=BB4_2249 Depth=2
	s_or_b64 exec, exec, s[20:21]
.LBB4_2270:                             ;   in Loop: Header=BB4_2249 Depth=2
	s_or_b64 exec, exec, s[22:23]
	v_and_b32_e32 v16, 0xff, v2
	v_cmp_ne_u16_e32 vcc, 0, v16
	s_and_saveexec_b64 s[20:21], vcc
	s_cbranch_execz .LBB4_2276
; %bb.2271:                             ;   in Loop: Header=BB4_2249 Depth=2
	v_cmp_ne_u16_e32 vcc, s53, v16
	v_bfrev_b32_e32 v17, 1
	s_and_saveexec_b64 s[22:23], vcc
	s_cbranch_execz .LBB4_2275
; %bb.2272:                             ;   in Loop: Header=BB4_2249 Depth=2
	v_and_b32_e32 v3, 0x7f, v2
	v_cmp_ne_u32_e32 vcc, s54, v3
	v_mov_b32_e32 v17, 0x7f800001
	s_and_saveexec_b64 s[94:95], vcc
	s_cbranch_execz .LBB4_2274
; %bb.2273:                             ;   in Loop: Header=BB4_2249 Depth=2
	v_and_b32_e32 v36, 7, v16
	v_lshrrev_b32_e32 v37, 3, v3
	v_cmp_gt_u32_e32 vcc, 8, v3
	v_ffbh_u32_e32 v3, v36
	v_min_u32_e32 v3, 32, v3
	v_subrev_u32_e32 v17, 28, v3
	v_lshlrev_b64 v[16:17], v17, v[16:17]
	v_sub_u32_e32 v3, 29, v3
	v_and_b32_e32 v16, 7, v16
	v_cndmask_b32_e32 v3, v37, v3, vcc
	v_cndmask_b32_e32 v16, v36, v16, vcc
	v_lshlrev_b32_e32 v2, 24, v2
	v_lshlrev_b32_e32 v16, 20, v16
	v_and_b32_e32 v2, 0x80000000, v2
	v_lshl_add_u32 v3, v3, 23, v43
	v_or3_b32 v17, v2, v3, v16
.LBB4_2274:                             ;   in Loop: Header=BB4_2249 Depth=2
	s_or_b64 exec, exec, s[94:95]
.LBB4_2275:                             ;   in Loop: Header=BB4_2249 Depth=2
	s_or_b64 exec, exec, s[22:23]
.LBB4_2276:                             ;   in Loop: Header=BB4_2249 Depth=2
	s_or_b64 exec, exec, s[20:21]
	v_max_f32_e32 v2, v17, v17
	v_max_f32_e32 v3, v25, v25
	v_min_f32_e32 v16, v3, v2
.LBB4_2277:                             ;   in Loop: Header=BB4_2249 Depth=2
	v_and_b32_e32 v52, 0x7f800000, v16
	v_cmp_ne_u64_e32 vcc, s[72:73], v[52:53]
                                        ; implicit-def: $vgpr25
	s_and_saveexec_b64 s[20:21], vcc
	s_xor_b64 s[22:23], exec, s[20:21]
	s_cbranch_execz .LBB4_2295
; %bb.2278:                             ;   in Loop: Header=BB4_2249 Depth=2
	v_and_b32_e32 v52, 0x7fffffff, v16
	v_cmp_gt_u64_e32 vcc, s[74:75], v[52:53]
	v_and_b32_sdwa v40, v16, s53 dst_sel:DWORD dst_unused:UNUSED_PAD src0_sel:BYTE_3 src1_sel:DWORD
                                        ; implicit-def: $vgpr25
	s_and_saveexec_b64 s[20:21], vcc
	s_xor_b64 s[94:95], exec, s[20:21]
	s_cbranch_execz .LBB4_2292
; %bb.2279:                             ;   in Loop: Header=BB4_2249 Depth=2
	v_cmp_ne_u32_e32 vcc, 0, v16
	v_mov_b32_e32 v25, 0
	s_and_saveexec_b64 s[30:31], vcc
	s_cbranch_execz .LBB4_2291
; %bb.2280:                             ;   in Loop: Header=BB4_2249 Depth=2
	v_bfe_u32 v25, v16, 23, 8
	v_cmp_gt_u32_e64 s[20:21], s64, v25
	v_sub_u32_e32 v3, 0x79, v25
	v_and_b32_e32 v2, 0x7fffff, v16
	v_cmp_eq_u32_e32 vcc, 0, v25
	v_cndmask_b32_e64 v3, 0, v3, s[20:21]
	v_mov_b32_e32 v17, 0x78
	v_or_b32_e32 v16, 0x800000, v2
	v_cndmask_b32_e32 v48, v3, v17, vcc
	v_cndmask_b32_e32 v52, v16, v2, vcc
	v_add_u32_e32 v2, 20, v48
	v_lshlrev_b64 v[2:3], v2, -1
	v_add_u32_e32 v16, 19, v48
	v_lshlrev_b64 v[16:17], v16, 1
	v_bfi_b32 v3, v3, 0, 0
	v_bfi_b32 v2, v2, 0, v52
	v_cmp_eq_u64_e64 s[20:21], v[2:3], v[16:17]
	v_lshrrev_b64 v[16:17], v48, v[52:53]
	v_mov_b32_e32 v2, v16
	v_mov_b32_e32 v3, v17
	s_and_saveexec_b64 s[34:35], s[20:21]
; %bb.2281:                             ;   in Loop: Header=BB4_2249 Depth=2
	v_bfe_u32 v2, v16, 20, 1
	v_add_co_u32_e64 v2, s[20:21], v16, v2
	v_add_co_u32_e64 v2, s[20:21], -1, v2
; %bb.2282:                             ;   in Loop: Header=BB4_2249 Depth=2
	s_or_b64 exec, exec, s[34:35]
	v_add_u32_e32 v3, 0xffffff81, v25
	v_cndmask_b32_e32 v3, v3, v49, vcc
	v_lshrrev_b32_e32 v17, 23, v16
	v_add3_u32 v25, v48, v3, v17
	v_add_u32_e32 v3, 6, v25
	v_and_b32_e32 v2, 0xfffff, v2
	v_add_u32_e32 v52, v2, v16
	v_cmp_ne_u32_e32 vcc, 0, v3
                                        ; implicit-def: $vgpr16_vgpr17
                                        ; implicit-def: $vgpr2
	s_and_saveexec_b64 s[20:21], vcc
	s_xor_b64 s[20:21], exec, s[20:21]
; %bb.2283:                             ;   in Loop: Header=BB4_2249 Depth=2
	v_cmp_lt_u64_e32 vcc, s[76:77], v[52:53]
	v_add_u32_e32 v2, 7, v25
	v_cndmask_b32_e32 v2, v3, v2, vcc
	v_cndmask_b32_e64 v3, 0, 1, vcc
	v_lshrrev_b64 v[16:17], v3, v[52:53]
; %bb.2284:                             ;   in Loop: Header=BB4_2249 Depth=2
	s_andn2_saveexec_b64 s[20:21], s[20:21]
; %bb.2285:                             ;   in Loop: Header=BB4_2249 Depth=2
	v_mov_b32_e32 v16, v52
	v_bfe_u32 v2, v52, 23, 1
	v_mov_b32_e32 v17, v53
; %bb.2286:                             ;   in Loop: Header=BB4_2249 Depth=2
	s_or_b64 exec, exec, s[20:21]
	v_lshrrev_b64 v[16:17], 20, v[16:17]
	v_cmp_gt_i32_e32 vcc, 16, v2
	v_cndmask_b32_e32 v17, 0, v17, vcc
	v_cndmask_b32_e32 v16, 7, v16, vcc
	v_cmp_ne_u64_e32 vcc, 0, v[16:17]
	v_cmp_ne_u32_e64 s[20:21], 0, v2
	s_or_b64 s[20:21], s[20:21], vcc
                                        ; implicit-def: $vgpr25
	s_and_saveexec_b64 vcc, s[20:21]
	s_xor_b64 s[20:21], exec, vcc
; %bb.2287:                             ;   in Loop: Header=BB4_2249 Depth=2
	v_min_i32_e32 v2, 15, v2
	v_lshl_or_b32 v2, v2, 3, v40
	v_and_or_b32 v25, v16, 7, v2
                                        ; implicit-def: $vgpr40
; %bb.2288:                             ;   in Loop: Header=BB4_2249 Depth=2
	s_andn2_saveexec_b64 s[20:21], s[20:21]
; %bb.2289:                             ;   in Loop: Header=BB4_2249 Depth=2
	v_mov_b32_e32 v25, v40
; %bb.2290:                             ;   in Loop: Header=BB4_2249 Depth=2
	s_or_b64 exec, exec, s[20:21]
.LBB4_2291:                             ;   in Loop: Header=BB4_2249 Depth=2
	s_or_b64 exec, exec, s[30:31]
                                        ; implicit-def: $vgpr40
.LBB4_2292:                             ;   in Loop: Header=BB4_2249 Depth=2
	s_andn2_saveexec_b64 s[20:21], s[94:95]
; %bb.2293:                             ;   in Loop: Header=BB4_2249 Depth=2
	v_or_b32_e32 v25, 0x7e, v40
; %bb.2294:                             ;   in Loop: Header=BB4_2249 Depth=2
	s_or_b64 exec, exec, s[20:21]
                                        ; implicit-def: $vgpr16
.LBB4_2295:                             ;   in Loop: Header=BB4_2249 Depth=2
	s_andn2_saveexec_b64 s[20:21], s[22:23]
; %bb.2296:                             ;   in Loop: Header=BB4_2249 Depth=2
	v_or_b32_sdwa v25, v16, s54 dst_sel:DWORD dst_unused:UNUSED_PAD src0_sel:BYTE_3 src1_sel:DWORD
; %bb.2297:                             ;   in Loop: Header=BB4_2249 Depth=2
	s_or_b64 exec, exec, s[20:21]
	v_and_b32_e32 v16, 0xff, v19
	v_cndmask_b32_e64 v2, 0, 1, s[28:29]
	v_cmp_ne_u16_e64 s[22:23], 0, v16
	v_cmp_ne_u32_e64 s[20:21], 1, v2
	s_andn2_b64 vcc, exec, s[28:29]
	s_mov_b64 s[94:95], -1
                                        ; implicit-def: $vgpr2
	s_cbranch_vccnz .LBB4_2311
; %bb.2298:                             ;   in Loop: Header=BB4_2249 Depth=2
	v_mov_b32_e32 v3, 0
	v_mov_b32_e32 v2, 0
	s_and_saveexec_b64 s[94:95], s[22:23]
	s_cbranch_execz .LBB4_2304
; %bb.2299:                             ;   in Loop: Header=BB4_2249 Depth=2
	v_cmp_ne_u16_e32 vcc, s53, v16
	v_bfrev_b32_e32 v2, 1
	s_and_saveexec_b64 s[30:31], vcc
	s_cbranch_execz .LBB4_2303
; %bb.2300:                             ;   in Loop: Header=BB4_2249 Depth=2
	v_and_b32_e32 v17, 0x7f, v19
	v_cmp_ne_u32_e32 vcc, s54, v17
	v_mov_b32_e32 v2, 0x7f800001
	s_and_saveexec_b64 s[34:35], vcc
	s_cbranch_execz .LBB4_2302
; %bb.2301:                             ;   in Loop: Header=BB4_2249 Depth=2
	v_and_b32_e32 v2, 7, v16
	v_lshrrev_b32_e32 v48, 3, v17
	v_cmp_gt_u32_e32 vcc, 8, v17
	v_ffbh_u32_e32 v17, v2
	v_min_u32_e32 v17, 32, v17
	v_subrev_u32_e32 v36, 28, v17
	v_lshlrev_b64 v[36:37], v36, v[16:17]
	v_sub_u32_e32 v17, 29, v17
	v_and_b32_e32 v36, 7, v36
	v_cndmask_b32_e32 v17, v48, v17, vcc
	v_cndmask_b32_e32 v2, v2, v36, vcc
	v_lshlrev_b32_e32 v36, 24, v19
	v_lshlrev_b32_e32 v2, 20, v2
	v_and_b32_e32 v36, 0x80000000, v36
	v_lshl_add_u32 v17, v17, 23, v43
	v_or3_b32 v2, v36, v17, v2
.LBB4_2302:                             ;   in Loop: Header=BB4_2249 Depth=2
	s_or_b64 exec, exec, s[34:35]
.LBB4_2303:                             ;   in Loop: Header=BB4_2249 Depth=2
	s_or_b64 exec, exec, s[30:31]
.LBB4_2304:                             ;   in Loop: Header=BB4_2249 Depth=2
	s_or_b64 exec, exec, s[94:95]
	v_and_b32_e32 v17, 0xff, v29
	v_cmp_ne_u16_e32 vcc, 0, v17
	s_and_saveexec_b64 s[94:95], vcc
	s_cbranch_execz .LBB4_2310
; %bb.2305:                             ;   in Loop: Header=BB4_2249 Depth=2
	v_cmp_ne_u16_e32 vcc, s53, v17
	v_bfrev_b32_e32 v3, 1
	s_and_saveexec_b64 s[30:31], vcc
	s_cbranch_execz .LBB4_2309
; %bb.2306:                             ;   in Loop: Header=BB4_2249 Depth=2
	v_and_b32_e32 v48, 0x7f, v29
	v_cmp_ne_u32_e32 vcc, s54, v48
	v_mov_b32_e32 v3, 0x7f800001
	s_and_saveexec_b64 s[34:35], vcc
	s_cbranch_execz .LBB4_2308
; %bb.2307:                             ;   in Loop: Header=BB4_2249 Depth=2
	v_and_b32_e32 v3, 7, v17
	v_ffbh_u32_e32 v36, v3
	v_lshrrev_b32_e32 v49, 3, v48
	v_cmp_gt_u32_e32 vcc, 8, v48
	v_min_u32_e32 v48, 32, v36
	v_subrev_u32_e32 v36, 28, v48
	v_lshlrev_b64 v[36:37], v36, v[17:18]
	v_sub_u32_e32 v17, 29, v48
	v_and_b32_e32 v36, 7, v36
	v_cndmask_b32_e32 v17, v49, v17, vcc
	v_cndmask_b32_e32 v3, v3, v36, vcc
	v_lshlrev_b32_e32 v36, 24, v29
	v_lshlrev_b32_e32 v3, 20, v3
	v_and_b32_e32 v36, 0x80000000, v36
	v_lshl_add_u32 v17, v17, 23, v43
	v_mov_b32_e32 v49, 0xffffff82
	v_or3_b32 v3, v36, v17, v3
.LBB4_2308:                             ;   in Loop: Header=BB4_2249 Depth=2
	s_or_b64 exec, exec, s[34:35]
.LBB4_2309:                             ;   in Loop: Header=BB4_2249 Depth=2
	s_or_b64 exec, exec, s[30:31]
.LBB4_2310:                             ;   in Loop: Header=BB4_2249 Depth=2
	s_or_b64 exec, exec, s[94:95]
	v_max_f32_e32 v3, v3, v3
	v_max_f32_e32 v2, v2, v2
	;; [unrolled: 1-line block ×3, first 2 shown]
	s_mov_b64 s[94:95], 0
.LBB4_2311:                             ;   in Loop: Header=BB4_2249 Depth=2
	s_and_b64 vcc, exec, s[94:95]
	s_cbranch_vccz .LBB4_2325
; %bb.2312:                             ;   in Loop: Header=BB4_2249 Depth=2
	v_mov_b32_e32 v3, 0
	v_mov_b32_e32 v2, 0
	s_and_saveexec_b64 s[94:95], s[22:23]
	s_cbranch_execz .LBB4_2318
; %bb.2313:                             ;   in Loop: Header=BB4_2249 Depth=2
	v_cmp_ne_u16_e32 vcc, s53, v16
	v_bfrev_b32_e32 v2, 1
	s_and_saveexec_b64 s[22:23], vcc
	s_cbranch_execz .LBB4_2317
; %bb.2314:                             ;   in Loop: Header=BB4_2249 Depth=2
	v_and_b32_e32 v17, 0x7f, v19
	v_cmp_ne_u32_e32 vcc, s54, v17
	v_mov_b32_e32 v2, 0x7f800001
	s_and_saveexec_b64 s[30:31], vcc
	s_cbranch_execz .LBB4_2316
; %bb.2315:                             ;   in Loop: Header=BB4_2249 Depth=2
	v_and_b32_e32 v2, 7, v16
	v_lshrrev_b32_e32 v36, 3, v17
	v_cmp_gt_u32_e32 vcc, 8, v17
	v_ffbh_u32_e32 v17, v2
	v_min_u32_e32 v37, 32, v17
	v_subrev_u32_e32 v17, 28, v37
	v_lshlrev_b64 v[16:17], v17, v[16:17]
	v_sub_u32_e32 v17, 29, v37
	v_and_b32_e32 v16, 7, v16
	v_cndmask_b32_e32 v17, v36, v17, vcc
	v_cndmask_b32_e32 v2, v2, v16, vcc
	v_lshlrev_b32_e32 v16, 24, v19
	v_lshlrev_b32_e32 v2, 20, v2
	v_and_b32_e32 v16, 0x80000000, v16
	v_lshl_add_u32 v17, v17, 23, v43
	v_or3_b32 v2, v16, v17, v2
.LBB4_2316:                             ;   in Loop: Header=BB4_2249 Depth=2
	s_or_b64 exec, exec, s[30:31]
.LBB4_2317:                             ;   in Loop: Header=BB4_2249 Depth=2
	s_or_b64 exec, exec, s[22:23]
.LBB4_2318:                             ;   in Loop: Header=BB4_2249 Depth=2
	s_or_b64 exec, exec, s[94:95]
	v_and_b32_e32 v16, 0xff, v29
	v_cmp_ne_u16_e32 vcc, 0, v16
	s_and_saveexec_b64 s[22:23], vcc
	s_cbranch_execz .LBB4_2324
; %bb.2319:                             ;   in Loop: Header=BB4_2249 Depth=2
	v_cmp_ne_u16_e32 vcc, s53, v16
	v_bfrev_b32_e32 v3, 1
	s_and_saveexec_b64 s[94:95], vcc
	s_cbranch_execz .LBB4_2323
; %bb.2320:                             ;   in Loop: Header=BB4_2249 Depth=2
	v_and_b32_e32 v17, 0x7f, v29
	v_cmp_ne_u32_e32 vcc, s54, v17
	v_mov_b32_e32 v3, 0x7f800001
	s_and_saveexec_b64 s[30:31], vcc
	s_cbranch_execz .LBB4_2322
; %bb.2321:                             ;   in Loop: Header=BB4_2249 Depth=2
	v_and_b32_e32 v3, 7, v16
	v_lshrrev_b32_e32 v19, 3, v17
	v_cmp_gt_u32_e32 vcc, 8, v17
	v_ffbh_u32_e32 v17, v3
	v_min_u32_e32 v36, 32, v17
	v_subrev_u32_e32 v17, 28, v36
	v_lshlrev_b64 v[16:17], v17, v[16:17]
	v_sub_u32_e32 v17, 29, v36
	v_and_b32_e32 v16, 7, v16
	v_cndmask_b32_e32 v17, v19, v17, vcc
	v_cndmask_b32_e32 v3, v3, v16, vcc
	v_lshlrev_b32_e32 v16, 24, v29
	v_lshlrev_b32_e32 v3, 20, v3
	v_and_b32_e32 v16, 0x80000000, v16
	v_lshl_add_u32 v17, v17, 23, v43
	v_or3_b32 v3, v16, v17, v3
.LBB4_2322:                             ;   in Loop: Header=BB4_2249 Depth=2
	s_or_b64 exec, exec, s[30:31]
.LBB4_2323:                             ;   in Loop: Header=BB4_2249 Depth=2
	s_or_b64 exec, exec, s[94:95]
.LBB4_2324:                             ;   in Loop: Header=BB4_2249 Depth=2
	s_or_b64 exec, exec, s[22:23]
	v_max_f32_e32 v3, v3, v3
	v_max_f32_e32 v2, v2, v2
	v_min_f32_e32 v2, v2, v3
.LBB4_2325:                             ;   in Loop: Header=BB4_2249 Depth=2
	v_and_b32_e32 v52, 0x7f800000, v2
	v_cmp_ne_u64_e32 vcc, s[72:73], v[52:53]
                                        ; implicit-def: $vgpr29
	s_and_saveexec_b64 s[22:23], vcc
	s_xor_b64 s[94:95], exec, s[22:23]
	s_cbranch_execz .LBB4_2343
; %bb.2326:                             ;   in Loop: Header=BB4_2249 Depth=2
	v_and_b32_e32 v52, 0x7fffffff, v2
	v_cmp_gt_u64_e32 vcc, s[74:75], v[52:53]
	v_and_b32_sdwa v19, v2, s53 dst_sel:DWORD dst_unused:UNUSED_PAD src0_sel:BYTE_3 src1_sel:DWORD
                                        ; implicit-def: $vgpr29
	s_and_saveexec_b64 s[22:23], vcc
	s_xor_b64 s[30:31], exec, s[22:23]
	s_cbranch_execz .LBB4_2340
; %bb.2327:                             ;   in Loop: Header=BB4_2249 Depth=2
	v_cmp_ne_u32_e32 vcc, 0, v2
	v_mov_b32_e32 v29, 0
	s_and_saveexec_b64 s[34:35], vcc
	s_cbranch_execz .LBB4_2339
; %bb.2328:                             ;   in Loop: Header=BB4_2249 Depth=2
	v_bfe_u32 v29, v2, 23, 8
	v_and_b32_e32 v3, 0x7fffff, v2
	v_cmp_gt_u32_e64 s[22:23], s64, v29
	v_sub_u32_e32 v2, 0x79, v29
	v_cmp_eq_u32_e32 vcc, 0, v29
	v_cndmask_b32_e64 v2, 0, v2, s[22:23]
	v_mov_b32_e32 v17, 0x78
	v_cndmask_b32_e32 v48, v2, v17, vcc
	v_or_b32_e32 v16, 0x800000, v3
	v_add_u32_e32 v2, 20, v48
	v_cndmask_b32_e32 v52, v16, v3, vcc
	v_lshlrev_b64 v[2:3], v2, -1
	v_add_u32_e32 v16, 19, v48
	v_lshlrev_b64 v[16:17], v16, 1
	v_bfi_b32 v3, v3, 0, 0
	v_bfi_b32 v2, v2, 0, v52
	v_cmp_eq_u64_e64 s[22:23], v[2:3], v[16:17]
	v_lshrrev_b64 v[16:17], v48, v[52:53]
	v_mov_b32_e32 v2, v16
	v_mov_b32_e32 v3, v17
	s_and_saveexec_b64 s[36:37], s[22:23]
; %bb.2329:                             ;   in Loop: Header=BB4_2249 Depth=2
	v_bfe_u32 v2, v16, 20, 1
	v_add_co_u32_e64 v2, s[22:23], v16, v2
	v_add_co_u32_e64 v2, s[22:23], -1, v2
; %bb.2330:                             ;   in Loop: Header=BB4_2249 Depth=2
	s_or_b64 exec, exec, s[36:37]
	v_add_u32_e32 v3, 0xffffff81, v29
	v_cndmask_b32_e32 v3, v3, v49, vcc
	v_lshrrev_b32_e32 v17, 23, v16
	v_add3_u32 v29, v48, v3, v17
	v_add_u32_e32 v3, 6, v29
	v_and_b32_e32 v2, 0xfffff, v2
	v_add_u32_e32 v52, v2, v16
	v_cmp_ne_u32_e32 vcc, 0, v3
                                        ; implicit-def: $vgpr16_vgpr17
                                        ; implicit-def: $vgpr2
	s_and_saveexec_b64 s[22:23], vcc
	s_xor_b64 s[22:23], exec, s[22:23]
; %bb.2331:                             ;   in Loop: Header=BB4_2249 Depth=2
	v_cmp_lt_u64_e32 vcc, s[76:77], v[52:53]
	v_add_u32_e32 v2, 7, v29
	v_cndmask_b32_e32 v2, v3, v2, vcc
	v_cndmask_b32_e64 v3, 0, 1, vcc
	v_lshrrev_b64 v[16:17], v3, v[52:53]
; %bb.2332:                             ;   in Loop: Header=BB4_2249 Depth=2
	s_andn2_saveexec_b64 s[22:23], s[22:23]
; %bb.2333:                             ;   in Loop: Header=BB4_2249 Depth=2
	v_mov_b32_e32 v16, v52
	v_bfe_u32 v2, v52, 23, 1
	v_mov_b32_e32 v17, v53
; %bb.2334:                             ;   in Loop: Header=BB4_2249 Depth=2
	s_or_b64 exec, exec, s[22:23]
	v_lshrrev_b64 v[16:17], 20, v[16:17]
	v_cmp_gt_i32_e32 vcc, 16, v2
	v_cndmask_b32_e32 v17, 0, v17, vcc
	v_cndmask_b32_e32 v16, 7, v16, vcc
	v_cmp_ne_u64_e32 vcc, 0, v[16:17]
	v_cmp_ne_u32_e64 s[22:23], 0, v2
	s_or_b64 s[22:23], s[22:23], vcc
                                        ; implicit-def: $vgpr29
	s_and_saveexec_b64 vcc, s[22:23]
	s_xor_b64 s[22:23], exec, vcc
; %bb.2335:                             ;   in Loop: Header=BB4_2249 Depth=2
	v_min_i32_e32 v2, 15, v2
	v_lshl_or_b32 v2, v2, 3, v19
	v_and_or_b32 v29, v16, 7, v2
                                        ; implicit-def: $vgpr19
; %bb.2336:                             ;   in Loop: Header=BB4_2249 Depth=2
	s_andn2_saveexec_b64 s[22:23], s[22:23]
; %bb.2337:                             ;   in Loop: Header=BB4_2249 Depth=2
	v_mov_b32_e32 v29, v19
; %bb.2338:                             ;   in Loop: Header=BB4_2249 Depth=2
	s_or_b64 exec, exec, s[22:23]
.LBB4_2339:                             ;   in Loop: Header=BB4_2249 Depth=2
	s_or_b64 exec, exec, s[34:35]
                                        ; implicit-def: $vgpr19
.LBB4_2340:                             ;   in Loop: Header=BB4_2249 Depth=2
	s_andn2_saveexec_b64 s[22:23], s[30:31]
; %bb.2341:                             ;   in Loop: Header=BB4_2249 Depth=2
	v_or_b32_e32 v29, 0x7e, v19
; %bb.2342:                             ;   in Loop: Header=BB4_2249 Depth=2
	s_or_b64 exec, exec, s[22:23]
                                        ; implicit-def: $vgpr2
.LBB4_2343:                             ;   in Loop: Header=BB4_2249 Depth=2
	s_andn2_saveexec_b64 s[22:23], s[94:95]
; %bb.2344:                             ;   in Loop: Header=BB4_2249 Depth=2
	v_or_b32_sdwa v29, v2, s54 dst_sel:DWORD dst_unused:UNUSED_PAD src0_sel:BYTE_3 src1_sel:DWORD
; %bb.2345:                             ;   in Loop: Header=BB4_2249 Depth=2
	s_or_b64 exec, exec, s[22:23]
	v_and_b32_e32 v16, 0xff, v20
	v_cmp_ne_u16_e64 s[22:23], 0, v16
	s_and_b64 vcc, exec, s[20:21]
	s_mov_b64 s[94:95], -1
                                        ; implicit-def: $vgpr2
	s_cbranch_vccnz .LBB4_2359
; %bb.2346:                             ;   in Loop: Header=BB4_2249 Depth=2
	v_mov_b32_e32 v3, 0
	v_mov_b32_e32 v2, 0
	s_and_saveexec_b64 s[94:95], s[22:23]
	s_cbranch_execz .LBB4_2352
; %bb.2347:                             ;   in Loop: Header=BB4_2249 Depth=2
	v_cmp_ne_u16_e32 vcc, s53, v16
	v_bfrev_b32_e32 v2, 1
	s_and_saveexec_b64 s[30:31], vcc
	s_cbranch_execz .LBB4_2351
; %bb.2348:                             ;   in Loop: Header=BB4_2249 Depth=2
	v_and_b32_e32 v17, 0x7f, v20
	v_cmp_ne_u32_e32 vcc, s54, v17
	v_mov_b32_e32 v2, 0x7f800001
	s_and_saveexec_b64 s[34:35], vcc
	s_cbranch_execz .LBB4_2350
; %bb.2349:                             ;   in Loop: Header=BB4_2249 Depth=2
	v_and_b32_e32 v2, 7, v16
	v_lshrrev_b32_e32 v19, 3, v17
	v_cmp_gt_u32_e32 vcc, 8, v17
	v_ffbh_u32_e32 v17, v2
	v_min_u32_e32 v17, 32, v17
	v_subrev_u32_e32 v36, 28, v17
	v_lshlrev_b64 v[36:37], v36, v[16:17]
	v_sub_u32_e32 v17, 29, v17
	v_and_b32_e32 v36, 7, v36
	v_cndmask_b32_e32 v17, v19, v17, vcc
	v_cndmask_b32_e32 v2, v2, v36, vcc
	v_lshlrev_b32_e32 v19, 24, v20
	v_lshlrev_b32_e32 v2, 20, v2
	v_and_b32_e32 v19, 0x80000000, v19
	v_lshl_add_u32 v17, v17, 23, v43
	v_or3_b32 v2, v19, v17, v2
.LBB4_2350:                             ;   in Loop: Header=BB4_2249 Depth=2
	s_or_b64 exec, exec, s[34:35]
.LBB4_2351:                             ;   in Loop: Header=BB4_2249 Depth=2
	s_or_b64 exec, exec, s[30:31]
.LBB4_2352:                             ;   in Loop: Header=BB4_2249 Depth=2
	s_or_b64 exec, exec, s[94:95]
	v_and_b32_e32 v17, 0xff, v34
	v_cmp_ne_u16_e32 vcc, 0, v17
	s_and_saveexec_b64 s[94:95], vcc
	s_cbranch_execz .LBB4_2358
; %bb.2353:                             ;   in Loop: Header=BB4_2249 Depth=2
	v_cmp_ne_u16_e32 vcc, s53, v17
	v_bfrev_b32_e32 v3, 1
	s_and_saveexec_b64 s[30:31], vcc
	s_cbranch_execz .LBB4_2357
; %bb.2354:                             ;   in Loop: Header=BB4_2249 Depth=2
	v_and_b32_e32 v19, 0x7f, v34
	v_cmp_ne_u32_e32 vcc, s54, v19
	v_mov_b32_e32 v3, 0x7f800001
	s_and_saveexec_b64 s[34:35], vcc
	s_cbranch_execz .LBB4_2356
; %bb.2355:                             ;   in Loop: Header=BB4_2249 Depth=2
	v_and_b32_e32 v3, 7, v17
	v_lshrrev_b32_e32 v48, 3, v19
	v_cmp_gt_u32_e32 vcc, 8, v19
	v_ffbh_u32_e32 v19, v3
	v_min_u32_e32 v19, 32, v19
	v_subrev_u32_e32 v36, 28, v19
	v_lshlrev_b64 v[36:37], v36, v[17:18]
	v_sub_u32_e32 v17, 29, v19
	v_and_b32_e32 v19, 7, v36
	v_cndmask_b32_e32 v17, v48, v17, vcc
	v_cndmask_b32_e32 v3, v3, v19, vcc
	v_lshlrev_b32_e32 v19, 24, v34
	v_lshlrev_b32_e32 v3, 20, v3
	v_and_b32_e32 v19, 0x80000000, v19
	v_lshl_add_u32 v17, v17, 23, v43
	v_or3_b32 v3, v19, v17, v3
.LBB4_2356:                             ;   in Loop: Header=BB4_2249 Depth=2
	s_or_b64 exec, exec, s[34:35]
.LBB4_2357:                             ;   in Loop: Header=BB4_2249 Depth=2
	s_or_b64 exec, exec, s[30:31]
.LBB4_2358:                             ;   in Loop: Header=BB4_2249 Depth=2
	s_or_b64 exec, exec, s[94:95]
	v_max_f32_e32 v3, v3, v3
	v_max_f32_e32 v2, v2, v2
	;; [unrolled: 1-line block ×3, first 2 shown]
	s_mov_b64 s[94:95], 0
.LBB4_2359:                             ;   in Loop: Header=BB4_2249 Depth=2
	s_and_b64 vcc, exec, s[94:95]
	s_cbranch_vccz .LBB4_2373
; %bb.2360:                             ;   in Loop: Header=BB4_2249 Depth=2
	v_mov_b32_e32 v3, 0
	v_mov_b32_e32 v2, 0
	s_and_saveexec_b64 s[94:95], s[22:23]
	s_cbranch_execz .LBB4_2366
; %bb.2361:                             ;   in Loop: Header=BB4_2249 Depth=2
	v_cmp_ne_u16_e32 vcc, s53, v16
	v_bfrev_b32_e32 v2, 1
	s_and_saveexec_b64 s[22:23], vcc
	s_cbranch_execz .LBB4_2365
; %bb.2362:                             ;   in Loop: Header=BB4_2249 Depth=2
	v_and_b32_e32 v17, 0x7f, v20
	v_cmp_ne_u32_e32 vcc, s54, v17
	v_mov_b32_e32 v2, 0x7f800001
	s_and_saveexec_b64 s[30:31], vcc
	s_cbranch_execz .LBB4_2364
; %bb.2363:                             ;   in Loop: Header=BB4_2249 Depth=2
	v_and_b32_e32 v2, 7, v16
	v_lshrrev_b32_e32 v19, 3, v17
	v_cmp_gt_u32_e32 vcc, 8, v17
	v_ffbh_u32_e32 v17, v2
	v_min_u32_e32 v36, 32, v17
	v_subrev_u32_e32 v17, 28, v36
	v_lshlrev_b64 v[16:17], v17, v[16:17]
	v_sub_u32_e32 v17, 29, v36
	v_and_b32_e32 v16, 7, v16
	v_cndmask_b32_e32 v17, v19, v17, vcc
	v_cndmask_b32_e32 v2, v2, v16, vcc
	v_lshlrev_b32_e32 v16, 24, v20
	v_lshlrev_b32_e32 v2, 20, v2
	v_and_b32_e32 v16, 0x80000000, v16
	v_lshl_add_u32 v17, v17, 23, v43
	v_or3_b32 v2, v16, v17, v2
.LBB4_2364:                             ;   in Loop: Header=BB4_2249 Depth=2
	s_or_b64 exec, exec, s[30:31]
.LBB4_2365:                             ;   in Loop: Header=BB4_2249 Depth=2
	s_or_b64 exec, exec, s[22:23]
.LBB4_2366:                             ;   in Loop: Header=BB4_2249 Depth=2
	s_or_b64 exec, exec, s[94:95]
	v_and_b32_e32 v16, 0xff, v34
	v_cmp_ne_u16_e32 vcc, 0, v16
	s_and_saveexec_b64 s[22:23], vcc
	s_cbranch_execz .LBB4_2372
; %bb.2367:                             ;   in Loop: Header=BB4_2249 Depth=2
	v_cmp_ne_u16_e32 vcc, s53, v16
	v_bfrev_b32_e32 v3, 1
	s_and_saveexec_b64 s[94:95], vcc
	s_cbranch_execz .LBB4_2371
; %bb.2368:                             ;   in Loop: Header=BB4_2249 Depth=2
	v_and_b32_e32 v17, 0x7f, v34
	v_cmp_ne_u32_e32 vcc, s54, v17
	v_mov_b32_e32 v3, 0x7f800001
	s_and_saveexec_b64 s[30:31], vcc
	s_cbranch_execz .LBB4_2370
; %bb.2369:                             ;   in Loop: Header=BB4_2249 Depth=2
	v_and_b32_e32 v3, 7, v16
	v_lshrrev_b32_e32 v19, 3, v17
	v_cmp_gt_u32_e32 vcc, 8, v17
	v_ffbh_u32_e32 v17, v3
	v_min_u32_e32 v20, 32, v17
	v_subrev_u32_e32 v17, 28, v20
	v_lshlrev_b64 v[16:17], v17, v[16:17]
	v_sub_u32_e32 v17, 29, v20
	v_and_b32_e32 v16, 7, v16
	v_cndmask_b32_e32 v17, v19, v17, vcc
	v_cndmask_b32_e32 v3, v3, v16, vcc
	v_lshlrev_b32_e32 v16, 24, v34
	v_lshlrev_b32_e32 v3, 20, v3
	v_and_b32_e32 v16, 0x80000000, v16
	v_lshl_add_u32 v17, v17, 23, v43
	v_or3_b32 v3, v16, v17, v3
.LBB4_2370:                             ;   in Loop: Header=BB4_2249 Depth=2
	s_or_b64 exec, exec, s[30:31]
.LBB4_2371:                             ;   in Loop: Header=BB4_2249 Depth=2
	s_or_b64 exec, exec, s[94:95]
.LBB4_2372:                             ;   in Loop: Header=BB4_2249 Depth=2
	s_or_b64 exec, exec, s[22:23]
	v_max_f32_e32 v3, v3, v3
	v_max_f32_e32 v2, v2, v2
	v_min_f32_e32 v2, v2, v3
.LBB4_2373:                             ;   in Loop: Header=BB4_2249 Depth=2
	v_and_b32_e32 v52, 0x7f800000, v2
	v_cmp_ne_u64_e32 vcc, s[72:73], v[52:53]
                                        ; implicit-def: $vgpr34
	s_and_saveexec_b64 s[22:23], vcc
	s_xor_b64 s[94:95], exec, s[22:23]
	s_cbranch_execz .LBB4_2391
; %bb.2374:                             ;   in Loop: Header=BB4_2249 Depth=2
	v_and_b32_e32 v52, 0x7fffffff, v2
	v_cmp_gt_u64_e32 vcc, s[74:75], v[52:53]
	v_and_b32_sdwa v19, v2, s53 dst_sel:DWORD dst_unused:UNUSED_PAD src0_sel:BYTE_3 src1_sel:DWORD
                                        ; implicit-def: $vgpr34
	s_and_saveexec_b64 s[22:23], vcc
	s_xor_b64 s[30:31], exec, s[22:23]
	s_cbranch_execz .LBB4_2388
; %bb.2375:                             ;   in Loop: Header=BB4_2249 Depth=2
	v_cmp_ne_u32_e32 vcc, 0, v2
	v_mov_b32_e32 v34, 0
	s_and_saveexec_b64 s[34:35], vcc
	s_cbranch_execz .LBB4_2387
; %bb.2376:                             ;   in Loop: Header=BB4_2249 Depth=2
	v_bfe_u32 v20, v2, 23, 8
	v_and_b32_e32 v3, 0x7fffff, v2
	v_cmp_gt_u32_e64 s[22:23], s64, v20
	v_sub_u32_e32 v2, 0x79, v20
	v_cmp_eq_u32_e32 vcc, 0, v20
	v_cndmask_b32_e64 v2, 0, v2, s[22:23]
	v_mov_b32_e32 v17, 0x78
	v_cndmask_b32_e32 v34, v2, v17, vcc
	v_or_b32_e32 v16, 0x800000, v3
	v_add_u32_e32 v2, 20, v34
	v_cndmask_b32_e32 v52, v16, v3, vcc
	v_lshlrev_b64 v[2:3], v2, -1
	v_add_u32_e32 v16, 19, v34
	v_lshlrev_b64 v[16:17], v16, 1
	v_bfi_b32 v3, v3, 0, 0
	v_bfi_b32 v2, v2, 0, v52
	v_cmp_eq_u64_e64 s[22:23], v[2:3], v[16:17]
	v_lshrrev_b64 v[16:17], v34, v[52:53]
	v_mov_b32_e32 v2, v16
	v_mov_b32_e32 v3, v17
	s_and_saveexec_b64 s[36:37], s[22:23]
; %bb.2377:                             ;   in Loop: Header=BB4_2249 Depth=2
	v_bfe_u32 v2, v16, 20, 1
	v_add_co_u32_e64 v2, s[22:23], v16, v2
	v_add_co_u32_e64 v2, s[22:23], -1, v2
; %bb.2378:                             ;   in Loop: Header=BB4_2249 Depth=2
	s_or_b64 exec, exec, s[36:37]
	v_add_u32_e32 v3, 0xffffff81, v20
	v_cndmask_b32_e32 v3, v3, v49, vcc
	v_lshrrev_b32_e32 v17, 23, v16
	v_add3_u32 v20, v34, v3, v17
	v_add_u32_e32 v3, 6, v20
	v_and_b32_e32 v2, 0xfffff, v2
	v_add_u32_e32 v52, v2, v16
	v_cmp_ne_u32_e32 vcc, 0, v3
                                        ; implicit-def: $vgpr16_vgpr17
                                        ; implicit-def: $vgpr2
	s_and_saveexec_b64 s[22:23], vcc
	s_xor_b64 s[22:23], exec, s[22:23]
; %bb.2379:                             ;   in Loop: Header=BB4_2249 Depth=2
	v_cmp_lt_u64_e32 vcc, s[76:77], v[52:53]
	v_add_u32_e32 v2, 7, v20
	v_cndmask_b32_e32 v2, v3, v2, vcc
	v_cndmask_b32_e64 v3, 0, 1, vcc
	v_lshrrev_b64 v[16:17], v3, v[52:53]
; %bb.2380:                             ;   in Loop: Header=BB4_2249 Depth=2
	s_andn2_saveexec_b64 s[22:23], s[22:23]
; %bb.2381:                             ;   in Loop: Header=BB4_2249 Depth=2
	v_mov_b32_e32 v16, v52
	v_bfe_u32 v2, v52, 23, 1
	v_mov_b32_e32 v17, v53
; %bb.2382:                             ;   in Loop: Header=BB4_2249 Depth=2
	s_or_b64 exec, exec, s[22:23]
	v_lshrrev_b64 v[16:17], 20, v[16:17]
	v_cmp_gt_i32_e32 vcc, 16, v2
	v_cndmask_b32_e32 v17, 0, v17, vcc
	v_cndmask_b32_e32 v16, 7, v16, vcc
	v_cmp_ne_u64_e32 vcc, 0, v[16:17]
	v_cmp_ne_u32_e64 s[22:23], 0, v2
	s_or_b64 s[22:23], s[22:23], vcc
                                        ; implicit-def: $vgpr34
	s_and_saveexec_b64 vcc, s[22:23]
	s_xor_b64 s[22:23], exec, vcc
; %bb.2383:                             ;   in Loop: Header=BB4_2249 Depth=2
	v_min_i32_e32 v2, 15, v2
	v_lshl_or_b32 v2, v2, 3, v19
	v_and_or_b32 v34, v16, 7, v2
                                        ; implicit-def: $vgpr19
; %bb.2384:                             ;   in Loop: Header=BB4_2249 Depth=2
	s_andn2_saveexec_b64 s[22:23], s[22:23]
; %bb.2385:                             ;   in Loop: Header=BB4_2249 Depth=2
	v_mov_b32_e32 v34, v19
; %bb.2386:                             ;   in Loop: Header=BB4_2249 Depth=2
	s_or_b64 exec, exec, s[22:23]
.LBB4_2387:                             ;   in Loop: Header=BB4_2249 Depth=2
	s_or_b64 exec, exec, s[34:35]
                                        ; implicit-def: $vgpr19
.LBB4_2388:                             ;   in Loop: Header=BB4_2249 Depth=2
	s_andn2_saveexec_b64 s[22:23], s[30:31]
; %bb.2389:                             ;   in Loop: Header=BB4_2249 Depth=2
	v_or_b32_e32 v34, 0x7e, v19
; %bb.2390:                             ;   in Loop: Header=BB4_2249 Depth=2
	s_or_b64 exec, exec, s[22:23]
                                        ; implicit-def: $vgpr2
.LBB4_2391:                             ;   in Loop: Header=BB4_2249 Depth=2
	s_andn2_saveexec_b64 s[22:23], s[94:95]
; %bb.2392:                             ;   in Loop: Header=BB4_2249 Depth=2
	v_or_b32_sdwa v34, v2, s54 dst_sel:DWORD dst_unused:UNUSED_PAD src0_sel:BYTE_3 src1_sel:DWORD
; %bb.2393:                             ;   in Loop: Header=BB4_2249 Depth=2
	s_or_b64 exec, exec, s[22:23]
	v_and_b32_e32 v16, 0xff, v18
	v_cmp_ne_u16_e64 s[22:23], 0, v16
	s_and_b64 vcc, exec, s[20:21]
	s_mov_b64 s[94:95], -1
                                        ; implicit-def: $vgpr2
	s_cbranch_vccnz .LBB4_2407
; %bb.2394:                             ;   in Loop: Header=BB4_2249 Depth=2
	v_mov_b32_e32 v3, 0
	v_mov_b32_e32 v2, 0
	s_and_saveexec_b64 s[94:95], s[22:23]
	s_cbranch_execz .LBB4_2400
; %bb.2395:                             ;   in Loop: Header=BB4_2249 Depth=2
	v_cmp_ne_u16_e32 vcc, s53, v16
	v_bfrev_b32_e32 v2, 1
	s_and_saveexec_b64 s[30:31], vcc
	s_cbranch_execz .LBB4_2399
; %bb.2396:                             ;   in Loop: Header=BB4_2249 Depth=2
	v_and_b32_e32 v17, 0x7f, v18
	v_cmp_ne_u32_e32 vcc, s54, v17
	v_mov_b32_e32 v2, 0x7f800001
	s_and_saveexec_b64 s[34:35], vcc
	s_cbranch_execz .LBB4_2398
; %bb.2397:                             ;   in Loop: Header=BB4_2249 Depth=2
	v_and_b32_e32 v2, 7, v16
	v_lshrrev_b32_e32 v36, 3, v17
	v_cmp_gt_u32_e32 vcc, 8, v17
	v_ffbh_u32_e32 v17, v2
	v_min_u32_e32 v17, 32, v17
	v_subrev_u32_e32 v19, 28, v17
	v_lshlrev_b64 v[19:20], v19, v[16:17]
	v_sub_u32_e32 v17, 29, v17
	v_and_b32_e32 v19, 7, v19
	v_cndmask_b32_e32 v17, v36, v17, vcc
	v_cndmask_b32_e32 v2, v2, v19, vcc
	v_lshlrev_b32_e32 v19, 24, v18
	v_lshlrev_b32_e32 v2, 20, v2
	v_and_b32_e32 v19, 0x80000000, v19
	v_lshl_add_u32 v17, v17, 23, v43
	v_or3_b32 v2, v19, v17, v2
.LBB4_2398:                             ;   in Loop: Header=BB4_2249 Depth=2
	s_or_b64 exec, exec, s[34:35]
.LBB4_2399:                             ;   in Loop: Header=BB4_2249 Depth=2
	s_or_b64 exec, exec, s[30:31]
.LBB4_2400:                             ;   in Loop: Header=BB4_2249 Depth=2
	s_or_b64 exec, exec, s[94:95]
	v_and_b32_e32 v17, 0xff, v51
	v_cmp_ne_u16_e32 vcc, 0, v17
	s_and_saveexec_b64 s[94:95], vcc
	s_cbranch_execz .LBB4_2406
; %bb.2401:                             ;   in Loop: Header=BB4_2249 Depth=2
	v_cmp_ne_u16_e32 vcc, s53, v17
	v_bfrev_b32_e32 v3, 1
	s_and_saveexec_b64 s[30:31], vcc
	s_cbranch_execz .LBB4_2405
; %bb.2402:                             ;   in Loop: Header=BB4_2249 Depth=2
	v_and_b32_e32 v19, 0x7f, v51
	v_cmp_ne_u32_e32 vcc, s54, v19
	v_mov_b32_e32 v3, 0x7f800001
	s_and_saveexec_b64 s[34:35], vcc
	s_cbranch_execz .LBB4_2404
; %bb.2403:                             ;   in Loop: Header=BB4_2249 Depth=2
	v_and_b32_e32 v3, 7, v17
	v_lshrrev_b32_e32 v36, 3, v19
	v_cmp_gt_u32_e32 vcc, 8, v19
	v_ffbh_u32_e32 v19, v3
	v_min_u32_e32 v37, 32, v19
	v_subrev_u32_e32 v19, 28, v37
	v_lshlrev_b64 v[19:20], v19, v[17:18]
	v_sub_u32_e32 v17, 29, v37
	v_and_b32_e32 v19, 7, v19
	v_cndmask_b32_e32 v17, v36, v17, vcc
	v_cndmask_b32_e32 v3, v3, v19, vcc
	v_lshlrev_b32_e32 v19, 24, v51
	v_lshlrev_b32_e32 v3, 20, v3
	v_and_b32_e32 v19, 0x80000000, v19
	v_lshl_add_u32 v17, v17, 23, v43
	v_or3_b32 v3, v19, v17, v3
.LBB4_2404:                             ;   in Loop: Header=BB4_2249 Depth=2
	s_or_b64 exec, exec, s[34:35]
.LBB4_2405:                             ;   in Loop: Header=BB4_2249 Depth=2
	s_or_b64 exec, exec, s[30:31]
.LBB4_2406:                             ;   in Loop: Header=BB4_2249 Depth=2
	s_or_b64 exec, exec, s[94:95]
	v_max_f32_e32 v3, v3, v3
	v_max_f32_e32 v2, v2, v2
	;; [unrolled: 1-line block ×3, first 2 shown]
	s_mov_b64 s[94:95], 0
.LBB4_2407:                             ;   in Loop: Header=BB4_2249 Depth=2
	s_and_b64 vcc, exec, s[94:95]
	s_cbranch_vccz .LBB4_2421
; %bb.2408:                             ;   in Loop: Header=BB4_2249 Depth=2
	v_mov_b32_e32 v3, 0
	v_mov_b32_e32 v2, 0
	s_and_saveexec_b64 s[94:95], s[22:23]
	s_cbranch_execz .LBB4_2414
; %bb.2409:                             ;   in Loop: Header=BB4_2249 Depth=2
	v_cmp_ne_u16_e32 vcc, s53, v16
	v_bfrev_b32_e32 v2, 1
	s_and_saveexec_b64 s[22:23], vcc
	s_cbranch_execz .LBB4_2413
; %bb.2410:                             ;   in Loop: Header=BB4_2249 Depth=2
	v_and_b32_e32 v17, 0x7f, v18
	v_cmp_ne_u32_e32 vcc, s54, v17
	v_mov_b32_e32 v2, 0x7f800001
	s_and_saveexec_b64 s[30:31], vcc
	s_cbranch_execz .LBB4_2412
; %bb.2411:                             ;   in Loop: Header=BB4_2249 Depth=2
	v_and_b32_e32 v2, 7, v16
	v_lshrrev_b32_e32 v19, 3, v17
	v_cmp_gt_u32_e32 vcc, 8, v17
	v_ffbh_u32_e32 v17, v2
	v_min_u32_e32 v20, 32, v17
	v_subrev_u32_e32 v17, 28, v20
	v_lshlrev_b64 v[16:17], v17, v[16:17]
	v_sub_u32_e32 v17, 29, v20
	v_and_b32_e32 v16, 7, v16
	v_cndmask_b32_e32 v17, v19, v17, vcc
	v_cndmask_b32_e32 v2, v2, v16, vcc
	v_lshlrev_b32_e32 v16, 24, v18
	v_lshlrev_b32_e32 v2, 20, v2
	v_and_b32_e32 v16, 0x80000000, v16
	v_lshl_add_u32 v17, v17, 23, v43
	v_or3_b32 v2, v16, v17, v2
.LBB4_2412:                             ;   in Loop: Header=BB4_2249 Depth=2
	s_or_b64 exec, exec, s[30:31]
.LBB4_2413:                             ;   in Loop: Header=BB4_2249 Depth=2
	s_or_b64 exec, exec, s[22:23]
.LBB4_2414:                             ;   in Loop: Header=BB4_2249 Depth=2
	s_or_b64 exec, exec, s[94:95]
	v_and_b32_e32 v16, 0xff, v51
	v_cmp_ne_u16_e32 vcc, 0, v16
	s_and_saveexec_b64 s[22:23], vcc
	s_cbranch_execz .LBB4_2420
; %bb.2415:                             ;   in Loop: Header=BB4_2249 Depth=2
	v_cmp_ne_u16_e32 vcc, s53, v16
	v_bfrev_b32_e32 v3, 1
	s_and_saveexec_b64 s[94:95], vcc
	s_cbranch_execz .LBB4_2419
; %bb.2416:                             ;   in Loop: Header=BB4_2249 Depth=2
	v_and_b32_e32 v17, 0x7f, v51
	v_cmp_ne_u32_e32 vcc, s54, v17
	v_mov_b32_e32 v3, 0x7f800001
	s_and_saveexec_b64 s[30:31], vcc
	s_cbranch_execz .LBB4_2418
; %bb.2417:                             ;   in Loop: Header=BB4_2249 Depth=2
	v_and_b32_e32 v3, 7, v16
	v_lshrrev_b32_e32 v18, 3, v17
	v_cmp_gt_u32_e32 vcc, 8, v17
	v_ffbh_u32_e32 v17, v3
	v_min_u32_e32 v19, 32, v17
	v_subrev_u32_e32 v17, 28, v19
	v_lshlrev_b64 v[16:17], v17, v[16:17]
	v_sub_u32_e32 v17, 29, v19
	v_and_b32_e32 v16, 7, v16
	v_cndmask_b32_e32 v17, v18, v17, vcc
	v_cndmask_b32_e32 v3, v3, v16, vcc
	v_lshlrev_b32_e32 v16, 24, v51
	v_lshlrev_b32_e32 v3, 20, v3
	v_and_b32_e32 v16, 0x80000000, v16
	v_lshl_add_u32 v17, v17, 23, v43
	v_or3_b32 v3, v16, v17, v3
.LBB4_2418:                             ;   in Loop: Header=BB4_2249 Depth=2
	s_or_b64 exec, exec, s[30:31]
.LBB4_2419:                             ;   in Loop: Header=BB4_2249 Depth=2
	s_or_b64 exec, exec, s[94:95]
.LBB4_2420:                             ;   in Loop: Header=BB4_2249 Depth=2
	s_or_b64 exec, exec, s[22:23]
	v_max_f32_e32 v3, v3, v3
	v_max_f32_e32 v2, v2, v2
	v_min_f32_e32 v2, v2, v3
.LBB4_2421:                             ;   in Loop: Header=BB4_2249 Depth=2
	v_and_b32_e32 v52, 0x7f800000, v2
	v_cmp_ne_u64_e32 vcc, s[72:73], v[52:53]
                                        ; implicit-def: $vgpr51
	s_and_saveexec_b64 s[22:23], vcc
	s_xor_b64 s[94:95], exec, s[22:23]
	s_cbranch_execz .LBB4_2439
; %bb.2422:                             ;   in Loop: Header=BB4_2249 Depth=2
	v_and_b32_e32 v52, 0x7fffffff, v2
	v_cmp_gt_u64_e32 vcc, s[74:75], v[52:53]
	v_and_b32_sdwa v18, v2, s53 dst_sel:DWORD dst_unused:UNUSED_PAD src0_sel:BYTE_3 src1_sel:DWORD
                                        ; implicit-def: $vgpr51
	s_and_saveexec_b64 s[22:23], vcc
	s_xor_b64 s[30:31], exec, s[22:23]
	s_cbranch_execz .LBB4_2436
; %bb.2423:                             ;   in Loop: Header=BB4_2249 Depth=2
	v_cmp_ne_u32_e32 vcc, 0, v2
	v_mov_b32_e32 v51, 0
	s_and_saveexec_b64 s[34:35], vcc
	s_cbranch_execz .LBB4_2435
; %bb.2424:                             ;   in Loop: Header=BB4_2249 Depth=2
	v_bfe_u32 v19, v2, 23, 8
	v_and_b32_e32 v3, 0x7fffff, v2
	v_cmp_gt_u32_e64 s[22:23], s64, v19
	v_sub_u32_e32 v2, 0x79, v19
	v_cmp_eq_u32_e32 vcc, 0, v19
	v_cndmask_b32_e64 v2, 0, v2, s[22:23]
	v_mov_b32_e32 v17, 0x78
	v_cndmask_b32_e32 v20, v2, v17, vcc
	v_or_b32_e32 v16, 0x800000, v3
	v_add_u32_e32 v2, 20, v20
	v_cndmask_b32_e32 v52, v16, v3, vcc
	v_lshlrev_b64 v[2:3], v2, -1
	v_add_u32_e32 v16, 19, v20
	v_lshlrev_b64 v[16:17], v16, 1
	v_bfi_b32 v3, v3, 0, 0
	v_bfi_b32 v2, v2, 0, v52
	v_cmp_eq_u64_e64 s[22:23], v[2:3], v[16:17]
	v_lshrrev_b64 v[16:17], v20, v[52:53]
	v_mov_b32_e32 v2, v16
	v_mov_b32_e32 v3, v17
	s_and_saveexec_b64 s[36:37], s[22:23]
; %bb.2425:                             ;   in Loop: Header=BB4_2249 Depth=2
	v_bfe_u32 v2, v16, 20, 1
	v_add_co_u32_e64 v2, s[22:23], v16, v2
	v_add_co_u32_e64 v2, s[22:23], -1, v2
; %bb.2426:                             ;   in Loop: Header=BB4_2249 Depth=2
	s_or_b64 exec, exec, s[36:37]
	v_add_u32_e32 v3, 0xffffff81, v19
	v_cndmask_b32_e32 v3, v3, v49, vcc
	v_lshrrev_b32_e32 v17, 23, v16
	v_add3_u32 v19, v20, v3, v17
	v_add_u32_e32 v3, 6, v19
	v_and_b32_e32 v2, 0xfffff, v2
	v_add_u32_e32 v52, v2, v16
	v_cmp_ne_u32_e32 vcc, 0, v3
                                        ; implicit-def: $vgpr16_vgpr17
                                        ; implicit-def: $vgpr2
	s_and_saveexec_b64 s[22:23], vcc
	s_xor_b64 s[22:23], exec, s[22:23]
; %bb.2427:                             ;   in Loop: Header=BB4_2249 Depth=2
	v_cmp_lt_u64_e32 vcc, s[76:77], v[52:53]
	v_add_u32_e32 v2, 7, v19
	v_cndmask_b32_e32 v2, v3, v2, vcc
	v_cndmask_b32_e64 v3, 0, 1, vcc
	v_lshrrev_b64 v[16:17], v3, v[52:53]
; %bb.2428:                             ;   in Loop: Header=BB4_2249 Depth=2
	s_andn2_saveexec_b64 s[22:23], s[22:23]
; %bb.2429:                             ;   in Loop: Header=BB4_2249 Depth=2
	v_mov_b32_e32 v16, v52
	v_bfe_u32 v2, v52, 23, 1
	v_mov_b32_e32 v17, v53
; %bb.2430:                             ;   in Loop: Header=BB4_2249 Depth=2
	s_or_b64 exec, exec, s[22:23]
	v_lshrrev_b64 v[16:17], 20, v[16:17]
	v_cmp_gt_i32_e32 vcc, 16, v2
	v_cndmask_b32_e32 v17, 0, v17, vcc
	v_cndmask_b32_e32 v16, 7, v16, vcc
	v_cmp_ne_u64_e32 vcc, 0, v[16:17]
	v_cmp_ne_u32_e64 s[22:23], 0, v2
	s_or_b64 s[22:23], s[22:23], vcc
                                        ; implicit-def: $vgpr51
	s_and_saveexec_b64 vcc, s[22:23]
	s_xor_b64 s[22:23], exec, vcc
; %bb.2431:                             ;   in Loop: Header=BB4_2249 Depth=2
	v_min_i32_e32 v2, 15, v2
	v_lshl_or_b32 v2, v2, 3, v18
	v_and_or_b32 v51, v16, 7, v2
                                        ; implicit-def: $vgpr18
; %bb.2432:                             ;   in Loop: Header=BB4_2249 Depth=2
	s_andn2_saveexec_b64 s[22:23], s[22:23]
; %bb.2433:                             ;   in Loop: Header=BB4_2249 Depth=2
	v_mov_b32_e32 v51, v18
; %bb.2434:                             ;   in Loop: Header=BB4_2249 Depth=2
	s_or_b64 exec, exec, s[22:23]
.LBB4_2435:                             ;   in Loop: Header=BB4_2249 Depth=2
	s_or_b64 exec, exec, s[34:35]
                                        ; implicit-def: $vgpr18
.LBB4_2436:                             ;   in Loop: Header=BB4_2249 Depth=2
	s_andn2_saveexec_b64 s[22:23], s[30:31]
; %bb.2437:                             ;   in Loop: Header=BB4_2249 Depth=2
	v_or_b32_e32 v51, 0x7e, v18
; %bb.2438:                             ;   in Loop: Header=BB4_2249 Depth=2
	s_or_b64 exec, exec, s[22:23]
                                        ; implicit-def: $vgpr2
.LBB4_2439:                             ;   in Loop: Header=BB4_2249 Depth=2
	s_andn2_saveexec_b64 s[22:23], s[94:95]
; %bb.2440:                             ;   in Loop: Header=BB4_2249 Depth=2
	v_or_b32_sdwa v51, v2, s54 dst_sel:DWORD dst_unused:UNUSED_PAD src0_sel:BYTE_3 src1_sel:DWORD
; %bb.2441:                             ;   in Loop: Header=BB4_2249 Depth=2
	s_or_b64 exec, exec, s[22:23]
	v_and_b32_e32 v16, 0xff, v21
	v_cmp_ne_u16_e64 s[22:23], 0, v16
	s_and_b64 vcc, exec, s[20:21]
	s_mov_b64 s[94:95], -1
                                        ; implicit-def: $vgpr2
	s_cbranch_vccnz .LBB4_2455
; %bb.2442:                             ;   in Loop: Header=BB4_2249 Depth=2
	v_mov_b32_e32 v3, 0
	v_mov_b32_e32 v2, 0
	s_and_saveexec_b64 s[94:95], s[22:23]
	s_cbranch_execz .LBB4_2448
; %bb.2443:                             ;   in Loop: Header=BB4_2249 Depth=2
	v_cmp_ne_u16_e32 vcc, s53, v16
	v_bfrev_b32_e32 v2, 1
	s_and_saveexec_b64 s[30:31], vcc
	s_cbranch_execz .LBB4_2447
; %bb.2444:                             ;   in Loop: Header=BB4_2249 Depth=2
	v_and_b32_e32 v17, 0x7f, v21
	v_cmp_ne_u32_e32 vcc, s54, v17
	v_mov_b32_e32 v2, 0x7f800001
	s_and_saveexec_b64 s[34:35], vcc
	s_cbranch_execz .LBB4_2446
; %bb.2445:                             ;   in Loop: Header=BB4_2249 Depth=2
	v_and_b32_e32 v2, 7, v16
	v_lshrrev_b32_e32 v19, 3, v17
	v_cmp_gt_u32_e32 vcc, 8, v17
	v_ffbh_u32_e32 v17, v2
	v_min_u32_e32 v20, 32, v17
	v_subrev_u32_e32 v17, 28, v20
	v_lshlrev_b64 v[17:18], v17, v[16:17]
	v_sub_u32_e32 v18, 29, v20
	v_and_b32_e32 v17, 7, v17
	v_cndmask_b32_e32 v18, v19, v18, vcc
	v_cndmask_b32_e32 v2, v2, v17, vcc
	v_lshlrev_b32_e32 v17, 24, v21
	v_lshlrev_b32_e32 v2, 20, v2
	v_and_b32_e32 v17, 0x80000000, v17
	v_lshl_add_u32 v18, v18, 23, v43
	v_or3_b32 v2, v17, v18, v2
.LBB4_2446:                             ;   in Loop: Header=BB4_2249 Depth=2
	s_or_b64 exec, exec, s[34:35]
.LBB4_2447:                             ;   in Loop: Header=BB4_2249 Depth=2
	s_or_b64 exec, exec, s[30:31]
.LBB4_2448:                             ;   in Loop: Header=BB4_2249 Depth=2
	s_or_b64 exec, exec, s[94:95]
	v_and_b32_e32 v17, 0xff, v44
	v_cmp_ne_u16_e32 vcc, 0, v17
	s_and_saveexec_b64 s[94:95], vcc
	s_cbranch_execz .LBB4_2454
; %bb.2449:                             ;   in Loop: Header=BB4_2249 Depth=2
	v_cmp_ne_u16_e32 vcc, s53, v17
	v_bfrev_b32_e32 v3, 1
	s_and_saveexec_b64 s[30:31], vcc
	s_cbranch_execz .LBB4_2453
; %bb.2450:                             ;   in Loop: Header=BB4_2249 Depth=2
	v_and_b32_e32 v18, 0x7f, v44
	v_cmp_ne_u32_e32 vcc, s54, v18
	v_mov_b32_e32 v3, 0x7f800001
	s_and_saveexec_b64 s[34:35], vcc
	s_cbranch_execz .LBB4_2452
; %bb.2451:                             ;   in Loop: Header=BB4_2249 Depth=2
	v_and_b32_e32 v3, 7, v17
	v_lshrrev_b32_e32 v19, 3, v18
	v_cmp_gt_u32_e32 vcc, 8, v18
	v_ffbh_u32_e32 v18, v3
	v_min_u32_e32 v20, 32, v18
	v_subrev_u32_e32 v18, 28, v20
	v_lshlrev_b64 v[17:18], v18, v[17:18]
	v_sub_u32_e32 v18, 29, v20
	v_and_b32_e32 v17, 7, v17
	v_cndmask_b32_e32 v18, v19, v18, vcc
	v_cndmask_b32_e32 v3, v3, v17, vcc
	v_lshlrev_b32_e32 v17, 24, v44
	v_lshlrev_b32_e32 v3, 20, v3
	v_and_b32_e32 v17, 0x80000000, v17
	v_lshl_add_u32 v18, v18, 23, v43
	v_or3_b32 v3, v17, v18, v3
.LBB4_2452:                             ;   in Loop: Header=BB4_2249 Depth=2
	s_or_b64 exec, exec, s[34:35]
.LBB4_2453:                             ;   in Loop: Header=BB4_2249 Depth=2
	s_or_b64 exec, exec, s[30:31]
.LBB4_2454:                             ;   in Loop: Header=BB4_2249 Depth=2
	s_or_b64 exec, exec, s[94:95]
	v_max_f32_e32 v3, v3, v3
	v_max_f32_e32 v2, v2, v2
	;; [unrolled: 1-line block ×3, first 2 shown]
	s_mov_b64 s[94:95], 0
.LBB4_2455:                             ;   in Loop: Header=BB4_2249 Depth=2
	s_and_b64 vcc, exec, s[94:95]
	s_cbranch_vccz .LBB4_2469
; %bb.2456:                             ;   in Loop: Header=BB4_2249 Depth=2
	v_mov_b32_e32 v3, 0
	v_mov_b32_e32 v2, 0
	s_and_saveexec_b64 s[94:95], s[22:23]
	s_cbranch_execz .LBB4_2462
; %bb.2457:                             ;   in Loop: Header=BB4_2249 Depth=2
	v_cmp_ne_u16_e32 vcc, s53, v16
	v_bfrev_b32_e32 v2, 1
	s_and_saveexec_b64 s[22:23], vcc
	s_cbranch_execz .LBB4_2461
; %bb.2458:                             ;   in Loop: Header=BB4_2249 Depth=2
	v_and_b32_e32 v17, 0x7f, v21
	v_cmp_ne_u32_e32 vcc, s54, v17
	v_mov_b32_e32 v2, 0x7f800001
	s_and_saveexec_b64 s[30:31], vcc
	s_cbranch_execz .LBB4_2460
; %bb.2459:                             ;   in Loop: Header=BB4_2249 Depth=2
	v_and_b32_e32 v2, 7, v16
	v_lshrrev_b32_e32 v18, 3, v17
	v_cmp_gt_u32_e32 vcc, 8, v17
	v_ffbh_u32_e32 v17, v2
	v_min_u32_e32 v19, 32, v17
	v_subrev_u32_e32 v17, 28, v19
	v_lshlrev_b64 v[16:17], v17, v[16:17]
	v_sub_u32_e32 v17, 29, v19
	v_and_b32_e32 v16, 7, v16
	v_cndmask_b32_e32 v17, v18, v17, vcc
	v_cndmask_b32_e32 v2, v2, v16, vcc
	v_lshlrev_b32_e32 v16, 24, v21
	v_lshlrev_b32_e32 v2, 20, v2
	v_and_b32_e32 v16, 0x80000000, v16
	v_lshl_add_u32 v17, v17, 23, v43
	v_or3_b32 v2, v16, v17, v2
.LBB4_2460:                             ;   in Loop: Header=BB4_2249 Depth=2
	s_or_b64 exec, exec, s[30:31]
.LBB4_2461:                             ;   in Loop: Header=BB4_2249 Depth=2
	s_or_b64 exec, exec, s[22:23]
.LBB4_2462:                             ;   in Loop: Header=BB4_2249 Depth=2
	s_or_b64 exec, exec, s[94:95]
	v_and_b32_e32 v16, 0xff, v44
	v_cmp_ne_u16_e32 vcc, 0, v16
	s_and_saveexec_b64 s[22:23], vcc
	s_cbranch_execz .LBB4_2468
; %bb.2463:                             ;   in Loop: Header=BB4_2249 Depth=2
	v_cmp_ne_u16_e32 vcc, s53, v16
	v_bfrev_b32_e32 v3, 1
	s_and_saveexec_b64 s[94:95], vcc
	s_cbranch_execz .LBB4_2467
; %bb.2464:                             ;   in Loop: Header=BB4_2249 Depth=2
	v_and_b32_e32 v17, 0x7f, v44
	v_cmp_ne_u32_e32 vcc, s54, v17
	v_mov_b32_e32 v3, 0x7f800001
	s_and_saveexec_b64 s[30:31], vcc
	s_cbranch_execz .LBB4_2466
; %bb.2465:                             ;   in Loop: Header=BB4_2249 Depth=2
	v_and_b32_e32 v3, 7, v16
	v_lshrrev_b32_e32 v18, 3, v17
	v_cmp_gt_u32_e32 vcc, 8, v17
	v_ffbh_u32_e32 v17, v3
	v_min_u32_e32 v19, 32, v17
	v_subrev_u32_e32 v17, 28, v19
	v_lshlrev_b64 v[16:17], v17, v[16:17]
	v_sub_u32_e32 v17, 29, v19
	v_and_b32_e32 v16, 7, v16
	v_cndmask_b32_e32 v17, v18, v17, vcc
	v_cndmask_b32_e32 v3, v3, v16, vcc
	v_lshlrev_b32_e32 v16, 24, v44
	v_lshlrev_b32_e32 v3, 20, v3
	v_and_b32_e32 v16, 0x80000000, v16
	v_lshl_add_u32 v17, v17, 23, v43
	v_or3_b32 v3, v16, v17, v3
.LBB4_2466:                             ;   in Loop: Header=BB4_2249 Depth=2
	s_or_b64 exec, exec, s[30:31]
.LBB4_2467:                             ;   in Loop: Header=BB4_2249 Depth=2
	s_or_b64 exec, exec, s[94:95]
.LBB4_2468:                             ;   in Loop: Header=BB4_2249 Depth=2
	s_or_b64 exec, exec, s[22:23]
	v_max_f32_e32 v3, v3, v3
	v_max_f32_e32 v2, v2, v2
	v_min_f32_e32 v2, v2, v3
.LBB4_2469:                             ;   in Loop: Header=BB4_2249 Depth=2
	v_and_b32_e32 v52, 0x7f800000, v2
	v_cmp_ne_u64_e32 vcc, s[72:73], v[52:53]
                                        ; implicit-def: $vgpr44
	s_and_saveexec_b64 s[22:23], vcc
	s_xor_b64 s[94:95], exec, s[22:23]
	s_cbranch_execz .LBB4_2487
; %bb.2470:                             ;   in Loop: Header=BB4_2249 Depth=2
	v_and_b32_e32 v52, 0x7fffffff, v2
	v_cmp_gt_u64_e32 vcc, s[74:75], v[52:53]
	v_and_b32_sdwa v18, v2, s53 dst_sel:DWORD dst_unused:UNUSED_PAD src0_sel:BYTE_3 src1_sel:DWORD
                                        ; implicit-def: $vgpr44
	s_and_saveexec_b64 s[22:23], vcc
	s_xor_b64 s[30:31], exec, s[22:23]
	s_cbranch_execz .LBB4_2484
; %bb.2471:                             ;   in Loop: Header=BB4_2249 Depth=2
	v_cmp_ne_u32_e32 vcc, 0, v2
	v_mov_b32_e32 v44, 0
	s_and_saveexec_b64 s[34:35], vcc
	s_cbranch_execz .LBB4_2483
; %bb.2472:                             ;   in Loop: Header=BB4_2249 Depth=2
	v_bfe_u32 v19, v2, 23, 8
	v_and_b32_e32 v3, 0x7fffff, v2
	v_cmp_gt_u32_e64 s[22:23], s64, v19
	v_sub_u32_e32 v2, 0x79, v19
	v_cmp_eq_u32_e32 vcc, 0, v19
	v_cndmask_b32_e64 v2, 0, v2, s[22:23]
	v_mov_b32_e32 v17, 0x78
	v_cndmask_b32_e32 v20, v2, v17, vcc
	v_or_b32_e32 v16, 0x800000, v3
	v_add_u32_e32 v2, 20, v20
	v_cndmask_b32_e32 v52, v16, v3, vcc
	v_lshlrev_b64 v[2:3], v2, -1
	v_add_u32_e32 v16, 19, v20
	v_lshlrev_b64 v[16:17], v16, 1
	v_bfi_b32 v3, v3, 0, 0
	v_bfi_b32 v2, v2, 0, v52
	v_cmp_eq_u64_e64 s[22:23], v[2:3], v[16:17]
	v_lshrrev_b64 v[16:17], v20, v[52:53]
	v_mov_b32_e32 v2, v16
	v_mov_b32_e32 v3, v17
	s_and_saveexec_b64 s[36:37], s[22:23]
; %bb.2473:                             ;   in Loop: Header=BB4_2249 Depth=2
	v_bfe_u32 v2, v16, 20, 1
	v_add_co_u32_e64 v2, s[22:23], v16, v2
	v_add_co_u32_e64 v2, s[22:23], -1, v2
; %bb.2474:                             ;   in Loop: Header=BB4_2249 Depth=2
	s_or_b64 exec, exec, s[36:37]
	v_add_u32_e32 v3, 0xffffff81, v19
	v_cndmask_b32_e32 v3, v3, v49, vcc
	v_lshrrev_b32_e32 v17, 23, v16
	v_add3_u32 v19, v20, v3, v17
	v_add_u32_e32 v3, 6, v19
	v_and_b32_e32 v2, 0xfffff, v2
	v_add_u32_e32 v52, v2, v16
	v_cmp_ne_u32_e32 vcc, 0, v3
                                        ; implicit-def: $vgpr16_vgpr17
                                        ; implicit-def: $vgpr2
	s_and_saveexec_b64 s[22:23], vcc
	s_xor_b64 s[22:23], exec, s[22:23]
; %bb.2475:                             ;   in Loop: Header=BB4_2249 Depth=2
	v_cmp_lt_u64_e32 vcc, s[76:77], v[52:53]
	v_add_u32_e32 v2, 7, v19
	v_cndmask_b32_e32 v2, v3, v2, vcc
	v_cndmask_b32_e64 v3, 0, 1, vcc
	v_lshrrev_b64 v[16:17], v3, v[52:53]
; %bb.2476:                             ;   in Loop: Header=BB4_2249 Depth=2
	s_andn2_saveexec_b64 s[22:23], s[22:23]
; %bb.2477:                             ;   in Loop: Header=BB4_2249 Depth=2
	v_mov_b32_e32 v16, v52
	v_bfe_u32 v2, v52, 23, 1
	v_mov_b32_e32 v17, v53
; %bb.2478:                             ;   in Loop: Header=BB4_2249 Depth=2
	s_or_b64 exec, exec, s[22:23]
	v_lshrrev_b64 v[16:17], 20, v[16:17]
	v_cmp_gt_i32_e32 vcc, 16, v2
	v_cndmask_b32_e32 v17, 0, v17, vcc
	v_cndmask_b32_e32 v16, 7, v16, vcc
	v_cmp_ne_u64_e32 vcc, 0, v[16:17]
	v_cmp_ne_u32_e64 s[22:23], 0, v2
	s_or_b64 s[22:23], s[22:23], vcc
                                        ; implicit-def: $vgpr44
	s_and_saveexec_b64 vcc, s[22:23]
	s_xor_b64 s[22:23], exec, vcc
; %bb.2479:                             ;   in Loop: Header=BB4_2249 Depth=2
	v_min_i32_e32 v2, 15, v2
	v_lshl_or_b32 v2, v2, 3, v18
	v_and_or_b32 v44, v16, 7, v2
                                        ; implicit-def: $vgpr18
; %bb.2480:                             ;   in Loop: Header=BB4_2249 Depth=2
	s_andn2_saveexec_b64 s[22:23], s[22:23]
; %bb.2481:                             ;   in Loop: Header=BB4_2249 Depth=2
	v_mov_b32_e32 v44, v18
; %bb.2482:                             ;   in Loop: Header=BB4_2249 Depth=2
	s_or_b64 exec, exec, s[22:23]
.LBB4_2483:                             ;   in Loop: Header=BB4_2249 Depth=2
	s_or_b64 exec, exec, s[34:35]
                                        ; implicit-def: $vgpr18
.LBB4_2484:                             ;   in Loop: Header=BB4_2249 Depth=2
	s_andn2_saveexec_b64 s[22:23], s[30:31]
; %bb.2485:                             ;   in Loop: Header=BB4_2249 Depth=2
	v_or_b32_e32 v44, 0x7e, v18
; %bb.2486:                             ;   in Loop: Header=BB4_2249 Depth=2
	s_or_b64 exec, exec, s[22:23]
                                        ; implicit-def: $vgpr2
.LBB4_2487:                             ;   in Loop: Header=BB4_2249 Depth=2
	s_andn2_saveexec_b64 s[22:23], s[94:95]
; %bb.2488:                             ;   in Loop: Header=BB4_2249 Depth=2
	v_or_b32_sdwa v44, v2, s54 dst_sel:DWORD dst_unused:UNUSED_PAD src0_sel:BYTE_3 src1_sel:DWORD
; %bb.2489:                             ;   in Loop: Header=BB4_2249 Depth=2
	s_or_b64 exec, exec, s[22:23]
	v_and_b32_e32 v16, 0xff, v62
	v_cmp_ne_u16_e64 s[22:23], 0, v16
	s_and_b64 vcc, exec, s[20:21]
	s_mov_b64 s[94:95], -1
                                        ; implicit-def: $vgpr2
	s_cbranch_vccnz .LBB4_2503
; %bb.2490:                             ;   in Loop: Header=BB4_2249 Depth=2
	v_mov_b32_e32 v3, 0
	v_mov_b32_e32 v2, 0
	s_and_saveexec_b64 s[94:95], s[22:23]
	s_cbranch_execz .LBB4_2496
; %bb.2491:                             ;   in Loop: Header=BB4_2249 Depth=2
	v_cmp_ne_u16_e32 vcc, s53, v16
	v_bfrev_b32_e32 v2, 1
	s_and_saveexec_b64 s[30:31], vcc
	s_cbranch_execz .LBB4_2495
; %bb.2492:                             ;   in Loop: Header=BB4_2249 Depth=2
	v_and_b32_e32 v17, 0x7f, v62
	v_cmp_ne_u32_e32 vcc, s54, v17
	v_mov_b32_e32 v2, 0x7f800001
	s_and_saveexec_b64 s[34:35], vcc
	s_cbranch_execz .LBB4_2494
; %bb.2493:                             ;   in Loop: Header=BB4_2249 Depth=2
	v_and_b32_e32 v2, 7, v16
	v_lshrrev_b32_e32 v19, 3, v17
	v_cmp_gt_u32_e32 vcc, 8, v17
	v_ffbh_u32_e32 v17, v2
	v_min_u32_e32 v20, 32, v17
	v_subrev_u32_e32 v17, 28, v20
	v_lshlrev_b64 v[17:18], v17, v[16:17]
	v_sub_u32_e32 v18, 29, v20
	v_and_b32_e32 v17, 7, v17
	v_cndmask_b32_e32 v18, v19, v18, vcc
	v_cndmask_b32_e32 v2, v2, v17, vcc
	v_lshlrev_b32_e32 v17, 24, v62
	v_lshlrev_b32_e32 v2, 20, v2
	v_and_b32_e32 v17, 0x80000000, v17
	v_lshl_add_u32 v18, v18, 23, v43
	v_or3_b32 v2, v17, v18, v2
.LBB4_2494:                             ;   in Loop: Header=BB4_2249 Depth=2
	s_or_b64 exec, exec, s[34:35]
.LBB4_2495:                             ;   in Loop: Header=BB4_2249 Depth=2
	s_or_b64 exec, exec, s[30:31]
.LBB4_2496:                             ;   in Loop: Header=BB4_2249 Depth=2
	s_or_b64 exec, exec, s[94:95]
	v_and_b32_e32 v17, 0xff, v46
	v_cmp_ne_u16_e32 vcc, 0, v17
	s_and_saveexec_b64 s[94:95], vcc
	s_cbranch_execz .LBB4_2502
; %bb.2497:                             ;   in Loop: Header=BB4_2249 Depth=2
	v_cmp_ne_u16_e32 vcc, s53, v17
	v_bfrev_b32_e32 v3, 1
	s_and_saveexec_b64 s[30:31], vcc
	s_cbranch_execz .LBB4_2501
; %bb.2498:                             ;   in Loop: Header=BB4_2249 Depth=2
	v_and_b32_e32 v18, 0x7f, v46
	v_cmp_ne_u32_e32 vcc, s54, v18
	v_mov_b32_e32 v3, 0x7f800001
	s_and_saveexec_b64 s[34:35], vcc
	s_cbranch_execz .LBB4_2500
; %bb.2499:                             ;   in Loop: Header=BB4_2249 Depth=2
	v_and_b32_e32 v3, 7, v17
	v_lshrrev_b32_e32 v19, 3, v18
	v_cmp_gt_u32_e32 vcc, 8, v18
	v_ffbh_u32_e32 v18, v3
	v_min_u32_e32 v20, 32, v18
	v_subrev_u32_e32 v18, 28, v20
	v_lshlrev_b64 v[17:18], v18, v[17:18]
	v_sub_u32_e32 v18, 29, v20
	v_and_b32_e32 v17, 7, v17
	v_cndmask_b32_e32 v18, v19, v18, vcc
	v_cndmask_b32_e32 v3, v3, v17, vcc
	v_lshlrev_b32_e32 v17, 24, v46
	v_lshlrev_b32_e32 v3, 20, v3
	v_and_b32_e32 v17, 0x80000000, v17
	v_lshl_add_u32 v18, v18, 23, v43
	v_or3_b32 v3, v17, v18, v3
.LBB4_2500:                             ;   in Loop: Header=BB4_2249 Depth=2
	s_or_b64 exec, exec, s[34:35]
.LBB4_2501:                             ;   in Loop: Header=BB4_2249 Depth=2
	s_or_b64 exec, exec, s[30:31]
.LBB4_2502:                             ;   in Loop: Header=BB4_2249 Depth=2
	s_or_b64 exec, exec, s[94:95]
	v_max_f32_e32 v3, v3, v3
	v_max_f32_e32 v2, v2, v2
	;; [unrolled: 1-line block ×3, first 2 shown]
	s_mov_b64 s[94:95], 0
.LBB4_2503:                             ;   in Loop: Header=BB4_2249 Depth=2
	s_and_b64 vcc, exec, s[94:95]
	s_cbranch_vccz .LBB4_2517
; %bb.2504:                             ;   in Loop: Header=BB4_2249 Depth=2
	v_mov_b32_e32 v3, 0
	v_mov_b32_e32 v2, 0
	s_and_saveexec_b64 s[94:95], s[22:23]
	s_cbranch_execz .LBB4_2510
; %bb.2505:                             ;   in Loop: Header=BB4_2249 Depth=2
	v_cmp_ne_u16_e32 vcc, s53, v16
	v_bfrev_b32_e32 v2, 1
	s_and_saveexec_b64 s[22:23], vcc
	s_cbranch_execz .LBB4_2509
; %bb.2506:                             ;   in Loop: Header=BB4_2249 Depth=2
	v_and_b32_e32 v17, 0x7f, v62
	v_cmp_ne_u32_e32 vcc, s54, v17
	v_mov_b32_e32 v2, 0x7f800001
	s_and_saveexec_b64 s[30:31], vcc
	s_cbranch_execz .LBB4_2508
; %bb.2507:                             ;   in Loop: Header=BB4_2249 Depth=2
	v_and_b32_e32 v2, 7, v16
	v_lshrrev_b32_e32 v18, 3, v17
	v_cmp_gt_u32_e32 vcc, 8, v17
	v_ffbh_u32_e32 v17, v2
	v_min_u32_e32 v19, 32, v17
	v_subrev_u32_e32 v17, 28, v19
	v_lshlrev_b64 v[16:17], v17, v[16:17]
	v_sub_u32_e32 v17, 29, v19
	v_and_b32_e32 v16, 7, v16
	v_cndmask_b32_e32 v17, v18, v17, vcc
	v_cndmask_b32_e32 v2, v2, v16, vcc
	v_lshlrev_b32_e32 v16, 24, v62
	v_lshlrev_b32_e32 v2, 20, v2
	v_and_b32_e32 v16, 0x80000000, v16
	v_lshl_add_u32 v17, v17, 23, v43
	v_or3_b32 v2, v16, v17, v2
.LBB4_2508:                             ;   in Loop: Header=BB4_2249 Depth=2
	s_or_b64 exec, exec, s[30:31]
.LBB4_2509:                             ;   in Loop: Header=BB4_2249 Depth=2
	s_or_b64 exec, exec, s[22:23]
.LBB4_2510:                             ;   in Loop: Header=BB4_2249 Depth=2
	s_or_b64 exec, exec, s[94:95]
	v_and_b32_e32 v16, 0xff, v46
	v_cmp_ne_u16_e32 vcc, 0, v16
	s_and_saveexec_b64 s[22:23], vcc
	s_cbranch_execz .LBB4_2516
; %bb.2511:                             ;   in Loop: Header=BB4_2249 Depth=2
	v_cmp_ne_u16_e32 vcc, s53, v16
	v_bfrev_b32_e32 v3, 1
	s_and_saveexec_b64 s[94:95], vcc
	s_cbranch_execz .LBB4_2515
; %bb.2512:                             ;   in Loop: Header=BB4_2249 Depth=2
	v_and_b32_e32 v17, 0x7f, v46
	v_cmp_ne_u32_e32 vcc, s54, v17
	v_mov_b32_e32 v3, 0x7f800001
	s_and_saveexec_b64 s[30:31], vcc
	s_cbranch_execz .LBB4_2514
; %bb.2513:                             ;   in Loop: Header=BB4_2249 Depth=2
	v_and_b32_e32 v3, 7, v16
	v_lshrrev_b32_e32 v18, 3, v17
	v_cmp_gt_u32_e32 vcc, 8, v17
	v_ffbh_u32_e32 v17, v3
	v_min_u32_e32 v19, 32, v17
	v_subrev_u32_e32 v17, 28, v19
	v_lshlrev_b64 v[16:17], v17, v[16:17]
	v_sub_u32_e32 v17, 29, v19
	v_and_b32_e32 v16, 7, v16
	v_cndmask_b32_e32 v17, v18, v17, vcc
	v_cndmask_b32_e32 v3, v3, v16, vcc
	v_lshlrev_b32_e32 v16, 24, v46
	v_lshlrev_b32_e32 v3, 20, v3
	v_and_b32_e32 v16, 0x80000000, v16
	v_lshl_add_u32 v17, v17, 23, v43
	v_or3_b32 v3, v16, v17, v3
.LBB4_2514:                             ;   in Loop: Header=BB4_2249 Depth=2
	s_or_b64 exec, exec, s[30:31]
.LBB4_2515:                             ;   in Loop: Header=BB4_2249 Depth=2
	s_or_b64 exec, exec, s[94:95]
.LBB4_2516:                             ;   in Loop: Header=BB4_2249 Depth=2
	s_or_b64 exec, exec, s[22:23]
	v_max_f32_e32 v3, v3, v3
	v_max_f32_e32 v2, v2, v2
	v_min_f32_e32 v2, v2, v3
.LBB4_2517:                             ;   in Loop: Header=BB4_2249 Depth=2
	v_and_b32_e32 v52, 0x7f800000, v2
	v_cmp_ne_u64_e32 vcc, s[72:73], v[52:53]
                                        ; implicit-def: $vgpr46
	s_and_saveexec_b64 s[22:23], vcc
	s_xor_b64 s[94:95], exec, s[22:23]
	s_cbranch_execz .LBB4_2535
; %bb.2518:                             ;   in Loop: Header=BB4_2249 Depth=2
	v_and_b32_e32 v52, 0x7fffffff, v2
	v_cmp_gt_u64_e32 vcc, s[74:75], v[52:53]
	v_and_b32_sdwa v18, v2, s53 dst_sel:DWORD dst_unused:UNUSED_PAD src0_sel:BYTE_3 src1_sel:DWORD
                                        ; implicit-def: $vgpr46
	s_and_saveexec_b64 s[22:23], vcc
	s_xor_b64 s[30:31], exec, s[22:23]
	s_cbranch_execz .LBB4_2532
; %bb.2519:                             ;   in Loop: Header=BB4_2249 Depth=2
	v_cmp_ne_u32_e32 vcc, 0, v2
	v_mov_b32_e32 v46, 0
	s_and_saveexec_b64 s[34:35], vcc
	s_cbranch_execz .LBB4_2531
; %bb.2520:                             ;   in Loop: Header=BB4_2249 Depth=2
	v_bfe_u32 v19, v2, 23, 8
	v_and_b32_e32 v3, 0x7fffff, v2
	v_cmp_gt_u32_e64 s[22:23], s64, v19
	v_sub_u32_e32 v2, 0x79, v19
	v_cmp_eq_u32_e32 vcc, 0, v19
	v_cndmask_b32_e64 v2, 0, v2, s[22:23]
	v_mov_b32_e32 v17, 0x78
	v_cndmask_b32_e32 v20, v2, v17, vcc
	v_or_b32_e32 v16, 0x800000, v3
	v_add_u32_e32 v2, 20, v20
	v_cndmask_b32_e32 v52, v16, v3, vcc
	v_lshlrev_b64 v[2:3], v2, -1
	v_add_u32_e32 v16, 19, v20
	v_lshlrev_b64 v[16:17], v16, 1
	v_bfi_b32 v3, v3, 0, 0
	v_bfi_b32 v2, v2, 0, v52
	v_cmp_eq_u64_e64 s[22:23], v[2:3], v[16:17]
	v_lshrrev_b64 v[16:17], v20, v[52:53]
	v_mov_b32_e32 v2, v16
	v_mov_b32_e32 v3, v17
	s_and_saveexec_b64 s[36:37], s[22:23]
; %bb.2521:                             ;   in Loop: Header=BB4_2249 Depth=2
	v_bfe_u32 v2, v16, 20, 1
	v_add_co_u32_e64 v2, s[22:23], v16, v2
	v_add_co_u32_e64 v2, s[22:23], -1, v2
; %bb.2522:                             ;   in Loop: Header=BB4_2249 Depth=2
	s_or_b64 exec, exec, s[36:37]
	v_add_u32_e32 v3, 0xffffff81, v19
	v_cndmask_b32_e32 v3, v3, v49, vcc
	v_lshrrev_b32_e32 v17, 23, v16
	v_add3_u32 v19, v20, v3, v17
	v_add_u32_e32 v3, 6, v19
	v_and_b32_e32 v2, 0xfffff, v2
	v_add_u32_e32 v52, v2, v16
	v_cmp_ne_u32_e32 vcc, 0, v3
                                        ; implicit-def: $vgpr16_vgpr17
                                        ; implicit-def: $vgpr2
	s_and_saveexec_b64 s[22:23], vcc
	s_xor_b64 s[22:23], exec, s[22:23]
; %bb.2523:                             ;   in Loop: Header=BB4_2249 Depth=2
	v_cmp_lt_u64_e32 vcc, s[76:77], v[52:53]
	v_add_u32_e32 v2, 7, v19
	v_cndmask_b32_e32 v2, v3, v2, vcc
	v_cndmask_b32_e64 v3, 0, 1, vcc
	v_lshrrev_b64 v[16:17], v3, v[52:53]
; %bb.2524:                             ;   in Loop: Header=BB4_2249 Depth=2
	s_andn2_saveexec_b64 s[22:23], s[22:23]
; %bb.2525:                             ;   in Loop: Header=BB4_2249 Depth=2
	v_mov_b32_e32 v16, v52
	v_bfe_u32 v2, v52, 23, 1
	v_mov_b32_e32 v17, v53
; %bb.2526:                             ;   in Loop: Header=BB4_2249 Depth=2
	s_or_b64 exec, exec, s[22:23]
	v_lshrrev_b64 v[16:17], 20, v[16:17]
	v_cmp_gt_i32_e32 vcc, 16, v2
	v_cndmask_b32_e32 v17, 0, v17, vcc
	v_cndmask_b32_e32 v16, 7, v16, vcc
	v_cmp_ne_u64_e32 vcc, 0, v[16:17]
	v_cmp_ne_u32_e64 s[22:23], 0, v2
	s_or_b64 s[22:23], s[22:23], vcc
                                        ; implicit-def: $vgpr46
	s_and_saveexec_b64 vcc, s[22:23]
	s_xor_b64 s[22:23], exec, vcc
; %bb.2527:                             ;   in Loop: Header=BB4_2249 Depth=2
	v_min_i32_e32 v2, 15, v2
	v_lshl_or_b32 v2, v2, 3, v18
	v_and_or_b32 v46, v16, 7, v2
                                        ; implicit-def: $vgpr18
; %bb.2528:                             ;   in Loop: Header=BB4_2249 Depth=2
	s_andn2_saveexec_b64 s[22:23], s[22:23]
; %bb.2529:                             ;   in Loop: Header=BB4_2249 Depth=2
	v_mov_b32_e32 v46, v18
; %bb.2530:                             ;   in Loop: Header=BB4_2249 Depth=2
	s_or_b64 exec, exec, s[22:23]
.LBB4_2531:                             ;   in Loop: Header=BB4_2249 Depth=2
	s_or_b64 exec, exec, s[34:35]
                                        ; implicit-def: $vgpr18
.LBB4_2532:                             ;   in Loop: Header=BB4_2249 Depth=2
	s_andn2_saveexec_b64 s[22:23], s[30:31]
; %bb.2533:                             ;   in Loop: Header=BB4_2249 Depth=2
	v_or_b32_e32 v46, 0x7e, v18
; %bb.2534:                             ;   in Loop: Header=BB4_2249 Depth=2
	s_or_b64 exec, exec, s[22:23]
                                        ; implicit-def: $vgpr2
.LBB4_2535:                             ;   in Loop: Header=BB4_2249 Depth=2
	s_andn2_saveexec_b64 s[22:23], s[94:95]
; %bb.2536:                             ;   in Loop: Header=BB4_2249 Depth=2
	v_or_b32_sdwa v46, v2, s54 dst_sel:DWORD dst_unused:UNUSED_PAD src0_sel:BYTE_3 src1_sel:DWORD
; %bb.2537:                             ;   in Loop: Header=BB4_2249 Depth=2
	s_or_b64 exec, exec, s[22:23]
	v_and_b32_e32 v16, 0xff, v61
	v_cmp_ne_u16_e64 s[22:23], 0, v16
	s_and_b64 vcc, exec, s[20:21]
	s_mov_b64 s[94:95], -1
                                        ; implicit-def: $vgpr2
	s_cbranch_vccnz .LBB4_2551
; %bb.2538:                             ;   in Loop: Header=BB4_2249 Depth=2
	v_mov_b32_e32 v3, 0
	v_mov_b32_e32 v2, 0
	s_and_saveexec_b64 s[94:95], s[22:23]
	s_cbranch_execz .LBB4_2544
; %bb.2539:                             ;   in Loop: Header=BB4_2249 Depth=2
	v_cmp_ne_u16_e32 vcc, s53, v16
	v_bfrev_b32_e32 v2, 1
	s_and_saveexec_b64 s[30:31], vcc
	s_cbranch_execz .LBB4_2543
; %bb.2540:                             ;   in Loop: Header=BB4_2249 Depth=2
	v_and_b32_e32 v17, 0x7f, v61
	v_cmp_ne_u32_e32 vcc, s54, v17
	v_mov_b32_e32 v2, 0x7f800001
	s_and_saveexec_b64 s[34:35], vcc
	s_cbranch_execz .LBB4_2542
; %bb.2541:                             ;   in Loop: Header=BB4_2249 Depth=2
	v_and_b32_e32 v2, 7, v16
	v_lshrrev_b32_e32 v19, 3, v17
	v_cmp_gt_u32_e32 vcc, 8, v17
	v_ffbh_u32_e32 v17, v2
	v_min_u32_e32 v20, 32, v17
	v_subrev_u32_e32 v17, 28, v20
	v_lshlrev_b64 v[17:18], v17, v[16:17]
	v_sub_u32_e32 v18, 29, v20
	v_and_b32_e32 v17, 7, v17
	v_cndmask_b32_e32 v18, v19, v18, vcc
	v_cndmask_b32_e32 v2, v2, v17, vcc
	v_lshlrev_b32_e32 v17, 24, v61
	v_lshlrev_b32_e32 v2, 20, v2
	v_and_b32_e32 v17, 0x80000000, v17
	v_lshl_add_u32 v18, v18, 23, v43
	v_or3_b32 v2, v17, v18, v2
.LBB4_2542:                             ;   in Loop: Header=BB4_2249 Depth=2
	s_or_b64 exec, exec, s[34:35]
.LBB4_2543:                             ;   in Loop: Header=BB4_2249 Depth=2
	s_or_b64 exec, exec, s[30:31]
.LBB4_2544:                             ;   in Loop: Header=BB4_2249 Depth=2
	s_or_b64 exec, exec, s[94:95]
	v_and_b32_e32 v17, 0xff, v57
	v_cmp_ne_u16_e32 vcc, 0, v17
	s_and_saveexec_b64 s[94:95], vcc
	s_cbranch_execz .LBB4_2550
; %bb.2545:                             ;   in Loop: Header=BB4_2249 Depth=2
	v_cmp_ne_u16_e32 vcc, s53, v17
	v_bfrev_b32_e32 v3, 1
	s_and_saveexec_b64 s[30:31], vcc
	s_cbranch_execz .LBB4_2549
; %bb.2546:                             ;   in Loop: Header=BB4_2249 Depth=2
	v_and_b32_e32 v18, 0x7f, v57
	v_cmp_ne_u32_e32 vcc, s54, v18
	v_mov_b32_e32 v3, 0x7f800001
	s_and_saveexec_b64 s[34:35], vcc
	s_cbranch_execz .LBB4_2548
; %bb.2547:                             ;   in Loop: Header=BB4_2249 Depth=2
	v_and_b32_e32 v3, 7, v17
	v_lshrrev_b32_e32 v19, 3, v18
	v_cmp_gt_u32_e32 vcc, 8, v18
	v_ffbh_u32_e32 v18, v3
	v_min_u32_e32 v20, 32, v18
	v_subrev_u32_e32 v18, 28, v20
	v_lshlrev_b64 v[17:18], v18, v[17:18]
	v_sub_u32_e32 v18, 29, v20
	v_and_b32_e32 v17, 7, v17
	v_cndmask_b32_e32 v18, v19, v18, vcc
	v_cndmask_b32_e32 v3, v3, v17, vcc
	v_lshlrev_b32_e32 v17, 24, v57
	v_lshlrev_b32_e32 v3, 20, v3
	v_and_b32_e32 v17, 0x80000000, v17
	v_lshl_add_u32 v18, v18, 23, v43
	v_or3_b32 v3, v17, v18, v3
.LBB4_2548:                             ;   in Loop: Header=BB4_2249 Depth=2
	s_or_b64 exec, exec, s[34:35]
.LBB4_2549:                             ;   in Loop: Header=BB4_2249 Depth=2
	s_or_b64 exec, exec, s[30:31]
.LBB4_2550:                             ;   in Loop: Header=BB4_2249 Depth=2
	s_or_b64 exec, exec, s[94:95]
	v_max_f32_e32 v3, v3, v3
	v_max_f32_e32 v2, v2, v2
	;; [unrolled: 1-line block ×3, first 2 shown]
	s_mov_b64 s[94:95], 0
.LBB4_2551:                             ;   in Loop: Header=BB4_2249 Depth=2
	s_and_b64 vcc, exec, s[94:95]
	s_cbranch_vccz .LBB4_2565
; %bb.2552:                             ;   in Loop: Header=BB4_2249 Depth=2
	v_mov_b32_e32 v3, 0
	v_mov_b32_e32 v2, 0
	s_and_saveexec_b64 s[94:95], s[22:23]
	s_cbranch_execz .LBB4_2558
; %bb.2553:                             ;   in Loop: Header=BB4_2249 Depth=2
	v_cmp_ne_u16_e32 vcc, s53, v16
	v_bfrev_b32_e32 v2, 1
	s_and_saveexec_b64 s[22:23], vcc
	s_cbranch_execz .LBB4_2557
; %bb.2554:                             ;   in Loop: Header=BB4_2249 Depth=2
	v_and_b32_e32 v17, 0x7f, v61
	v_cmp_ne_u32_e32 vcc, s54, v17
	v_mov_b32_e32 v2, 0x7f800001
	s_and_saveexec_b64 s[30:31], vcc
	s_cbranch_execz .LBB4_2556
; %bb.2555:                             ;   in Loop: Header=BB4_2249 Depth=2
	v_and_b32_e32 v2, 7, v16
	v_lshrrev_b32_e32 v18, 3, v17
	v_cmp_gt_u32_e32 vcc, 8, v17
	v_ffbh_u32_e32 v17, v2
	v_min_u32_e32 v19, 32, v17
	v_subrev_u32_e32 v17, 28, v19
	v_lshlrev_b64 v[16:17], v17, v[16:17]
	v_sub_u32_e32 v17, 29, v19
	v_and_b32_e32 v16, 7, v16
	v_cndmask_b32_e32 v17, v18, v17, vcc
	v_cndmask_b32_e32 v2, v2, v16, vcc
	v_lshlrev_b32_e32 v16, 24, v61
	v_lshlrev_b32_e32 v2, 20, v2
	v_and_b32_e32 v16, 0x80000000, v16
	v_lshl_add_u32 v17, v17, 23, v43
	v_or3_b32 v2, v16, v17, v2
.LBB4_2556:                             ;   in Loop: Header=BB4_2249 Depth=2
	s_or_b64 exec, exec, s[30:31]
.LBB4_2557:                             ;   in Loop: Header=BB4_2249 Depth=2
	s_or_b64 exec, exec, s[22:23]
.LBB4_2558:                             ;   in Loop: Header=BB4_2249 Depth=2
	s_or_b64 exec, exec, s[94:95]
	v_and_b32_e32 v16, 0xff, v57
	v_cmp_ne_u16_e32 vcc, 0, v16
	s_and_saveexec_b64 s[22:23], vcc
	s_cbranch_execz .LBB4_2564
; %bb.2559:                             ;   in Loop: Header=BB4_2249 Depth=2
	v_cmp_ne_u16_e32 vcc, s53, v16
	v_bfrev_b32_e32 v3, 1
	s_and_saveexec_b64 s[94:95], vcc
	s_cbranch_execz .LBB4_2563
; %bb.2560:                             ;   in Loop: Header=BB4_2249 Depth=2
	v_and_b32_e32 v17, 0x7f, v57
	v_cmp_ne_u32_e32 vcc, s54, v17
	v_mov_b32_e32 v3, 0x7f800001
	s_and_saveexec_b64 s[30:31], vcc
	s_cbranch_execz .LBB4_2562
; %bb.2561:                             ;   in Loop: Header=BB4_2249 Depth=2
	v_and_b32_e32 v3, 7, v16
	v_lshrrev_b32_e32 v18, 3, v17
	v_cmp_gt_u32_e32 vcc, 8, v17
	v_ffbh_u32_e32 v17, v3
	v_min_u32_e32 v19, 32, v17
	v_subrev_u32_e32 v17, 28, v19
	v_lshlrev_b64 v[16:17], v17, v[16:17]
	v_sub_u32_e32 v17, 29, v19
	v_and_b32_e32 v16, 7, v16
	v_cndmask_b32_e32 v17, v18, v17, vcc
	v_cndmask_b32_e32 v3, v3, v16, vcc
	v_lshlrev_b32_e32 v16, 24, v57
	v_lshlrev_b32_e32 v3, 20, v3
	v_and_b32_e32 v16, 0x80000000, v16
	v_lshl_add_u32 v17, v17, 23, v43
	v_or3_b32 v3, v16, v17, v3
.LBB4_2562:                             ;   in Loop: Header=BB4_2249 Depth=2
	s_or_b64 exec, exec, s[30:31]
.LBB4_2563:                             ;   in Loop: Header=BB4_2249 Depth=2
	s_or_b64 exec, exec, s[94:95]
.LBB4_2564:                             ;   in Loop: Header=BB4_2249 Depth=2
	s_or_b64 exec, exec, s[22:23]
	v_max_f32_e32 v3, v3, v3
	v_max_f32_e32 v2, v2, v2
	v_min_f32_e32 v2, v2, v3
.LBB4_2565:                             ;   in Loop: Header=BB4_2249 Depth=2
	v_and_b32_e32 v52, 0x7f800000, v2
	v_cmp_ne_u64_e32 vcc, s[72:73], v[52:53]
                                        ; implicit-def: $vgpr57
	s_and_saveexec_b64 s[22:23], vcc
	s_xor_b64 s[94:95], exec, s[22:23]
	s_cbranch_execz .LBB4_2583
; %bb.2566:                             ;   in Loop: Header=BB4_2249 Depth=2
	v_and_b32_e32 v52, 0x7fffffff, v2
	v_cmp_gt_u64_e32 vcc, s[74:75], v[52:53]
	v_and_b32_sdwa v18, v2, s53 dst_sel:DWORD dst_unused:UNUSED_PAD src0_sel:BYTE_3 src1_sel:DWORD
                                        ; implicit-def: $vgpr57
	s_and_saveexec_b64 s[22:23], vcc
	s_xor_b64 s[30:31], exec, s[22:23]
	s_cbranch_execz .LBB4_2580
; %bb.2567:                             ;   in Loop: Header=BB4_2249 Depth=2
	v_cmp_ne_u32_e32 vcc, 0, v2
	v_mov_b32_e32 v57, 0
	s_and_saveexec_b64 s[34:35], vcc
	s_cbranch_execz .LBB4_2579
; %bb.2568:                             ;   in Loop: Header=BB4_2249 Depth=2
	v_bfe_u32 v19, v2, 23, 8
	v_and_b32_e32 v3, 0x7fffff, v2
	v_cmp_gt_u32_e64 s[22:23], s64, v19
	v_sub_u32_e32 v2, 0x79, v19
	v_cmp_eq_u32_e32 vcc, 0, v19
	v_cndmask_b32_e64 v2, 0, v2, s[22:23]
	v_mov_b32_e32 v17, 0x78
	v_cndmask_b32_e32 v20, v2, v17, vcc
	v_or_b32_e32 v16, 0x800000, v3
	v_add_u32_e32 v2, 20, v20
	v_cndmask_b32_e32 v52, v16, v3, vcc
	v_lshlrev_b64 v[2:3], v2, -1
	v_add_u32_e32 v16, 19, v20
	v_lshlrev_b64 v[16:17], v16, 1
	v_bfi_b32 v3, v3, 0, 0
	v_bfi_b32 v2, v2, 0, v52
	v_cmp_eq_u64_e64 s[22:23], v[2:3], v[16:17]
	v_lshrrev_b64 v[16:17], v20, v[52:53]
	v_mov_b32_e32 v2, v16
	v_mov_b32_e32 v3, v17
	s_and_saveexec_b64 s[36:37], s[22:23]
; %bb.2569:                             ;   in Loop: Header=BB4_2249 Depth=2
	v_bfe_u32 v2, v16, 20, 1
	v_add_co_u32_e64 v2, s[22:23], v16, v2
	v_add_co_u32_e64 v2, s[22:23], -1, v2
; %bb.2570:                             ;   in Loop: Header=BB4_2249 Depth=2
	s_or_b64 exec, exec, s[36:37]
	v_add_u32_e32 v3, 0xffffff81, v19
	v_cndmask_b32_e32 v3, v3, v49, vcc
	v_lshrrev_b32_e32 v17, 23, v16
	v_add3_u32 v19, v20, v3, v17
	v_add_u32_e32 v3, 6, v19
	v_and_b32_e32 v2, 0xfffff, v2
	v_add_u32_e32 v52, v2, v16
	v_cmp_ne_u32_e32 vcc, 0, v3
                                        ; implicit-def: $vgpr16_vgpr17
                                        ; implicit-def: $vgpr2
	s_and_saveexec_b64 s[22:23], vcc
	s_xor_b64 s[22:23], exec, s[22:23]
; %bb.2571:                             ;   in Loop: Header=BB4_2249 Depth=2
	v_cmp_lt_u64_e32 vcc, s[76:77], v[52:53]
	v_add_u32_e32 v2, 7, v19
	v_cndmask_b32_e32 v2, v3, v2, vcc
	v_cndmask_b32_e64 v3, 0, 1, vcc
	v_lshrrev_b64 v[16:17], v3, v[52:53]
; %bb.2572:                             ;   in Loop: Header=BB4_2249 Depth=2
	s_andn2_saveexec_b64 s[22:23], s[22:23]
; %bb.2573:                             ;   in Loop: Header=BB4_2249 Depth=2
	v_mov_b32_e32 v16, v52
	v_bfe_u32 v2, v52, 23, 1
	v_mov_b32_e32 v17, v53
; %bb.2574:                             ;   in Loop: Header=BB4_2249 Depth=2
	s_or_b64 exec, exec, s[22:23]
	v_lshrrev_b64 v[16:17], 20, v[16:17]
	v_cmp_gt_i32_e32 vcc, 16, v2
	v_cndmask_b32_e32 v17, 0, v17, vcc
	v_cndmask_b32_e32 v16, 7, v16, vcc
	v_cmp_ne_u64_e32 vcc, 0, v[16:17]
	v_cmp_ne_u32_e64 s[22:23], 0, v2
	s_or_b64 s[22:23], s[22:23], vcc
                                        ; implicit-def: $vgpr57
	s_and_saveexec_b64 vcc, s[22:23]
	s_xor_b64 s[22:23], exec, vcc
; %bb.2575:                             ;   in Loop: Header=BB4_2249 Depth=2
	v_min_i32_e32 v2, 15, v2
	v_lshl_or_b32 v2, v2, 3, v18
	v_and_or_b32 v57, v16, 7, v2
                                        ; implicit-def: $vgpr18
; %bb.2576:                             ;   in Loop: Header=BB4_2249 Depth=2
	s_andn2_saveexec_b64 s[22:23], s[22:23]
; %bb.2577:                             ;   in Loop: Header=BB4_2249 Depth=2
	v_mov_b32_e32 v57, v18
; %bb.2578:                             ;   in Loop: Header=BB4_2249 Depth=2
	s_or_b64 exec, exec, s[22:23]
.LBB4_2579:                             ;   in Loop: Header=BB4_2249 Depth=2
	s_or_b64 exec, exec, s[34:35]
                                        ; implicit-def: $vgpr18
.LBB4_2580:                             ;   in Loop: Header=BB4_2249 Depth=2
	s_andn2_saveexec_b64 s[22:23], s[30:31]
; %bb.2581:                             ;   in Loop: Header=BB4_2249 Depth=2
	v_or_b32_e32 v57, 0x7e, v18
; %bb.2582:                             ;   in Loop: Header=BB4_2249 Depth=2
	s_or_b64 exec, exec, s[22:23]
                                        ; implicit-def: $vgpr2
.LBB4_2583:                             ;   in Loop: Header=BB4_2249 Depth=2
	s_andn2_saveexec_b64 s[22:23], s[94:95]
; %bb.2584:                             ;   in Loop: Header=BB4_2249 Depth=2
	v_or_b32_sdwa v57, v2, s54 dst_sel:DWORD dst_unused:UNUSED_PAD src0_sel:BYTE_3 src1_sel:DWORD
; %bb.2585:                             ;   in Loop: Header=BB4_2249 Depth=2
	s_or_b64 exec, exec, s[22:23]
	v_and_b32_e32 v16, 0xff, v60
	v_cmp_ne_u16_e64 s[22:23], 0, v16
	s_and_b64 vcc, exec, s[20:21]
	s_mov_b64 s[94:95], -1
                                        ; implicit-def: $vgpr2
	s_cbranch_vccnz .LBB4_2599
; %bb.2586:                             ;   in Loop: Header=BB4_2249 Depth=2
	v_mov_b32_e32 v3, 0
	v_mov_b32_e32 v2, 0
	s_and_saveexec_b64 s[94:95], s[22:23]
	s_cbranch_execz .LBB4_2592
; %bb.2587:                             ;   in Loop: Header=BB4_2249 Depth=2
	v_cmp_ne_u16_e32 vcc, s53, v16
	v_bfrev_b32_e32 v2, 1
	s_and_saveexec_b64 s[30:31], vcc
	s_cbranch_execz .LBB4_2591
; %bb.2588:                             ;   in Loop: Header=BB4_2249 Depth=2
	v_and_b32_e32 v17, 0x7f, v60
	v_cmp_ne_u32_e32 vcc, s54, v17
	v_mov_b32_e32 v2, 0x7f800001
	s_and_saveexec_b64 s[34:35], vcc
	s_cbranch_execz .LBB4_2590
; %bb.2589:                             ;   in Loop: Header=BB4_2249 Depth=2
	v_and_b32_e32 v2, 7, v16
	v_lshrrev_b32_e32 v19, 3, v17
	v_cmp_gt_u32_e32 vcc, 8, v17
	v_ffbh_u32_e32 v17, v2
	v_min_u32_e32 v20, 32, v17
	v_subrev_u32_e32 v17, 28, v20
	v_lshlrev_b64 v[17:18], v17, v[16:17]
	v_sub_u32_e32 v18, 29, v20
	v_and_b32_e32 v17, 7, v17
	v_cndmask_b32_e32 v18, v19, v18, vcc
	v_cndmask_b32_e32 v2, v2, v17, vcc
	v_lshlrev_b32_e32 v17, 24, v60
	v_lshlrev_b32_e32 v2, 20, v2
	v_and_b32_e32 v17, 0x80000000, v17
	v_lshl_add_u32 v18, v18, 23, v43
	v_or3_b32 v2, v17, v18, v2
.LBB4_2590:                             ;   in Loop: Header=BB4_2249 Depth=2
	s_or_b64 exec, exec, s[34:35]
.LBB4_2591:                             ;   in Loop: Header=BB4_2249 Depth=2
	s_or_b64 exec, exec, s[30:31]
.LBB4_2592:                             ;   in Loop: Header=BB4_2249 Depth=2
	s_or_b64 exec, exec, s[94:95]
	v_and_b32_e32 v17, 0xff, v59
	v_cmp_ne_u16_e32 vcc, 0, v17
	s_and_saveexec_b64 s[94:95], vcc
	s_cbranch_execz .LBB4_2598
; %bb.2593:                             ;   in Loop: Header=BB4_2249 Depth=2
	v_cmp_ne_u16_e32 vcc, s53, v17
	v_bfrev_b32_e32 v3, 1
	s_and_saveexec_b64 s[30:31], vcc
	s_cbranch_execz .LBB4_2597
; %bb.2594:                             ;   in Loop: Header=BB4_2249 Depth=2
	v_and_b32_e32 v18, 0x7f, v59
	v_cmp_ne_u32_e32 vcc, s54, v18
	v_mov_b32_e32 v3, 0x7f800001
	s_and_saveexec_b64 s[34:35], vcc
	s_cbranch_execz .LBB4_2596
; %bb.2595:                             ;   in Loop: Header=BB4_2249 Depth=2
	v_and_b32_e32 v3, 7, v17
	v_lshrrev_b32_e32 v19, 3, v18
	v_cmp_gt_u32_e32 vcc, 8, v18
	v_ffbh_u32_e32 v18, v3
	v_min_u32_e32 v20, 32, v18
	v_subrev_u32_e32 v18, 28, v20
	v_lshlrev_b64 v[17:18], v18, v[17:18]
	v_sub_u32_e32 v18, 29, v20
	v_and_b32_e32 v17, 7, v17
	v_cndmask_b32_e32 v18, v19, v18, vcc
	v_cndmask_b32_e32 v3, v3, v17, vcc
	v_lshlrev_b32_e32 v17, 24, v59
	v_lshlrev_b32_e32 v3, 20, v3
	v_and_b32_e32 v17, 0x80000000, v17
	v_lshl_add_u32 v18, v18, 23, v43
	v_or3_b32 v3, v17, v18, v3
.LBB4_2596:                             ;   in Loop: Header=BB4_2249 Depth=2
	s_or_b64 exec, exec, s[34:35]
.LBB4_2597:                             ;   in Loop: Header=BB4_2249 Depth=2
	s_or_b64 exec, exec, s[30:31]
.LBB4_2598:                             ;   in Loop: Header=BB4_2249 Depth=2
	s_or_b64 exec, exec, s[94:95]
	v_max_f32_e32 v3, v3, v3
	v_max_f32_e32 v2, v2, v2
	;; [unrolled: 1-line block ×3, first 2 shown]
	s_mov_b64 s[94:95], 0
.LBB4_2599:                             ;   in Loop: Header=BB4_2249 Depth=2
	s_and_b64 vcc, exec, s[94:95]
	s_cbranch_vccz .LBB4_2613
; %bb.2600:                             ;   in Loop: Header=BB4_2249 Depth=2
	v_mov_b32_e32 v3, 0
	v_mov_b32_e32 v2, 0
	s_and_saveexec_b64 s[94:95], s[22:23]
	s_cbranch_execz .LBB4_2606
; %bb.2601:                             ;   in Loop: Header=BB4_2249 Depth=2
	v_cmp_ne_u16_e32 vcc, s53, v16
	v_bfrev_b32_e32 v2, 1
	s_and_saveexec_b64 s[22:23], vcc
	s_cbranch_execz .LBB4_2605
; %bb.2602:                             ;   in Loop: Header=BB4_2249 Depth=2
	v_and_b32_e32 v17, 0x7f, v60
	v_cmp_ne_u32_e32 vcc, s54, v17
	v_mov_b32_e32 v2, 0x7f800001
	s_and_saveexec_b64 s[30:31], vcc
	s_cbranch_execz .LBB4_2604
; %bb.2603:                             ;   in Loop: Header=BB4_2249 Depth=2
	v_and_b32_e32 v2, 7, v16
	v_lshrrev_b32_e32 v18, 3, v17
	v_cmp_gt_u32_e32 vcc, 8, v17
	v_ffbh_u32_e32 v17, v2
	v_min_u32_e32 v19, 32, v17
	v_subrev_u32_e32 v17, 28, v19
	v_lshlrev_b64 v[16:17], v17, v[16:17]
	v_sub_u32_e32 v17, 29, v19
	v_and_b32_e32 v16, 7, v16
	v_cndmask_b32_e32 v17, v18, v17, vcc
	v_cndmask_b32_e32 v2, v2, v16, vcc
	v_lshlrev_b32_e32 v16, 24, v60
	v_lshlrev_b32_e32 v2, 20, v2
	v_and_b32_e32 v16, 0x80000000, v16
	v_lshl_add_u32 v17, v17, 23, v43
	v_or3_b32 v2, v16, v17, v2
.LBB4_2604:                             ;   in Loop: Header=BB4_2249 Depth=2
	s_or_b64 exec, exec, s[30:31]
.LBB4_2605:                             ;   in Loop: Header=BB4_2249 Depth=2
	s_or_b64 exec, exec, s[22:23]
.LBB4_2606:                             ;   in Loop: Header=BB4_2249 Depth=2
	s_or_b64 exec, exec, s[94:95]
	v_and_b32_e32 v16, 0xff, v59
	v_cmp_ne_u16_e32 vcc, 0, v16
	s_and_saveexec_b64 s[22:23], vcc
	s_cbranch_execz .LBB4_2612
; %bb.2607:                             ;   in Loop: Header=BB4_2249 Depth=2
	v_cmp_ne_u16_e32 vcc, s53, v16
	v_bfrev_b32_e32 v3, 1
	s_and_saveexec_b64 s[94:95], vcc
	s_cbranch_execz .LBB4_2611
; %bb.2608:                             ;   in Loop: Header=BB4_2249 Depth=2
	v_and_b32_e32 v17, 0x7f, v59
	v_cmp_ne_u32_e32 vcc, s54, v17
	v_mov_b32_e32 v3, 0x7f800001
	s_and_saveexec_b64 s[30:31], vcc
	s_cbranch_execz .LBB4_2610
; %bb.2609:                             ;   in Loop: Header=BB4_2249 Depth=2
	v_and_b32_e32 v3, 7, v16
	v_lshrrev_b32_e32 v18, 3, v17
	v_cmp_gt_u32_e32 vcc, 8, v17
	v_ffbh_u32_e32 v17, v3
	v_min_u32_e32 v19, 32, v17
	v_subrev_u32_e32 v17, 28, v19
	v_lshlrev_b64 v[16:17], v17, v[16:17]
	v_sub_u32_e32 v17, 29, v19
	v_and_b32_e32 v16, 7, v16
	v_cndmask_b32_e32 v17, v18, v17, vcc
	v_cndmask_b32_e32 v3, v3, v16, vcc
	v_lshlrev_b32_e32 v16, 24, v59
	v_lshlrev_b32_e32 v3, 20, v3
	v_and_b32_e32 v16, 0x80000000, v16
	v_lshl_add_u32 v17, v17, 23, v43
	v_or3_b32 v3, v16, v17, v3
.LBB4_2610:                             ;   in Loop: Header=BB4_2249 Depth=2
	s_or_b64 exec, exec, s[30:31]
.LBB4_2611:                             ;   in Loop: Header=BB4_2249 Depth=2
	s_or_b64 exec, exec, s[94:95]
.LBB4_2612:                             ;   in Loop: Header=BB4_2249 Depth=2
	s_or_b64 exec, exec, s[22:23]
	v_max_f32_e32 v3, v3, v3
	v_max_f32_e32 v2, v2, v2
	v_min_f32_e32 v2, v2, v3
.LBB4_2613:                             ;   in Loop: Header=BB4_2249 Depth=2
	v_and_b32_e32 v52, 0x7f800000, v2
	v_cmp_ne_u64_e32 vcc, s[72:73], v[52:53]
                                        ; implicit-def: $vgpr59
	s_and_saveexec_b64 s[22:23], vcc
	s_xor_b64 s[94:95], exec, s[22:23]
	s_cbranch_execz .LBB4_2631
; %bb.2614:                             ;   in Loop: Header=BB4_2249 Depth=2
	v_and_b32_e32 v52, 0x7fffffff, v2
	v_cmp_gt_u64_e32 vcc, s[74:75], v[52:53]
	v_and_b32_sdwa v18, v2, s53 dst_sel:DWORD dst_unused:UNUSED_PAD src0_sel:BYTE_3 src1_sel:DWORD
                                        ; implicit-def: $vgpr59
	s_and_saveexec_b64 s[22:23], vcc
	s_xor_b64 s[30:31], exec, s[22:23]
	s_cbranch_execz .LBB4_2628
; %bb.2615:                             ;   in Loop: Header=BB4_2249 Depth=2
	v_cmp_ne_u32_e32 vcc, 0, v2
	v_mov_b32_e32 v59, 0
	s_and_saveexec_b64 s[34:35], vcc
	s_cbranch_execz .LBB4_2627
; %bb.2616:                             ;   in Loop: Header=BB4_2249 Depth=2
	v_bfe_u32 v19, v2, 23, 8
	v_and_b32_e32 v3, 0x7fffff, v2
	v_cmp_gt_u32_e64 s[22:23], s64, v19
	v_sub_u32_e32 v2, 0x79, v19
	v_cmp_eq_u32_e32 vcc, 0, v19
	v_cndmask_b32_e64 v2, 0, v2, s[22:23]
	v_mov_b32_e32 v17, 0x78
	v_cndmask_b32_e32 v20, v2, v17, vcc
	v_or_b32_e32 v16, 0x800000, v3
	v_add_u32_e32 v2, 20, v20
	v_cndmask_b32_e32 v52, v16, v3, vcc
	v_lshlrev_b64 v[2:3], v2, -1
	v_add_u32_e32 v16, 19, v20
	v_lshlrev_b64 v[16:17], v16, 1
	v_bfi_b32 v3, v3, 0, 0
	v_bfi_b32 v2, v2, 0, v52
	v_cmp_eq_u64_e64 s[22:23], v[2:3], v[16:17]
	v_lshrrev_b64 v[16:17], v20, v[52:53]
	v_mov_b32_e32 v2, v16
	v_mov_b32_e32 v3, v17
	s_and_saveexec_b64 s[36:37], s[22:23]
; %bb.2617:                             ;   in Loop: Header=BB4_2249 Depth=2
	v_bfe_u32 v2, v16, 20, 1
	v_add_co_u32_e64 v2, s[22:23], v16, v2
	v_add_co_u32_e64 v2, s[22:23], -1, v2
; %bb.2618:                             ;   in Loop: Header=BB4_2249 Depth=2
	s_or_b64 exec, exec, s[36:37]
	v_add_u32_e32 v3, 0xffffff81, v19
	v_cndmask_b32_e32 v3, v3, v49, vcc
	v_lshrrev_b32_e32 v17, 23, v16
	v_add3_u32 v19, v20, v3, v17
	v_add_u32_e32 v3, 6, v19
	v_and_b32_e32 v2, 0xfffff, v2
	v_add_u32_e32 v52, v2, v16
	v_cmp_ne_u32_e32 vcc, 0, v3
                                        ; implicit-def: $vgpr16_vgpr17
                                        ; implicit-def: $vgpr2
	s_and_saveexec_b64 s[22:23], vcc
	s_xor_b64 s[22:23], exec, s[22:23]
; %bb.2619:                             ;   in Loop: Header=BB4_2249 Depth=2
	v_cmp_lt_u64_e32 vcc, s[76:77], v[52:53]
	v_add_u32_e32 v2, 7, v19
	v_cndmask_b32_e32 v2, v3, v2, vcc
	v_cndmask_b32_e64 v3, 0, 1, vcc
	v_lshrrev_b64 v[16:17], v3, v[52:53]
; %bb.2620:                             ;   in Loop: Header=BB4_2249 Depth=2
	s_andn2_saveexec_b64 s[22:23], s[22:23]
; %bb.2621:                             ;   in Loop: Header=BB4_2249 Depth=2
	v_mov_b32_e32 v16, v52
	v_bfe_u32 v2, v52, 23, 1
	v_mov_b32_e32 v17, v53
; %bb.2622:                             ;   in Loop: Header=BB4_2249 Depth=2
	s_or_b64 exec, exec, s[22:23]
	v_lshrrev_b64 v[16:17], 20, v[16:17]
	v_cmp_gt_i32_e32 vcc, 16, v2
	v_cndmask_b32_e32 v17, 0, v17, vcc
	v_cndmask_b32_e32 v16, 7, v16, vcc
	v_cmp_ne_u64_e32 vcc, 0, v[16:17]
	v_cmp_ne_u32_e64 s[22:23], 0, v2
	s_or_b64 s[22:23], s[22:23], vcc
                                        ; implicit-def: $vgpr59
	s_and_saveexec_b64 vcc, s[22:23]
	s_xor_b64 s[22:23], exec, vcc
; %bb.2623:                             ;   in Loop: Header=BB4_2249 Depth=2
	v_min_i32_e32 v2, 15, v2
	v_lshl_or_b32 v2, v2, 3, v18
	v_and_or_b32 v59, v16, 7, v2
                                        ; implicit-def: $vgpr18
; %bb.2624:                             ;   in Loop: Header=BB4_2249 Depth=2
	s_andn2_saveexec_b64 s[22:23], s[22:23]
; %bb.2625:                             ;   in Loop: Header=BB4_2249 Depth=2
	v_mov_b32_e32 v59, v18
; %bb.2626:                             ;   in Loop: Header=BB4_2249 Depth=2
	s_or_b64 exec, exec, s[22:23]
.LBB4_2627:                             ;   in Loop: Header=BB4_2249 Depth=2
	s_or_b64 exec, exec, s[34:35]
                                        ; implicit-def: $vgpr18
.LBB4_2628:                             ;   in Loop: Header=BB4_2249 Depth=2
	s_andn2_saveexec_b64 s[22:23], s[30:31]
; %bb.2629:                             ;   in Loop: Header=BB4_2249 Depth=2
	v_or_b32_e32 v59, 0x7e, v18
; %bb.2630:                             ;   in Loop: Header=BB4_2249 Depth=2
	s_or_b64 exec, exec, s[22:23]
                                        ; implicit-def: $vgpr2
.LBB4_2631:                             ;   in Loop: Header=BB4_2249 Depth=2
	s_andn2_saveexec_b64 s[22:23], s[94:95]
; %bb.2632:                             ;   in Loop: Header=BB4_2249 Depth=2
	v_or_b32_sdwa v59, v2, s54 dst_sel:DWORD dst_unused:UNUSED_PAD src0_sel:BYTE_3 src1_sel:DWORD
; %bb.2633:                             ;   in Loop: Header=BB4_2249 Depth=2
	s_or_b64 exec, exec, s[22:23]
	v_and_b32_e32 v16, 0xff, v58
	v_cmp_ne_u16_e64 s[22:23], 0, v16
	s_and_b64 vcc, exec, s[20:21]
	s_mov_b64 s[94:95], -1
                                        ; implicit-def: $vgpr2
	s_cbranch_vccnz .LBB4_2647
; %bb.2634:                             ;   in Loop: Header=BB4_2249 Depth=2
	v_mov_b32_e32 v3, 0
	v_mov_b32_e32 v2, 0
	s_and_saveexec_b64 s[94:95], s[22:23]
	s_cbranch_execz .LBB4_2640
; %bb.2635:                             ;   in Loop: Header=BB4_2249 Depth=2
	v_cmp_ne_u16_e32 vcc, s53, v16
	v_bfrev_b32_e32 v2, 1
	s_and_saveexec_b64 s[30:31], vcc
	s_cbranch_execz .LBB4_2639
; %bb.2636:                             ;   in Loop: Header=BB4_2249 Depth=2
	v_and_b32_e32 v17, 0x7f, v58
	v_cmp_ne_u32_e32 vcc, s54, v17
	v_mov_b32_e32 v2, 0x7f800001
	s_and_saveexec_b64 s[34:35], vcc
	s_cbranch_execz .LBB4_2638
; %bb.2637:                             ;   in Loop: Header=BB4_2249 Depth=2
	v_and_b32_e32 v2, 7, v16
	v_lshrrev_b32_e32 v19, 3, v17
	v_cmp_gt_u32_e32 vcc, 8, v17
	v_ffbh_u32_e32 v17, v2
	v_min_u32_e32 v20, 32, v17
	v_subrev_u32_e32 v17, 28, v20
	v_lshlrev_b64 v[17:18], v17, v[16:17]
	v_sub_u32_e32 v18, 29, v20
	v_and_b32_e32 v17, 7, v17
	v_cndmask_b32_e32 v18, v19, v18, vcc
	v_cndmask_b32_e32 v2, v2, v17, vcc
	v_lshlrev_b32_e32 v17, 24, v58
	v_lshlrev_b32_e32 v2, 20, v2
	v_and_b32_e32 v17, 0x80000000, v17
	v_lshl_add_u32 v18, v18, 23, v43
	v_or3_b32 v2, v17, v18, v2
.LBB4_2638:                             ;   in Loop: Header=BB4_2249 Depth=2
	s_or_b64 exec, exec, s[34:35]
.LBB4_2639:                             ;   in Loop: Header=BB4_2249 Depth=2
	s_or_b64 exec, exec, s[30:31]
.LBB4_2640:                             ;   in Loop: Header=BB4_2249 Depth=2
	s_or_b64 exec, exec, s[94:95]
	v_and_b32_e32 v17, 0xff, v1
	v_cmp_ne_u16_e32 vcc, 0, v17
	s_and_saveexec_b64 s[94:95], vcc
	s_cbranch_execz .LBB4_2646
; %bb.2641:                             ;   in Loop: Header=BB4_2249 Depth=2
	v_cmp_ne_u16_e32 vcc, s53, v17
	v_bfrev_b32_e32 v3, 1
	s_and_saveexec_b64 s[30:31], vcc
	s_cbranch_execz .LBB4_2645
; %bb.2642:                             ;   in Loop: Header=BB4_2249 Depth=2
	v_and_b32_e32 v18, 0x7f, v1
	v_cmp_ne_u32_e32 vcc, s54, v18
	v_mov_b32_e32 v3, 0x7f800001
	s_and_saveexec_b64 s[34:35], vcc
	s_cbranch_execz .LBB4_2644
; %bb.2643:                             ;   in Loop: Header=BB4_2249 Depth=2
	v_and_b32_e32 v3, 7, v17
	v_lshrrev_b32_e32 v19, 3, v18
	v_cmp_gt_u32_e32 vcc, 8, v18
	v_ffbh_u32_e32 v18, v3
	v_min_u32_e32 v20, 32, v18
	v_subrev_u32_e32 v18, 28, v20
	v_lshlrev_b64 v[17:18], v18, v[17:18]
	v_sub_u32_e32 v18, 29, v20
	v_and_b32_e32 v17, 7, v17
	v_cndmask_b32_e32 v18, v19, v18, vcc
	v_cndmask_b32_e32 v3, v3, v17, vcc
	v_lshlrev_b32_e32 v17, 24, v1
	v_lshlrev_b32_e32 v3, 20, v3
	v_and_b32_e32 v17, 0x80000000, v17
	v_lshl_add_u32 v18, v18, 23, v43
	v_or3_b32 v3, v17, v18, v3
.LBB4_2644:                             ;   in Loop: Header=BB4_2249 Depth=2
	s_or_b64 exec, exec, s[34:35]
.LBB4_2645:                             ;   in Loop: Header=BB4_2249 Depth=2
	s_or_b64 exec, exec, s[30:31]
.LBB4_2646:                             ;   in Loop: Header=BB4_2249 Depth=2
	s_or_b64 exec, exec, s[94:95]
	v_max_f32_e32 v3, v3, v3
	v_max_f32_e32 v2, v2, v2
	;; [unrolled: 1-line block ×3, first 2 shown]
	s_mov_b64 s[94:95], 0
.LBB4_2647:                             ;   in Loop: Header=BB4_2249 Depth=2
	s_and_b64 vcc, exec, s[94:95]
	s_cbranch_vccz .LBB4_2661
; %bb.2648:                             ;   in Loop: Header=BB4_2249 Depth=2
	v_mov_b32_e32 v3, 0
	v_mov_b32_e32 v2, 0
	s_and_saveexec_b64 s[94:95], s[22:23]
	s_cbranch_execz .LBB4_2654
; %bb.2649:                             ;   in Loop: Header=BB4_2249 Depth=2
	v_cmp_ne_u16_e32 vcc, s53, v16
	v_bfrev_b32_e32 v2, 1
	s_and_saveexec_b64 s[22:23], vcc
	s_cbranch_execz .LBB4_2653
; %bb.2650:                             ;   in Loop: Header=BB4_2249 Depth=2
	v_and_b32_e32 v17, 0x7f, v58
	v_cmp_ne_u32_e32 vcc, s54, v17
	v_mov_b32_e32 v2, 0x7f800001
	s_and_saveexec_b64 s[30:31], vcc
	s_cbranch_execz .LBB4_2652
; %bb.2651:                             ;   in Loop: Header=BB4_2249 Depth=2
	v_and_b32_e32 v2, 7, v16
	v_lshrrev_b32_e32 v18, 3, v17
	v_cmp_gt_u32_e32 vcc, 8, v17
	v_ffbh_u32_e32 v17, v2
	v_min_u32_e32 v19, 32, v17
	v_subrev_u32_e32 v17, 28, v19
	v_lshlrev_b64 v[16:17], v17, v[16:17]
	v_sub_u32_e32 v17, 29, v19
	v_and_b32_e32 v16, 7, v16
	v_cndmask_b32_e32 v17, v18, v17, vcc
	v_cndmask_b32_e32 v2, v2, v16, vcc
	v_lshlrev_b32_e32 v16, 24, v58
	v_lshlrev_b32_e32 v2, 20, v2
	v_and_b32_e32 v16, 0x80000000, v16
	v_lshl_add_u32 v17, v17, 23, v43
	v_or3_b32 v2, v16, v17, v2
.LBB4_2652:                             ;   in Loop: Header=BB4_2249 Depth=2
	s_or_b64 exec, exec, s[30:31]
.LBB4_2653:                             ;   in Loop: Header=BB4_2249 Depth=2
	s_or_b64 exec, exec, s[22:23]
.LBB4_2654:                             ;   in Loop: Header=BB4_2249 Depth=2
	s_or_b64 exec, exec, s[94:95]
	v_and_b32_e32 v16, 0xff, v1
	v_cmp_ne_u16_e32 vcc, 0, v16
	s_and_saveexec_b64 s[22:23], vcc
	s_cbranch_execz .LBB4_2660
; %bb.2655:                             ;   in Loop: Header=BB4_2249 Depth=2
	v_cmp_ne_u16_e32 vcc, s53, v16
	v_bfrev_b32_e32 v3, 1
	s_and_saveexec_b64 s[94:95], vcc
	s_cbranch_execz .LBB4_2659
; %bb.2656:                             ;   in Loop: Header=BB4_2249 Depth=2
	v_and_b32_e32 v17, 0x7f, v1
	v_cmp_ne_u32_e32 vcc, s54, v17
	v_mov_b32_e32 v3, 0x7f800001
	s_and_saveexec_b64 s[30:31], vcc
	s_cbranch_execz .LBB4_2658
; %bb.2657:                             ;   in Loop: Header=BB4_2249 Depth=2
	v_and_b32_e32 v3, 7, v16
	v_lshrrev_b32_e32 v18, 3, v17
	v_cmp_gt_u32_e32 vcc, 8, v17
	v_ffbh_u32_e32 v17, v3
	v_min_u32_e32 v19, 32, v17
	v_subrev_u32_e32 v17, 28, v19
	v_lshlrev_b64 v[16:17], v17, v[16:17]
	v_sub_u32_e32 v17, 29, v19
	v_and_b32_e32 v16, 7, v16
	v_cndmask_b32_e32 v17, v18, v17, vcc
	v_cndmask_b32_e32 v3, v3, v16, vcc
	v_lshlrev_b32_e32 v1, 24, v1
	v_lshlrev_b32_e32 v3, 20, v3
	v_and_b32_e32 v1, 0x80000000, v1
	v_lshl_add_u32 v16, v17, 23, v43
	v_or3_b32 v3, v1, v16, v3
.LBB4_2658:                             ;   in Loop: Header=BB4_2249 Depth=2
	s_or_b64 exec, exec, s[30:31]
.LBB4_2659:                             ;   in Loop: Header=BB4_2249 Depth=2
	s_or_b64 exec, exec, s[94:95]
.LBB4_2660:                             ;   in Loop: Header=BB4_2249 Depth=2
	s_or_b64 exec, exec, s[22:23]
	v_max_f32_e32 v1, v3, v3
	v_max_f32_e32 v2, v2, v2
	v_min_f32_e32 v2, v2, v1
.LBB4_2661:                             ;   in Loop: Header=BB4_2249 Depth=2
	v_and_b32_e32 v52, 0x7f800000, v2
	v_cmp_ne_u64_e32 vcc, s[72:73], v[52:53]
                                        ; implicit-def: $vgpr1
	s_and_saveexec_b64 s[22:23], vcc
	s_xor_b64 s[94:95], exec, s[22:23]
	s_cbranch_execz .LBB4_2679
; %bb.2662:                             ;   in Loop: Header=BB4_2249 Depth=2
	v_and_b32_e32 v52, 0x7fffffff, v2
	v_cmp_gt_u64_e32 vcc, s[74:75], v[52:53]
	v_and_b32_sdwa v18, v2, s53 dst_sel:DWORD dst_unused:UNUSED_PAD src0_sel:BYTE_3 src1_sel:DWORD
                                        ; implicit-def: $vgpr1
	s_and_saveexec_b64 s[22:23], vcc
	s_xor_b64 s[30:31], exec, s[22:23]
	s_cbranch_execz .LBB4_2676
; %bb.2663:                             ;   in Loop: Header=BB4_2249 Depth=2
	v_cmp_ne_u32_e32 vcc, 0, v2
	v_mov_b32_e32 v1, 0
	s_and_saveexec_b64 s[34:35], vcc
	s_cbranch_execz .LBB4_2675
; %bb.2664:                             ;   in Loop: Header=BB4_2249 Depth=2
	v_bfe_u32 v1, v2, 23, 8
	v_and_b32_e32 v3, 0x7fffff, v2
	v_cmp_gt_u32_e64 s[22:23], s64, v1
	v_sub_u32_e32 v2, 0x79, v1
	v_cmp_eq_u32_e32 vcc, 0, v1
	v_cndmask_b32_e64 v2, 0, v2, s[22:23]
	v_mov_b32_e32 v17, 0x78
	v_cndmask_b32_e32 v19, v2, v17, vcc
	v_or_b32_e32 v16, 0x800000, v3
	v_add_u32_e32 v2, 20, v19
	v_cndmask_b32_e32 v52, v16, v3, vcc
	v_lshlrev_b64 v[2:3], v2, -1
	v_add_u32_e32 v16, 19, v19
	v_lshlrev_b64 v[16:17], v16, 1
	v_bfi_b32 v3, v3, 0, 0
	v_bfi_b32 v2, v2, 0, v52
	v_cmp_eq_u64_e64 s[22:23], v[2:3], v[16:17]
	v_lshrrev_b64 v[16:17], v19, v[52:53]
	v_mov_b32_e32 v2, v16
	v_mov_b32_e32 v3, v17
	s_and_saveexec_b64 s[36:37], s[22:23]
; %bb.2665:                             ;   in Loop: Header=BB4_2249 Depth=2
	v_bfe_u32 v2, v16, 20, 1
	v_add_co_u32_e64 v2, s[22:23], v16, v2
	v_add_co_u32_e64 v2, s[22:23], -1, v2
; %bb.2666:                             ;   in Loop: Header=BB4_2249 Depth=2
	s_or_b64 exec, exec, s[36:37]
	v_add_u32_e32 v1, 0xffffff81, v1
	v_cndmask_b32_e32 v1, v1, v49, vcc
	v_lshrrev_b32_e32 v3, 23, v16
	v_add3_u32 v3, v19, v1, v3
	v_add_u32_e32 v1, 6, v3
	v_and_b32_e32 v2, 0xfffff, v2
	v_add_u32_e32 v52, v2, v16
	v_cmp_ne_u32_e32 vcc, 0, v1
                                        ; implicit-def: $vgpr16_vgpr17
                                        ; implicit-def: $vgpr2
	s_and_saveexec_b64 s[22:23], vcc
	s_xor_b64 s[22:23], exec, s[22:23]
; %bb.2667:                             ;   in Loop: Header=BB4_2249 Depth=2
	v_cmp_lt_u64_e32 vcc, s[76:77], v[52:53]
	v_add_u32_e32 v2, 7, v3
	v_cndmask_b32_e32 v2, v1, v2, vcc
	v_cndmask_b32_e64 v1, 0, 1, vcc
	v_lshrrev_b64 v[16:17], v1, v[52:53]
; %bb.2668:                             ;   in Loop: Header=BB4_2249 Depth=2
	s_andn2_saveexec_b64 s[22:23], s[22:23]
; %bb.2669:                             ;   in Loop: Header=BB4_2249 Depth=2
	v_mov_b32_e32 v16, v52
	v_bfe_u32 v2, v52, 23, 1
	v_mov_b32_e32 v17, v53
; %bb.2670:                             ;   in Loop: Header=BB4_2249 Depth=2
	s_or_b64 exec, exec, s[22:23]
	v_lshrrev_b64 v[16:17], 20, v[16:17]
	v_cmp_gt_i32_e32 vcc, 16, v2
	v_cndmask_b32_e32 v17, 0, v17, vcc
	v_cndmask_b32_e32 v16, 7, v16, vcc
	v_cmp_ne_u64_e32 vcc, 0, v[16:17]
	v_cmp_ne_u32_e64 s[22:23], 0, v2
	s_or_b64 s[22:23], s[22:23], vcc
                                        ; implicit-def: $vgpr1
	s_and_saveexec_b64 vcc, s[22:23]
	s_xor_b64 s[22:23], exec, vcc
; %bb.2671:                             ;   in Loop: Header=BB4_2249 Depth=2
	v_min_i32_e32 v1, 15, v2
	v_lshl_or_b32 v1, v1, 3, v18
	v_and_or_b32 v1, v16, 7, v1
                                        ; implicit-def: $vgpr18
; %bb.2672:                             ;   in Loop: Header=BB4_2249 Depth=2
	s_andn2_saveexec_b64 s[22:23], s[22:23]
; %bb.2673:                             ;   in Loop: Header=BB4_2249 Depth=2
	v_mov_b32_e32 v1, v18
; %bb.2674:                             ;   in Loop: Header=BB4_2249 Depth=2
	s_or_b64 exec, exec, s[22:23]
.LBB4_2675:                             ;   in Loop: Header=BB4_2249 Depth=2
	s_or_b64 exec, exec, s[34:35]
                                        ; implicit-def: $vgpr18
.LBB4_2676:                             ;   in Loop: Header=BB4_2249 Depth=2
	s_andn2_saveexec_b64 s[22:23], s[30:31]
; %bb.2677:                             ;   in Loop: Header=BB4_2249 Depth=2
	v_or_b32_e32 v1, 0x7e, v18
; %bb.2678:                             ;   in Loop: Header=BB4_2249 Depth=2
	s_or_b64 exec, exec, s[22:23]
                                        ; implicit-def: $vgpr2
.LBB4_2679:                             ;   in Loop: Header=BB4_2249 Depth=2
	s_andn2_saveexec_b64 s[22:23], s[94:95]
; %bb.2680:                             ;   in Loop: Header=BB4_2249 Depth=2
	v_or_b32_sdwa v1, v2, s54 dst_sel:DWORD dst_unused:UNUSED_PAD src0_sel:BYTE_3 src1_sel:DWORD
; %bb.2681:                             ;   in Loop: Header=BB4_2249 Depth=2
	s_or_b64 exec, exec, s[22:23]
	v_and_b32_e32 v16, 0xff, v56
	v_cmp_ne_u16_e64 s[22:23], 0, v16
	s_and_b64 vcc, exec, s[20:21]
	s_mov_b64 s[94:95], -1
                                        ; implicit-def: $vgpr2
	s_cbranch_vccnz .LBB4_2695
; %bb.2682:                             ;   in Loop: Header=BB4_2249 Depth=2
	v_mov_b32_e32 v3, 0
	v_mov_b32_e32 v2, 0
	s_and_saveexec_b64 s[94:95], s[22:23]
	s_cbranch_execz .LBB4_2688
; %bb.2683:                             ;   in Loop: Header=BB4_2249 Depth=2
	v_cmp_ne_u16_e32 vcc, s53, v16
	v_bfrev_b32_e32 v2, 1
	s_and_saveexec_b64 s[30:31], vcc
	s_cbranch_execz .LBB4_2687
; %bb.2684:                             ;   in Loop: Header=BB4_2249 Depth=2
	v_and_b32_e32 v17, 0x7f, v56
	v_cmp_ne_u32_e32 vcc, s54, v17
	v_mov_b32_e32 v2, 0x7f800001
	s_and_saveexec_b64 s[34:35], vcc
	s_cbranch_execz .LBB4_2686
; %bb.2685:                             ;   in Loop: Header=BB4_2249 Depth=2
	v_and_b32_e32 v2, 7, v16
	v_lshrrev_b32_e32 v19, 3, v17
	v_cmp_gt_u32_e32 vcc, 8, v17
	v_ffbh_u32_e32 v17, v2
	v_min_u32_e32 v20, 32, v17
	v_subrev_u32_e32 v17, 28, v20
	v_lshlrev_b64 v[17:18], v17, v[16:17]
	v_sub_u32_e32 v18, 29, v20
	v_and_b32_e32 v17, 7, v17
	v_cndmask_b32_e32 v18, v19, v18, vcc
	v_cndmask_b32_e32 v2, v2, v17, vcc
	v_lshlrev_b32_e32 v17, 24, v56
	v_lshlrev_b32_e32 v2, 20, v2
	v_and_b32_e32 v17, 0x80000000, v17
	v_lshl_add_u32 v18, v18, 23, v43
	v_or3_b32 v2, v17, v18, v2
.LBB4_2686:                             ;   in Loop: Header=BB4_2249 Depth=2
	s_or_b64 exec, exec, s[34:35]
.LBB4_2687:                             ;   in Loop: Header=BB4_2249 Depth=2
	s_or_b64 exec, exec, s[30:31]
.LBB4_2688:                             ;   in Loop: Header=BB4_2249 Depth=2
	s_or_b64 exec, exec, s[94:95]
	v_and_b32_e32 v17, 0xff, v47
	v_cmp_ne_u16_e32 vcc, 0, v17
	s_and_saveexec_b64 s[94:95], vcc
	s_cbranch_execz .LBB4_2694
; %bb.2689:                             ;   in Loop: Header=BB4_2249 Depth=2
	v_cmp_ne_u16_e32 vcc, s53, v17
	v_bfrev_b32_e32 v3, 1
	s_and_saveexec_b64 s[30:31], vcc
	s_cbranch_execz .LBB4_2693
; %bb.2690:                             ;   in Loop: Header=BB4_2249 Depth=2
	v_and_b32_e32 v18, 0x7f, v47
	v_cmp_ne_u32_e32 vcc, s54, v18
	v_mov_b32_e32 v3, 0x7f800001
	s_and_saveexec_b64 s[34:35], vcc
	s_cbranch_execz .LBB4_2692
; %bb.2691:                             ;   in Loop: Header=BB4_2249 Depth=2
	v_and_b32_e32 v3, 7, v17
	v_lshrrev_b32_e32 v19, 3, v18
	v_cmp_gt_u32_e32 vcc, 8, v18
	v_ffbh_u32_e32 v18, v3
	v_min_u32_e32 v20, 32, v18
	v_subrev_u32_e32 v18, 28, v20
	v_lshlrev_b64 v[17:18], v18, v[17:18]
	v_sub_u32_e32 v18, 29, v20
	v_and_b32_e32 v17, 7, v17
	v_cndmask_b32_e32 v18, v19, v18, vcc
	v_cndmask_b32_e32 v3, v3, v17, vcc
	v_lshlrev_b32_e32 v17, 24, v47
	v_lshlrev_b32_e32 v3, 20, v3
	v_and_b32_e32 v17, 0x80000000, v17
	v_lshl_add_u32 v18, v18, 23, v43
	v_or3_b32 v3, v17, v18, v3
.LBB4_2692:                             ;   in Loop: Header=BB4_2249 Depth=2
	s_or_b64 exec, exec, s[34:35]
.LBB4_2693:                             ;   in Loop: Header=BB4_2249 Depth=2
	s_or_b64 exec, exec, s[30:31]
.LBB4_2694:                             ;   in Loop: Header=BB4_2249 Depth=2
	s_or_b64 exec, exec, s[94:95]
	v_max_f32_e32 v3, v3, v3
	v_max_f32_e32 v2, v2, v2
	;; [unrolled: 1-line block ×3, first 2 shown]
	s_mov_b64 s[94:95], 0
.LBB4_2695:                             ;   in Loop: Header=BB4_2249 Depth=2
	s_and_b64 vcc, exec, s[94:95]
	s_cbranch_vccz .LBB4_2709
; %bb.2696:                             ;   in Loop: Header=BB4_2249 Depth=2
	v_mov_b32_e32 v3, 0
	v_mov_b32_e32 v2, 0
	s_and_saveexec_b64 s[94:95], s[22:23]
	s_cbranch_execz .LBB4_2702
; %bb.2697:                             ;   in Loop: Header=BB4_2249 Depth=2
	v_cmp_ne_u16_e32 vcc, s53, v16
	v_bfrev_b32_e32 v2, 1
	s_and_saveexec_b64 s[22:23], vcc
	s_cbranch_execz .LBB4_2701
; %bb.2698:                             ;   in Loop: Header=BB4_2249 Depth=2
	v_and_b32_e32 v17, 0x7f, v56
	v_cmp_ne_u32_e32 vcc, s54, v17
	v_mov_b32_e32 v2, 0x7f800001
	s_and_saveexec_b64 s[30:31], vcc
	s_cbranch_execz .LBB4_2700
; %bb.2699:                             ;   in Loop: Header=BB4_2249 Depth=2
	v_and_b32_e32 v2, 7, v16
	v_lshrrev_b32_e32 v18, 3, v17
	v_cmp_gt_u32_e32 vcc, 8, v17
	v_ffbh_u32_e32 v17, v2
	v_min_u32_e32 v19, 32, v17
	v_subrev_u32_e32 v17, 28, v19
	v_lshlrev_b64 v[16:17], v17, v[16:17]
	v_sub_u32_e32 v17, 29, v19
	v_and_b32_e32 v16, 7, v16
	v_cndmask_b32_e32 v17, v18, v17, vcc
	v_cndmask_b32_e32 v2, v2, v16, vcc
	v_lshlrev_b32_e32 v16, 24, v56
	v_lshlrev_b32_e32 v2, 20, v2
	v_and_b32_e32 v16, 0x80000000, v16
	v_lshl_add_u32 v17, v17, 23, v43
	v_or3_b32 v2, v16, v17, v2
.LBB4_2700:                             ;   in Loop: Header=BB4_2249 Depth=2
	s_or_b64 exec, exec, s[30:31]
.LBB4_2701:                             ;   in Loop: Header=BB4_2249 Depth=2
	s_or_b64 exec, exec, s[22:23]
.LBB4_2702:                             ;   in Loop: Header=BB4_2249 Depth=2
	s_or_b64 exec, exec, s[94:95]
	v_and_b32_e32 v16, 0xff, v47
	v_cmp_ne_u16_e32 vcc, 0, v16
	s_and_saveexec_b64 s[22:23], vcc
	s_cbranch_execz .LBB4_2708
; %bb.2703:                             ;   in Loop: Header=BB4_2249 Depth=2
	v_cmp_ne_u16_e32 vcc, s53, v16
	v_bfrev_b32_e32 v3, 1
	s_and_saveexec_b64 s[94:95], vcc
	s_cbranch_execz .LBB4_2707
; %bb.2704:                             ;   in Loop: Header=BB4_2249 Depth=2
	v_and_b32_e32 v17, 0x7f, v47
	v_cmp_ne_u32_e32 vcc, s54, v17
	v_mov_b32_e32 v3, 0x7f800001
	s_and_saveexec_b64 s[30:31], vcc
	s_cbranch_execz .LBB4_2706
; %bb.2705:                             ;   in Loop: Header=BB4_2249 Depth=2
	v_and_b32_e32 v3, 7, v16
	v_lshrrev_b32_e32 v18, 3, v17
	v_cmp_gt_u32_e32 vcc, 8, v17
	v_ffbh_u32_e32 v17, v3
	v_min_u32_e32 v19, 32, v17
	v_subrev_u32_e32 v17, 28, v19
	v_lshlrev_b64 v[16:17], v17, v[16:17]
	v_sub_u32_e32 v17, 29, v19
	v_and_b32_e32 v16, 7, v16
	v_cndmask_b32_e32 v17, v18, v17, vcc
	v_cndmask_b32_e32 v3, v3, v16, vcc
	v_lshlrev_b32_e32 v16, 24, v47
	v_lshlrev_b32_e32 v3, 20, v3
	v_and_b32_e32 v16, 0x80000000, v16
	v_lshl_add_u32 v17, v17, 23, v43
	v_or3_b32 v3, v16, v17, v3
.LBB4_2706:                             ;   in Loop: Header=BB4_2249 Depth=2
	s_or_b64 exec, exec, s[30:31]
.LBB4_2707:                             ;   in Loop: Header=BB4_2249 Depth=2
	s_or_b64 exec, exec, s[94:95]
.LBB4_2708:                             ;   in Loop: Header=BB4_2249 Depth=2
	s_or_b64 exec, exec, s[22:23]
	v_max_f32_e32 v3, v3, v3
	v_max_f32_e32 v2, v2, v2
	v_min_f32_e32 v2, v2, v3
.LBB4_2709:                             ;   in Loop: Header=BB4_2249 Depth=2
	v_and_b32_e32 v52, 0x7f800000, v2
	v_cmp_ne_u64_e32 vcc, s[72:73], v[52:53]
                                        ; implicit-def: $vgpr47
	s_and_saveexec_b64 s[22:23], vcc
	s_xor_b64 s[94:95], exec, s[22:23]
	s_cbranch_execz .LBB4_2727
; %bb.2710:                             ;   in Loop: Header=BB4_2249 Depth=2
	v_and_b32_e32 v52, 0x7fffffff, v2
	v_cmp_gt_u64_e32 vcc, s[74:75], v[52:53]
	v_and_b32_sdwa v18, v2, s53 dst_sel:DWORD dst_unused:UNUSED_PAD src0_sel:BYTE_3 src1_sel:DWORD
                                        ; implicit-def: $vgpr47
	s_and_saveexec_b64 s[22:23], vcc
	s_xor_b64 s[30:31], exec, s[22:23]
	s_cbranch_execz .LBB4_2724
; %bb.2711:                             ;   in Loop: Header=BB4_2249 Depth=2
	v_cmp_ne_u32_e32 vcc, 0, v2
	v_mov_b32_e32 v47, 0
	s_and_saveexec_b64 s[34:35], vcc
	s_cbranch_execz .LBB4_2723
; %bb.2712:                             ;   in Loop: Header=BB4_2249 Depth=2
	v_bfe_u32 v19, v2, 23, 8
	v_and_b32_e32 v3, 0x7fffff, v2
	v_cmp_gt_u32_e64 s[22:23], s64, v19
	v_sub_u32_e32 v2, 0x79, v19
	v_cmp_eq_u32_e32 vcc, 0, v19
	v_cndmask_b32_e64 v2, 0, v2, s[22:23]
	v_mov_b32_e32 v17, 0x78
	v_cndmask_b32_e32 v20, v2, v17, vcc
	v_or_b32_e32 v16, 0x800000, v3
	v_add_u32_e32 v2, 20, v20
	v_cndmask_b32_e32 v52, v16, v3, vcc
	v_lshlrev_b64 v[2:3], v2, -1
	v_add_u32_e32 v16, 19, v20
	v_lshlrev_b64 v[16:17], v16, 1
	v_bfi_b32 v3, v3, 0, 0
	v_bfi_b32 v2, v2, 0, v52
	v_cmp_eq_u64_e64 s[22:23], v[2:3], v[16:17]
	v_lshrrev_b64 v[16:17], v20, v[52:53]
	v_mov_b32_e32 v2, v16
	v_mov_b32_e32 v3, v17
	s_and_saveexec_b64 s[36:37], s[22:23]
; %bb.2713:                             ;   in Loop: Header=BB4_2249 Depth=2
	v_bfe_u32 v2, v16, 20, 1
	v_add_co_u32_e64 v2, s[22:23], v16, v2
	v_add_co_u32_e64 v2, s[22:23], -1, v2
; %bb.2714:                             ;   in Loop: Header=BB4_2249 Depth=2
	s_or_b64 exec, exec, s[36:37]
	v_add_u32_e32 v3, 0xffffff81, v19
	v_cndmask_b32_e32 v3, v3, v49, vcc
	v_lshrrev_b32_e32 v17, 23, v16
	v_add3_u32 v19, v20, v3, v17
	v_add_u32_e32 v3, 6, v19
	v_and_b32_e32 v2, 0xfffff, v2
	v_add_u32_e32 v52, v2, v16
	v_cmp_ne_u32_e32 vcc, 0, v3
                                        ; implicit-def: $vgpr16_vgpr17
                                        ; implicit-def: $vgpr2
	s_and_saveexec_b64 s[22:23], vcc
	s_xor_b64 s[22:23], exec, s[22:23]
; %bb.2715:                             ;   in Loop: Header=BB4_2249 Depth=2
	v_cmp_lt_u64_e32 vcc, s[76:77], v[52:53]
	v_add_u32_e32 v2, 7, v19
	v_cndmask_b32_e32 v2, v3, v2, vcc
	v_cndmask_b32_e64 v3, 0, 1, vcc
	v_lshrrev_b64 v[16:17], v3, v[52:53]
; %bb.2716:                             ;   in Loop: Header=BB4_2249 Depth=2
	s_andn2_saveexec_b64 s[22:23], s[22:23]
; %bb.2717:                             ;   in Loop: Header=BB4_2249 Depth=2
	v_mov_b32_e32 v16, v52
	v_bfe_u32 v2, v52, 23, 1
	v_mov_b32_e32 v17, v53
; %bb.2718:                             ;   in Loop: Header=BB4_2249 Depth=2
	s_or_b64 exec, exec, s[22:23]
	v_lshrrev_b64 v[16:17], 20, v[16:17]
	v_cmp_gt_i32_e32 vcc, 16, v2
	v_cndmask_b32_e32 v17, 0, v17, vcc
	v_cndmask_b32_e32 v16, 7, v16, vcc
	v_cmp_ne_u64_e32 vcc, 0, v[16:17]
	v_cmp_ne_u32_e64 s[22:23], 0, v2
	s_or_b64 s[22:23], s[22:23], vcc
                                        ; implicit-def: $vgpr47
	s_and_saveexec_b64 vcc, s[22:23]
	s_xor_b64 s[22:23], exec, vcc
; %bb.2719:                             ;   in Loop: Header=BB4_2249 Depth=2
	v_min_i32_e32 v2, 15, v2
	v_lshl_or_b32 v2, v2, 3, v18
	v_and_or_b32 v47, v16, 7, v2
                                        ; implicit-def: $vgpr18
; %bb.2720:                             ;   in Loop: Header=BB4_2249 Depth=2
	s_andn2_saveexec_b64 s[22:23], s[22:23]
; %bb.2721:                             ;   in Loop: Header=BB4_2249 Depth=2
	v_mov_b32_e32 v47, v18
; %bb.2722:                             ;   in Loop: Header=BB4_2249 Depth=2
	s_or_b64 exec, exec, s[22:23]
.LBB4_2723:                             ;   in Loop: Header=BB4_2249 Depth=2
	s_or_b64 exec, exec, s[34:35]
                                        ; implicit-def: $vgpr18
.LBB4_2724:                             ;   in Loop: Header=BB4_2249 Depth=2
	s_andn2_saveexec_b64 s[22:23], s[30:31]
; %bb.2725:                             ;   in Loop: Header=BB4_2249 Depth=2
	v_or_b32_e32 v47, 0x7e, v18
; %bb.2726:                             ;   in Loop: Header=BB4_2249 Depth=2
	s_or_b64 exec, exec, s[22:23]
                                        ; implicit-def: $vgpr2
.LBB4_2727:                             ;   in Loop: Header=BB4_2249 Depth=2
	s_andn2_saveexec_b64 s[22:23], s[94:95]
; %bb.2728:                             ;   in Loop: Header=BB4_2249 Depth=2
	v_or_b32_sdwa v47, v2, s54 dst_sel:DWORD dst_unused:UNUSED_PAD src0_sel:BYTE_3 src1_sel:DWORD
; %bb.2729:                             ;   in Loop: Header=BB4_2249 Depth=2
	s_or_b64 exec, exec, s[22:23]
	v_and_b32_e32 v16, 0xff, v45
	v_cmp_ne_u16_e64 s[22:23], 0, v16
	s_and_b64 vcc, exec, s[20:21]
	s_mov_b64 s[94:95], -1
                                        ; implicit-def: $vgpr2
	s_cbranch_vccnz .LBB4_2743
; %bb.2730:                             ;   in Loop: Header=BB4_2249 Depth=2
	v_mov_b32_e32 v3, 0
	v_mov_b32_e32 v2, 0
	s_and_saveexec_b64 s[94:95], s[22:23]
	s_cbranch_execz .LBB4_2736
; %bb.2731:                             ;   in Loop: Header=BB4_2249 Depth=2
	v_cmp_ne_u16_e32 vcc, s53, v16
	v_bfrev_b32_e32 v2, 1
	s_and_saveexec_b64 s[30:31], vcc
	s_cbranch_execz .LBB4_2735
; %bb.2732:                             ;   in Loop: Header=BB4_2249 Depth=2
	v_and_b32_e32 v17, 0x7f, v45
	v_cmp_ne_u32_e32 vcc, s54, v17
	v_mov_b32_e32 v2, 0x7f800001
	s_and_saveexec_b64 s[34:35], vcc
	s_cbranch_execz .LBB4_2734
; %bb.2733:                             ;   in Loop: Header=BB4_2249 Depth=2
	v_and_b32_e32 v2, 7, v16
	v_lshrrev_b32_e32 v19, 3, v17
	v_cmp_gt_u32_e32 vcc, 8, v17
	v_ffbh_u32_e32 v17, v2
	v_min_u32_e32 v20, 32, v17
	v_subrev_u32_e32 v17, 28, v20
	v_lshlrev_b64 v[17:18], v17, v[16:17]
	v_sub_u32_e32 v18, 29, v20
	v_and_b32_e32 v17, 7, v17
	v_cndmask_b32_e32 v18, v19, v18, vcc
	v_cndmask_b32_e32 v2, v2, v17, vcc
	v_lshlrev_b32_e32 v17, 24, v45
	v_lshlrev_b32_e32 v2, 20, v2
	v_and_b32_e32 v17, 0x80000000, v17
	v_lshl_add_u32 v18, v18, 23, v43
	v_or3_b32 v2, v17, v18, v2
.LBB4_2734:                             ;   in Loop: Header=BB4_2249 Depth=2
	s_or_b64 exec, exec, s[34:35]
.LBB4_2735:                             ;   in Loop: Header=BB4_2249 Depth=2
	s_or_b64 exec, exec, s[30:31]
.LBB4_2736:                             ;   in Loop: Header=BB4_2249 Depth=2
	s_or_b64 exec, exec, s[94:95]
	v_and_b32_e32 v17, 0xff, v0
	v_cmp_ne_u16_e32 vcc, 0, v17
	s_and_saveexec_b64 s[94:95], vcc
	s_cbranch_execz .LBB4_2742
; %bb.2737:                             ;   in Loop: Header=BB4_2249 Depth=2
	v_cmp_ne_u16_e32 vcc, s53, v17
	v_bfrev_b32_e32 v3, 1
	s_and_saveexec_b64 s[30:31], vcc
	s_cbranch_execz .LBB4_2741
; %bb.2738:                             ;   in Loop: Header=BB4_2249 Depth=2
	v_and_b32_e32 v18, 0x7f, v0
	v_cmp_ne_u32_e32 vcc, s54, v18
	v_mov_b32_e32 v3, 0x7f800001
	s_and_saveexec_b64 s[34:35], vcc
	s_cbranch_execz .LBB4_2740
; %bb.2739:                             ;   in Loop: Header=BB4_2249 Depth=2
	v_and_b32_e32 v3, 7, v17
	v_lshrrev_b32_e32 v19, 3, v18
	v_cmp_gt_u32_e32 vcc, 8, v18
	v_ffbh_u32_e32 v18, v3
	v_min_u32_e32 v20, 32, v18
	v_subrev_u32_e32 v18, 28, v20
	v_lshlrev_b64 v[17:18], v18, v[17:18]
	v_sub_u32_e32 v18, 29, v20
	v_and_b32_e32 v17, 7, v17
	v_cndmask_b32_e32 v18, v19, v18, vcc
	v_cndmask_b32_e32 v3, v3, v17, vcc
	v_lshlrev_b32_e32 v17, 24, v0
	v_lshlrev_b32_e32 v3, 20, v3
	v_and_b32_e32 v17, 0x80000000, v17
	v_lshl_add_u32 v18, v18, 23, v43
	v_or3_b32 v3, v17, v18, v3
.LBB4_2740:                             ;   in Loop: Header=BB4_2249 Depth=2
	s_or_b64 exec, exec, s[34:35]
.LBB4_2741:                             ;   in Loop: Header=BB4_2249 Depth=2
	s_or_b64 exec, exec, s[30:31]
.LBB4_2742:                             ;   in Loop: Header=BB4_2249 Depth=2
	s_or_b64 exec, exec, s[94:95]
	v_max_f32_e32 v3, v3, v3
	v_max_f32_e32 v2, v2, v2
	;; [unrolled: 1-line block ×3, first 2 shown]
	s_mov_b64 s[94:95], 0
.LBB4_2743:                             ;   in Loop: Header=BB4_2249 Depth=2
	s_and_b64 vcc, exec, s[94:95]
	s_cbranch_vccz .LBB4_2757
; %bb.2744:                             ;   in Loop: Header=BB4_2249 Depth=2
	v_mov_b32_e32 v3, 0
	v_mov_b32_e32 v2, 0
	s_and_saveexec_b64 s[94:95], s[22:23]
	s_cbranch_execz .LBB4_2750
; %bb.2745:                             ;   in Loop: Header=BB4_2249 Depth=2
	v_cmp_ne_u16_e32 vcc, s53, v16
	v_bfrev_b32_e32 v2, 1
	s_and_saveexec_b64 s[22:23], vcc
	s_cbranch_execz .LBB4_2749
; %bb.2746:                             ;   in Loop: Header=BB4_2249 Depth=2
	v_and_b32_e32 v17, 0x7f, v45
	v_cmp_ne_u32_e32 vcc, s54, v17
	v_mov_b32_e32 v2, 0x7f800001
	s_and_saveexec_b64 s[30:31], vcc
	s_cbranch_execz .LBB4_2748
; %bb.2747:                             ;   in Loop: Header=BB4_2249 Depth=2
	v_and_b32_e32 v2, 7, v16
	v_lshrrev_b32_e32 v18, 3, v17
	v_cmp_gt_u32_e32 vcc, 8, v17
	v_ffbh_u32_e32 v17, v2
	v_min_u32_e32 v19, 32, v17
	v_subrev_u32_e32 v17, 28, v19
	v_lshlrev_b64 v[16:17], v17, v[16:17]
	v_sub_u32_e32 v17, 29, v19
	v_and_b32_e32 v16, 7, v16
	v_cndmask_b32_e32 v17, v18, v17, vcc
	v_cndmask_b32_e32 v2, v2, v16, vcc
	v_lshlrev_b32_e32 v16, 24, v45
	v_lshlrev_b32_e32 v2, 20, v2
	v_and_b32_e32 v16, 0x80000000, v16
	v_lshl_add_u32 v17, v17, 23, v43
	v_or3_b32 v2, v16, v17, v2
.LBB4_2748:                             ;   in Loop: Header=BB4_2249 Depth=2
	s_or_b64 exec, exec, s[30:31]
.LBB4_2749:                             ;   in Loop: Header=BB4_2249 Depth=2
	s_or_b64 exec, exec, s[22:23]
.LBB4_2750:                             ;   in Loop: Header=BB4_2249 Depth=2
	s_or_b64 exec, exec, s[94:95]
	v_and_b32_e32 v16, 0xff, v0
	v_cmp_ne_u16_e32 vcc, 0, v16
	s_and_saveexec_b64 s[22:23], vcc
	s_cbranch_execz .LBB4_2756
; %bb.2751:                             ;   in Loop: Header=BB4_2249 Depth=2
	v_cmp_ne_u16_e32 vcc, s53, v16
	v_bfrev_b32_e32 v3, 1
	s_and_saveexec_b64 s[94:95], vcc
	s_cbranch_execz .LBB4_2755
; %bb.2752:                             ;   in Loop: Header=BB4_2249 Depth=2
	v_and_b32_e32 v17, 0x7f, v0
	v_cmp_ne_u32_e32 vcc, s54, v17
	v_mov_b32_e32 v3, 0x7f800001
	s_and_saveexec_b64 s[30:31], vcc
	s_cbranch_execz .LBB4_2754
; %bb.2753:                             ;   in Loop: Header=BB4_2249 Depth=2
	v_and_b32_e32 v3, 7, v16
	v_lshrrev_b32_e32 v18, 3, v17
	v_cmp_gt_u32_e32 vcc, 8, v17
	v_ffbh_u32_e32 v17, v3
	v_min_u32_e32 v19, 32, v17
	v_subrev_u32_e32 v17, 28, v19
	v_lshlrev_b64 v[16:17], v17, v[16:17]
	v_sub_u32_e32 v17, 29, v19
	v_and_b32_e32 v16, 7, v16
	v_cndmask_b32_e32 v17, v18, v17, vcc
	v_cndmask_b32_e32 v3, v3, v16, vcc
	v_lshlrev_b32_e32 v0, 24, v0
	v_lshlrev_b32_e32 v3, 20, v3
	v_and_b32_e32 v0, 0x80000000, v0
	v_lshl_add_u32 v16, v17, 23, v43
	v_or3_b32 v3, v0, v16, v3
.LBB4_2754:                             ;   in Loop: Header=BB4_2249 Depth=2
	s_or_b64 exec, exec, s[30:31]
.LBB4_2755:                             ;   in Loop: Header=BB4_2249 Depth=2
	s_or_b64 exec, exec, s[94:95]
.LBB4_2756:                             ;   in Loop: Header=BB4_2249 Depth=2
	s_or_b64 exec, exec, s[22:23]
	v_max_f32_e32 v0, v3, v3
	v_max_f32_e32 v2, v2, v2
	v_min_f32_e32 v2, v2, v0
.LBB4_2757:                             ;   in Loop: Header=BB4_2249 Depth=2
	v_and_b32_e32 v52, 0x7f800000, v2
	v_cmp_ne_u64_e32 vcc, s[72:73], v[52:53]
                                        ; implicit-def: $vgpr0
	s_and_saveexec_b64 s[22:23], vcc
	s_xor_b64 s[94:95], exec, s[22:23]
	s_cbranch_execz .LBB4_2775
; %bb.2758:                             ;   in Loop: Header=BB4_2249 Depth=2
	v_and_b32_e32 v52, 0x7fffffff, v2
	v_cmp_gt_u64_e32 vcc, s[74:75], v[52:53]
	v_and_b32_sdwa v18, v2, s53 dst_sel:DWORD dst_unused:UNUSED_PAD src0_sel:BYTE_3 src1_sel:DWORD
                                        ; implicit-def: $vgpr0
	s_and_saveexec_b64 s[22:23], vcc
	s_xor_b64 s[30:31], exec, s[22:23]
	s_cbranch_execz .LBB4_2772
; %bb.2759:                             ;   in Loop: Header=BB4_2249 Depth=2
	v_cmp_ne_u32_e32 vcc, 0, v2
	v_mov_b32_e32 v0, 0
	s_and_saveexec_b64 s[34:35], vcc
	s_cbranch_execz .LBB4_2771
; %bb.2760:                             ;   in Loop: Header=BB4_2249 Depth=2
	v_bfe_u32 v0, v2, 23, 8
	v_and_b32_e32 v3, 0x7fffff, v2
	v_cmp_gt_u32_e64 s[22:23], s64, v0
	v_sub_u32_e32 v2, 0x79, v0
	v_cmp_eq_u32_e32 vcc, 0, v0
	v_cndmask_b32_e64 v2, 0, v2, s[22:23]
	v_mov_b32_e32 v17, 0x78
	v_cndmask_b32_e32 v19, v2, v17, vcc
	v_or_b32_e32 v16, 0x800000, v3
	v_add_u32_e32 v2, 20, v19
	v_cndmask_b32_e32 v52, v16, v3, vcc
	v_lshlrev_b64 v[2:3], v2, -1
	v_add_u32_e32 v16, 19, v19
	v_lshlrev_b64 v[16:17], v16, 1
	v_bfi_b32 v3, v3, 0, 0
	v_bfi_b32 v2, v2, 0, v52
	v_cmp_eq_u64_e64 s[22:23], v[2:3], v[16:17]
	v_lshrrev_b64 v[16:17], v19, v[52:53]
	v_mov_b32_e32 v2, v16
	v_mov_b32_e32 v3, v17
	s_and_saveexec_b64 s[36:37], s[22:23]
; %bb.2761:                             ;   in Loop: Header=BB4_2249 Depth=2
	v_bfe_u32 v2, v16, 20, 1
	v_add_co_u32_e64 v2, s[22:23], v16, v2
	v_add_co_u32_e64 v2, s[22:23], -1, v2
; %bb.2762:                             ;   in Loop: Header=BB4_2249 Depth=2
	s_or_b64 exec, exec, s[36:37]
	v_add_u32_e32 v0, 0xffffff81, v0
	v_cndmask_b32_e32 v0, v0, v49, vcc
	v_lshrrev_b32_e32 v3, 23, v16
	v_add3_u32 v3, v19, v0, v3
	v_add_u32_e32 v0, 6, v3
	v_and_b32_e32 v2, 0xfffff, v2
	v_add_u32_e32 v52, v2, v16
	v_cmp_ne_u32_e32 vcc, 0, v0
                                        ; implicit-def: $vgpr16_vgpr17
                                        ; implicit-def: $vgpr2
	s_and_saveexec_b64 s[22:23], vcc
	s_xor_b64 s[22:23], exec, s[22:23]
; %bb.2763:                             ;   in Loop: Header=BB4_2249 Depth=2
	v_cmp_lt_u64_e32 vcc, s[76:77], v[52:53]
	v_add_u32_e32 v2, 7, v3
	v_cndmask_b32_e32 v2, v0, v2, vcc
	v_cndmask_b32_e64 v0, 0, 1, vcc
	v_lshrrev_b64 v[16:17], v0, v[52:53]
; %bb.2764:                             ;   in Loop: Header=BB4_2249 Depth=2
	s_andn2_saveexec_b64 s[22:23], s[22:23]
; %bb.2765:                             ;   in Loop: Header=BB4_2249 Depth=2
	v_mov_b32_e32 v16, v52
	v_bfe_u32 v2, v52, 23, 1
	v_mov_b32_e32 v17, v53
; %bb.2766:                             ;   in Loop: Header=BB4_2249 Depth=2
	s_or_b64 exec, exec, s[22:23]
	v_lshrrev_b64 v[16:17], 20, v[16:17]
	v_cmp_gt_i32_e32 vcc, 16, v2
	v_cndmask_b32_e32 v17, 0, v17, vcc
	v_cndmask_b32_e32 v16, 7, v16, vcc
	v_cmp_ne_u64_e32 vcc, 0, v[16:17]
	v_cmp_ne_u32_e64 s[22:23], 0, v2
	s_or_b64 s[22:23], s[22:23], vcc
                                        ; implicit-def: $vgpr0
	s_and_saveexec_b64 vcc, s[22:23]
	s_xor_b64 s[22:23], exec, vcc
; %bb.2767:                             ;   in Loop: Header=BB4_2249 Depth=2
	v_min_i32_e32 v0, 15, v2
	v_lshl_or_b32 v0, v0, 3, v18
	v_and_or_b32 v0, v16, 7, v0
                                        ; implicit-def: $vgpr18
; %bb.2768:                             ;   in Loop: Header=BB4_2249 Depth=2
	s_andn2_saveexec_b64 s[22:23], s[22:23]
; %bb.2769:                             ;   in Loop: Header=BB4_2249 Depth=2
	v_mov_b32_e32 v0, v18
; %bb.2770:                             ;   in Loop: Header=BB4_2249 Depth=2
	s_or_b64 exec, exec, s[22:23]
.LBB4_2771:                             ;   in Loop: Header=BB4_2249 Depth=2
	s_or_b64 exec, exec, s[34:35]
                                        ; implicit-def: $vgpr18
.LBB4_2772:                             ;   in Loop: Header=BB4_2249 Depth=2
	s_andn2_saveexec_b64 s[22:23], s[30:31]
; %bb.2773:                             ;   in Loop: Header=BB4_2249 Depth=2
	v_or_b32_e32 v0, 0x7e, v18
; %bb.2774:                             ;   in Loop: Header=BB4_2249 Depth=2
	s_or_b64 exec, exec, s[22:23]
                                        ; implicit-def: $vgpr2
.LBB4_2775:                             ;   in Loop: Header=BB4_2249 Depth=2
	s_andn2_saveexec_b64 s[22:23], s[94:95]
; %bb.2776:                             ;   in Loop: Header=BB4_2249 Depth=2
	v_or_b32_sdwa v0, v2, s54 dst_sel:DWORD dst_unused:UNUSED_PAD src0_sel:BYTE_3 src1_sel:DWORD
; %bb.2777:                             ;   in Loop: Header=BB4_2249 Depth=2
	s_or_b64 exec, exec, s[22:23]
	v_and_b32_e32 v16, 0xff, v42
	v_cmp_ne_u16_e64 s[22:23], 0, v16
	s_and_b64 vcc, exec, s[20:21]
	s_mov_b64 s[94:95], -1
                                        ; implicit-def: $vgpr2
	s_cbranch_vccnz .LBB4_2791
; %bb.2778:                             ;   in Loop: Header=BB4_2249 Depth=2
	v_mov_b32_e32 v3, 0
	v_mov_b32_e32 v2, 0
	s_and_saveexec_b64 s[94:95], s[22:23]
	s_cbranch_execz .LBB4_2784
; %bb.2779:                             ;   in Loop: Header=BB4_2249 Depth=2
	v_cmp_ne_u16_e32 vcc, s53, v16
	v_bfrev_b32_e32 v2, 1
	s_and_saveexec_b64 s[30:31], vcc
	s_cbranch_execz .LBB4_2783
; %bb.2780:                             ;   in Loop: Header=BB4_2249 Depth=2
	v_and_b32_e32 v17, 0x7f, v42
	v_cmp_ne_u32_e32 vcc, s54, v17
	v_mov_b32_e32 v2, 0x7f800001
	s_and_saveexec_b64 s[34:35], vcc
	s_cbranch_execz .LBB4_2782
; %bb.2781:                             ;   in Loop: Header=BB4_2249 Depth=2
	v_and_b32_e32 v2, 7, v16
	v_lshrrev_b32_e32 v19, 3, v17
	v_cmp_gt_u32_e32 vcc, 8, v17
	v_ffbh_u32_e32 v17, v2
	v_min_u32_e32 v20, 32, v17
	v_subrev_u32_e32 v17, 28, v20
	v_lshlrev_b64 v[17:18], v17, v[16:17]
	v_sub_u32_e32 v18, 29, v20
	v_and_b32_e32 v17, 7, v17
	v_cndmask_b32_e32 v18, v19, v18, vcc
	v_cndmask_b32_e32 v2, v2, v17, vcc
	v_lshlrev_b32_e32 v17, 24, v42
	v_lshlrev_b32_e32 v2, 20, v2
	v_and_b32_e32 v17, 0x80000000, v17
	v_lshl_add_u32 v18, v18, 23, v43
	v_or3_b32 v2, v17, v18, v2
.LBB4_2782:                             ;   in Loop: Header=BB4_2249 Depth=2
	s_or_b64 exec, exec, s[34:35]
.LBB4_2783:                             ;   in Loop: Header=BB4_2249 Depth=2
	s_or_b64 exec, exec, s[30:31]
.LBB4_2784:                             ;   in Loop: Header=BB4_2249 Depth=2
	s_or_b64 exec, exec, s[94:95]
	v_and_b32_e32 v17, 0xff, v41
	v_cmp_ne_u16_e32 vcc, 0, v17
	s_and_saveexec_b64 s[94:95], vcc
	s_cbranch_execz .LBB4_2790
; %bb.2785:                             ;   in Loop: Header=BB4_2249 Depth=2
	v_cmp_ne_u16_e32 vcc, s53, v17
	v_bfrev_b32_e32 v3, 1
	s_and_saveexec_b64 s[30:31], vcc
	s_cbranch_execz .LBB4_2789
; %bb.2786:                             ;   in Loop: Header=BB4_2249 Depth=2
	v_and_b32_e32 v18, 0x7f, v41
	v_cmp_ne_u32_e32 vcc, s54, v18
	v_mov_b32_e32 v3, 0x7f800001
	s_and_saveexec_b64 s[34:35], vcc
	s_cbranch_execz .LBB4_2788
; %bb.2787:                             ;   in Loop: Header=BB4_2249 Depth=2
	v_and_b32_e32 v3, 7, v17
	v_lshrrev_b32_e32 v19, 3, v18
	v_cmp_gt_u32_e32 vcc, 8, v18
	v_ffbh_u32_e32 v18, v3
	v_min_u32_e32 v20, 32, v18
	v_subrev_u32_e32 v18, 28, v20
	v_lshlrev_b64 v[17:18], v18, v[17:18]
	v_sub_u32_e32 v18, 29, v20
	v_and_b32_e32 v17, 7, v17
	v_cndmask_b32_e32 v18, v19, v18, vcc
	v_cndmask_b32_e32 v3, v3, v17, vcc
	v_lshlrev_b32_e32 v17, 24, v41
	v_lshlrev_b32_e32 v3, 20, v3
	v_and_b32_e32 v17, 0x80000000, v17
	v_lshl_add_u32 v18, v18, 23, v43
	v_or3_b32 v3, v17, v18, v3
.LBB4_2788:                             ;   in Loop: Header=BB4_2249 Depth=2
	s_or_b64 exec, exec, s[34:35]
.LBB4_2789:                             ;   in Loop: Header=BB4_2249 Depth=2
	s_or_b64 exec, exec, s[30:31]
.LBB4_2790:                             ;   in Loop: Header=BB4_2249 Depth=2
	s_or_b64 exec, exec, s[94:95]
	v_max_f32_e32 v3, v3, v3
	v_max_f32_e32 v2, v2, v2
	;; [unrolled: 1-line block ×3, first 2 shown]
	s_mov_b64 s[94:95], 0
.LBB4_2791:                             ;   in Loop: Header=BB4_2249 Depth=2
	s_and_b64 vcc, exec, s[94:95]
	s_cbranch_vccz .LBB4_2805
; %bb.2792:                             ;   in Loop: Header=BB4_2249 Depth=2
	v_mov_b32_e32 v3, 0
	v_mov_b32_e32 v2, 0
	s_and_saveexec_b64 s[94:95], s[22:23]
	s_cbranch_execz .LBB4_2798
; %bb.2793:                             ;   in Loop: Header=BB4_2249 Depth=2
	v_cmp_ne_u16_e32 vcc, s53, v16
	v_bfrev_b32_e32 v2, 1
	s_and_saveexec_b64 s[22:23], vcc
	s_cbranch_execz .LBB4_2797
; %bb.2794:                             ;   in Loop: Header=BB4_2249 Depth=2
	v_and_b32_e32 v17, 0x7f, v42
	v_cmp_ne_u32_e32 vcc, s54, v17
	v_mov_b32_e32 v2, 0x7f800001
	s_and_saveexec_b64 s[30:31], vcc
	s_cbranch_execz .LBB4_2796
; %bb.2795:                             ;   in Loop: Header=BB4_2249 Depth=2
	v_and_b32_e32 v2, 7, v16
	v_lshrrev_b32_e32 v18, 3, v17
	v_cmp_gt_u32_e32 vcc, 8, v17
	v_ffbh_u32_e32 v17, v2
	v_min_u32_e32 v19, 32, v17
	v_subrev_u32_e32 v17, 28, v19
	v_lshlrev_b64 v[16:17], v17, v[16:17]
	v_sub_u32_e32 v17, 29, v19
	v_and_b32_e32 v16, 7, v16
	v_cndmask_b32_e32 v17, v18, v17, vcc
	v_cndmask_b32_e32 v2, v2, v16, vcc
	v_lshlrev_b32_e32 v16, 24, v42
	v_lshlrev_b32_e32 v2, 20, v2
	v_and_b32_e32 v16, 0x80000000, v16
	v_lshl_add_u32 v17, v17, 23, v43
	v_or3_b32 v2, v16, v17, v2
.LBB4_2796:                             ;   in Loop: Header=BB4_2249 Depth=2
	s_or_b64 exec, exec, s[30:31]
.LBB4_2797:                             ;   in Loop: Header=BB4_2249 Depth=2
	s_or_b64 exec, exec, s[22:23]
.LBB4_2798:                             ;   in Loop: Header=BB4_2249 Depth=2
	s_or_b64 exec, exec, s[94:95]
	v_and_b32_e32 v16, 0xff, v41
	v_cmp_ne_u16_e32 vcc, 0, v16
	s_and_saveexec_b64 s[22:23], vcc
	s_cbranch_execz .LBB4_2804
; %bb.2799:                             ;   in Loop: Header=BB4_2249 Depth=2
	v_cmp_ne_u16_e32 vcc, s53, v16
	v_bfrev_b32_e32 v3, 1
	s_and_saveexec_b64 s[94:95], vcc
	s_cbranch_execz .LBB4_2803
; %bb.2800:                             ;   in Loop: Header=BB4_2249 Depth=2
	v_and_b32_e32 v17, 0x7f, v41
	v_cmp_ne_u32_e32 vcc, s54, v17
	v_mov_b32_e32 v3, 0x7f800001
	s_and_saveexec_b64 s[30:31], vcc
	s_cbranch_execz .LBB4_2802
; %bb.2801:                             ;   in Loop: Header=BB4_2249 Depth=2
	v_and_b32_e32 v3, 7, v16
	v_lshrrev_b32_e32 v18, 3, v17
	v_cmp_gt_u32_e32 vcc, 8, v17
	v_ffbh_u32_e32 v17, v3
	v_min_u32_e32 v19, 32, v17
	v_subrev_u32_e32 v17, 28, v19
	v_lshlrev_b64 v[16:17], v17, v[16:17]
	v_sub_u32_e32 v17, 29, v19
	v_and_b32_e32 v16, 7, v16
	v_cndmask_b32_e32 v17, v18, v17, vcc
	v_cndmask_b32_e32 v3, v3, v16, vcc
	v_lshlrev_b32_e32 v16, 24, v41
	v_lshlrev_b32_e32 v3, 20, v3
	v_and_b32_e32 v16, 0x80000000, v16
	v_lshl_add_u32 v17, v17, 23, v43
	v_or3_b32 v3, v16, v17, v3
.LBB4_2802:                             ;   in Loop: Header=BB4_2249 Depth=2
	s_or_b64 exec, exec, s[30:31]
.LBB4_2803:                             ;   in Loop: Header=BB4_2249 Depth=2
	s_or_b64 exec, exec, s[94:95]
.LBB4_2804:                             ;   in Loop: Header=BB4_2249 Depth=2
	s_or_b64 exec, exec, s[22:23]
	v_max_f32_e32 v3, v3, v3
	v_max_f32_e32 v2, v2, v2
	v_min_f32_e32 v2, v2, v3
.LBB4_2805:                             ;   in Loop: Header=BB4_2249 Depth=2
	v_and_b32_e32 v52, 0x7f800000, v2
	v_cmp_ne_u64_e32 vcc, s[72:73], v[52:53]
                                        ; implicit-def: $vgpr21
	s_and_saveexec_b64 s[22:23], vcc
	s_xor_b64 s[94:95], exec, s[22:23]
	s_cbranch_execz .LBB4_2823
; %bb.2806:                             ;   in Loop: Header=BB4_2249 Depth=2
	v_and_b32_e32 v52, 0x7fffffff, v2
	v_cmp_gt_u64_e32 vcc, s[74:75], v[52:53]
	v_and_b32_sdwa v18, v2, s53 dst_sel:DWORD dst_unused:UNUSED_PAD src0_sel:BYTE_3 src1_sel:DWORD
                                        ; implicit-def: $vgpr21
	s_and_saveexec_b64 s[22:23], vcc
	s_xor_b64 s[30:31], exec, s[22:23]
	s_cbranch_execz .LBB4_2820
; %bb.2807:                             ;   in Loop: Header=BB4_2249 Depth=2
	v_cmp_ne_u32_e32 vcc, 0, v2
	v_mov_b32_e32 v21, 0
	s_and_saveexec_b64 s[34:35], vcc
	s_cbranch_execz .LBB4_2819
; %bb.2808:                             ;   in Loop: Header=BB4_2249 Depth=2
	v_bfe_u32 v19, v2, 23, 8
	v_and_b32_e32 v3, 0x7fffff, v2
	v_cmp_gt_u32_e64 s[22:23], s64, v19
	v_sub_u32_e32 v2, 0x79, v19
	v_cmp_eq_u32_e32 vcc, 0, v19
	v_cndmask_b32_e64 v2, 0, v2, s[22:23]
	v_mov_b32_e32 v17, 0x78
	v_cndmask_b32_e32 v20, v2, v17, vcc
	v_or_b32_e32 v16, 0x800000, v3
	v_add_u32_e32 v2, 20, v20
	v_cndmask_b32_e32 v52, v16, v3, vcc
	v_lshlrev_b64 v[2:3], v2, -1
	v_add_u32_e32 v16, 19, v20
	v_lshlrev_b64 v[16:17], v16, 1
	v_bfi_b32 v3, v3, 0, 0
	v_bfi_b32 v2, v2, 0, v52
	v_cmp_eq_u64_e64 s[22:23], v[2:3], v[16:17]
	v_lshrrev_b64 v[16:17], v20, v[52:53]
	v_mov_b32_e32 v2, v16
	v_mov_b32_e32 v3, v17
	s_and_saveexec_b64 s[36:37], s[22:23]
; %bb.2809:                             ;   in Loop: Header=BB4_2249 Depth=2
	v_bfe_u32 v2, v16, 20, 1
	v_add_co_u32_e64 v2, s[22:23], v16, v2
	v_add_co_u32_e64 v2, s[22:23], -1, v2
; %bb.2810:                             ;   in Loop: Header=BB4_2249 Depth=2
	s_or_b64 exec, exec, s[36:37]
	v_add_u32_e32 v3, 0xffffff81, v19
	v_cndmask_b32_e32 v3, v3, v49, vcc
	v_lshrrev_b32_e32 v17, 23, v16
	v_add3_u32 v19, v20, v3, v17
	v_add_u32_e32 v3, 6, v19
	v_and_b32_e32 v2, 0xfffff, v2
	v_add_u32_e32 v52, v2, v16
	v_cmp_ne_u32_e32 vcc, 0, v3
                                        ; implicit-def: $vgpr16_vgpr17
                                        ; implicit-def: $vgpr2
	s_and_saveexec_b64 s[22:23], vcc
	s_xor_b64 s[22:23], exec, s[22:23]
; %bb.2811:                             ;   in Loop: Header=BB4_2249 Depth=2
	v_cmp_lt_u64_e32 vcc, s[76:77], v[52:53]
	v_add_u32_e32 v2, 7, v19
	v_cndmask_b32_e32 v2, v3, v2, vcc
	v_cndmask_b32_e64 v3, 0, 1, vcc
	v_lshrrev_b64 v[16:17], v3, v[52:53]
; %bb.2812:                             ;   in Loop: Header=BB4_2249 Depth=2
	s_andn2_saveexec_b64 s[22:23], s[22:23]
; %bb.2813:                             ;   in Loop: Header=BB4_2249 Depth=2
	v_mov_b32_e32 v16, v52
	v_bfe_u32 v2, v52, 23, 1
	v_mov_b32_e32 v17, v53
; %bb.2814:                             ;   in Loop: Header=BB4_2249 Depth=2
	s_or_b64 exec, exec, s[22:23]
	v_lshrrev_b64 v[16:17], 20, v[16:17]
	v_cmp_gt_i32_e32 vcc, 16, v2
	v_cndmask_b32_e32 v17, 0, v17, vcc
	v_cndmask_b32_e32 v16, 7, v16, vcc
	v_cmp_ne_u64_e32 vcc, 0, v[16:17]
	v_cmp_ne_u32_e64 s[22:23], 0, v2
	s_or_b64 s[22:23], s[22:23], vcc
                                        ; implicit-def: $vgpr21
	s_and_saveexec_b64 vcc, s[22:23]
	s_xor_b64 s[22:23], exec, vcc
; %bb.2815:                             ;   in Loop: Header=BB4_2249 Depth=2
	v_min_i32_e32 v2, 15, v2
	v_lshl_or_b32 v2, v2, 3, v18
	v_and_or_b32 v21, v16, 7, v2
                                        ; implicit-def: $vgpr18
; %bb.2816:                             ;   in Loop: Header=BB4_2249 Depth=2
	s_andn2_saveexec_b64 s[22:23], s[22:23]
; %bb.2817:                             ;   in Loop: Header=BB4_2249 Depth=2
	v_mov_b32_e32 v21, v18
; %bb.2818:                             ;   in Loop: Header=BB4_2249 Depth=2
	s_or_b64 exec, exec, s[22:23]
.LBB4_2819:                             ;   in Loop: Header=BB4_2249 Depth=2
	s_or_b64 exec, exec, s[34:35]
                                        ; implicit-def: $vgpr18
.LBB4_2820:                             ;   in Loop: Header=BB4_2249 Depth=2
	s_andn2_saveexec_b64 s[22:23], s[30:31]
; %bb.2821:                             ;   in Loop: Header=BB4_2249 Depth=2
	v_or_b32_e32 v21, 0x7e, v18
; %bb.2822:                             ;   in Loop: Header=BB4_2249 Depth=2
	s_or_b64 exec, exec, s[22:23]
                                        ; implicit-def: $vgpr2
.LBB4_2823:                             ;   in Loop: Header=BB4_2249 Depth=2
	s_andn2_saveexec_b64 s[22:23], s[94:95]
; %bb.2824:                             ;   in Loop: Header=BB4_2249 Depth=2
	v_or_b32_sdwa v21, v2, s54 dst_sel:DWORD dst_unused:UNUSED_PAD src0_sel:BYTE_3 src1_sel:DWORD
; %bb.2825:                             ;   in Loop: Header=BB4_2249 Depth=2
	s_or_b64 exec, exec, s[22:23]
	v_and_b32_e32 v16, 0xff, v50
	v_cmp_ne_u16_e64 s[22:23], 0, v16
	s_and_b64 vcc, exec, s[20:21]
	s_mov_b64 s[94:95], -1
                                        ; implicit-def: $vgpr2
	s_cbranch_vccnz .LBB4_2839
; %bb.2826:                             ;   in Loop: Header=BB4_2249 Depth=2
	v_mov_b32_e32 v3, 0
	v_mov_b32_e32 v2, 0
	s_and_saveexec_b64 s[94:95], s[22:23]
	s_cbranch_execz .LBB4_2832
; %bb.2827:                             ;   in Loop: Header=BB4_2249 Depth=2
	v_cmp_ne_u16_e32 vcc, s53, v16
	v_bfrev_b32_e32 v2, 1
	s_and_saveexec_b64 s[30:31], vcc
	s_cbranch_execz .LBB4_2831
; %bb.2828:                             ;   in Loop: Header=BB4_2249 Depth=2
	v_and_b32_e32 v17, 0x7f, v50
	v_cmp_ne_u32_e32 vcc, s54, v17
	v_mov_b32_e32 v2, 0x7f800001
	s_and_saveexec_b64 s[34:35], vcc
	s_cbranch_execz .LBB4_2830
; %bb.2829:                             ;   in Loop: Header=BB4_2249 Depth=2
	v_and_b32_e32 v2, 7, v16
	v_lshrrev_b32_e32 v19, 3, v17
	v_cmp_gt_u32_e32 vcc, 8, v17
	v_ffbh_u32_e32 v17, v2
	v_min_u32_e32 v20, 32, v17
	v_subrev_u32_e32 v17, 28, v20
	v_lshlrev_b64 v[17:18], v17, v[16:17]
	v_sub_u32_e32 v18, 29, v20
	v_and_b32_e32 v17, 7, v17
	v_cndmask_b32_e32 v18, v19, v18, vcc
	v_cndmask_b32_e32 v2, v2, v17, vcc
	v_lshlrev_b32_e32 v17, 24, v50
	v_lshlrev_b32_e32 v2, 20, v2
	v_and_b32_e32 v17, 0x80000000, v17
	v_lshl_add_u32 v18, v18, 23, v43
	v_or3_b32 v2, v17, v18, v2
.LBB4_2830:                             ;   in Loop: Header=BB4_2249 Depth=2
	s_or_b64 exec, exec, s[34:35]
.LBB4_2831:                             ;   in Loop: Header=BB4_2249 Depth=2
	s_or_b64 exec, exec, s[30:31]
.LBB4_2832:                             ;   in Loop: Header=BB4_2249 Depth=2
	s_or_b64 exec, exec, s[94:95]
	v_and_b32_e32 v17, 0xff, v35
	v_cmp_ne_u16_e32 vcc, 0, v17
	s_and_saveexec_b64 s[94:95], vcc
	s_cbranch_execz .LBB4_2838
; %bb.2833:                             ;   in Loop: Header=BB4_2249 Depth=2
	v_cmp_ne_u16_e32 vcc, s53, v17
	v_bfrev_b32_e32 v3, 1
	s_and_saveexec_b64 s[30:31], vcc
	s_cbranch_execz .LBB4_2837
; %bb.2834:                             ;   in Loop: Header=BB4_2249 Depth=2
	v_and_b32_e32 v18, 0x7f, v35
	v_cmp_ne_u32_e32 vcc, s54, v18
	v_mov_b32_e32 v3, 0x7f800001
	s_and_saveexec_b64 s[34:35], vcc
	s_cbranch_execz .LBB4_2836
; %bb.2835:                             ;   in Loop: Header=BB4_2249 Depth=2
	v_and_b32_e32 v3, 7, v17
	v_lshrrev_b32_e32 v19, 3, v18
	v_cmp_gt_u32_e32 vcc, 8, v18
	v_ffbh_u32_e32 v18, v3
	v_min_u32_e32 v20, 32, v18
	v_subrev_u32_e32 v18, 28, v20
	v_lshlrev_b64 v[17:18], v18, v[17:18]
	v_sub_u32_e32 v18, 29, v20
	v_and_b32_e32 v17, 7, v17
	v_cndmask_b32_e32 v18, v19, v18, vcc
	v_cndmask_b32_e32 v3, v3, v17, vcc
	v_lshlrev_b32_e32 v17, 24, v35
	v_lshlrev_b32_e32 v3, 20, v3
	v_and_b32_e32 v17, 0x80000000, v17
	v_lshl_add_u32 v18, v18, 23, v43
	v_or3_b32 v3, v17, v18, v3
.LBB4_2836:                             ;   in Loop: Header=BB4_2249 Depth=2
	s_or_b64 exec, exec, s[34:35]
.LBB4_2837:                             ;   in Loop: Header=BB4_2249 Depth=2
	s_or_b64 exec, exec, s[30:31]
.LBB4_2838:                             ;   in Loop: Header=BB4_2249 Depth=2
	s_or_b64 exec, exec, s[94:95]
	v_max_f32_e32 v3, v3, v3
	v_max_f32_e32 v2, v2, v2
	;; [unrolled: 1-line block ×3, first 2 shown]
	s_mov_b64 s[94:95], 0
.LBB4_2839:                             ;   in Loop: Header=BB4_2249 Depth=2
	s_and_b64 vcc, exec, s[94:95]
	s_cbranch_vccz .LBB4_2853
; %bb.2840:                             ;   in Loop: Header=BB4_2249 Depth=2
	v_mov_b32_e32 v3, 0
	v_mov_b32_e32 v2, 0
	s_and_saveexec_b64 s[94:95], s[22:23]
	s_cbranch_execz .LBB4_2846
; %bb.2841:                             ;   in Loop: Header=BB4_2249 Depth=2
	v_cmp_ne_u16_e32 vcc, s53, v16
	v_bfrev_b32_e32 v2, 1
	s_and_saveexec_b64 s[22:23], vcc
	s_cbranch_execz .LBB4_2845
; %bb.2842:                             ;   in Loop: Header=BB4_2249 Depth=2
	v_and_b32_e32 v17, 0x7f, v50
	v_cmp_ne_u32_e32 vcc, s54, v17
	v_mov_b32_e32 v2, 0x7f800001
	s_and_saveexec_b64 s[30:31], vcc
	s_cbranch_execz .LBB4_2844
; %bb.2843:                             ;   in Loop: Header=BB4_2249 Depth=2
	v_and_b32_e32 v2, 7, v16
	v_lshrrev_b32_e32 v18, 3, v17
	v_cmp_gt_u32_e32 vcc, 8, v17
	v_ffbh_u32_e32 v17, v2
	v_min_u32_e32 v19, 32, v17
	v_subrev_u32_e32 v17, 28, v19
	v_lshlrev_b64 v[16:17], v17, v[16:17]
	v_sub_u32_e32 v17, 29, v19
	v_and_b32_e32 v16, 7, v16
	v_cndmask_b32_e32 v17, v18, v17, vcc
	v_cndmask_b32_e32 v2, v2, v16, vcc
	v_lshlrev_b32_e32 v16, 24, v50
	v_lshlrev_b32_e32 v2, 20, v2
	v_and_b32_e32 v16, 0x80000000, v16
	v_lshl_add_u32 v17, v17, 23, v43
	v_or3_b32 v2, v16, v17, v2
.LBB4_2844:                             ;   in Loop: Header=BB4_2249 Depth=2
	s_or_b64 exec, exec, s[30:31]
.LBB4_2845:                             ;   in Loop: Header=BB4_2249 Depth=2
	s_or_b64 exec, exec, s[22:23]
.LBB4_2846:                             ;   in Loop: Header=BB4_2249 Depth=2
	s_or_b64 exec, exec, s[94:95]
	v_and_b32_e32 v16, 0xff, v35
	v_cmp_ne_u16_e32 vcc, 0, v16
	s_and_saveexec_b64 s[22:23], vcc
	s_cbranch_execz .LBB4_2852
; %bb.2847:                             ;   in Loop: Header=BB4_2249 Depth=2
	v_cmp_ne_u16_e32 vcc, s53, v16
	v_bfrev_b32_e32 v3, 1
	s_and_saveexec_b64 s[94:95], vcc
	s_cbranch_execz .LBB4_2851
; %bb.2848:                             ;   in Loop: Header=BB4_2249 Depth=2
	v_and_b32_e32 v17, 0x7f, v35
	v_cmp_ne_u32_e32 vcc, s54, v17
	v_mov_b32_e32 v3, 0x7f800001
	s_and_saveexec_b64 s[30:31], vcc
	s_cbranch_execz .LBB4_2850
; %bb.2849:                             ;   in Loop: Header=BB4_2249 Depth=2
	v_and_b32_e32 v3, 7, v16
	v_lshrrev_b32_e32 v18, 3, v17
	v_cmp_gt_u32_e32 vcc, 8, v17
	v_ffbh_u32_e32 v17, v3
	v_min_u32_e32 v19, 32, v17
	v_subrev_u32_e32 v17, 28, v19
	v_lshlrev_b64 v[16:17], v17, v[16:17]
	v_sub_u32_e32 v17, 29, v19
	v_and_b32_e32 v16, 7, v16
	v_cndmask_b32_e32 v17, v18, v17, vcc
	v_cndmask_b32_e32 v3, v3, v16, vcc
	v_lshlrev_b32_e32 v16, 24, v35
	v_lshlrev_b32_e32 v3, 20, v3
	v_and_b32_e32 v16, 0x80000000, v16
	v_lshl_add_u32 v17, v17, 23, v43
	v_or3_b32 v3, v16, v17, v3
.LBB4_2850:                             ;   in Loop: Header=BB4_2249 Depth=2
	s_or_b64 exec, exec, s[30:31]
.LBB4_2851:                             ;   in Loop: Header=BB4_2249 Depth=2
	s_or_b64 exec, exec, s[94:95]
.LBB4_2852:                             ;   in Loop: Header=BB4_2249 Depth=2
	s_or_b64 exec, exec, s[22:23]
	v_max_f32_e32 v3, v3, v3
	v_max_f32_e32 v2, v2, v2
	v_min_f32_e32 v2, v2, v3
.LBB4_2853:                             ;   in Loop: Header=BB4_2249 Depth=2
	v_and_b32_e32 v52, 0x7f800000, v2
	v_cmp_ne_u64_e32 vcc, s[72:73], v[52:53]
                                        ; implicit-def: $vgpr18
	s_and_saveexec_b64 s[22:23], vcc
	s_xor_b64 s[94:95], exec, s[22:23]
	s_cbranch_execz .LBB4_2871
; %bb.2854:                             ;   in Loop: Header=BB4_2249 Depth=2
	v_and_b32_e32 v52, 0x7fffffff, v2
	v_cmp_gt_u64_e32 vcc, s[74:75], v[52:53]
	v_and_b32_sdwa v19, v2, s53 dst_sel:DWORD dst_unused:UNUSED_PAD src0_sel:BYTE_3 src1_sel:DWORD
                                        ; implicit-def: $vgpr18
	s_and_saveexec_b64 s[22:23], vcc
	s_xor_b64 s[30:31], exec, s[22:23]
	s_cbranch_execz .LBB4_2868
; %bb.2855:                             ;   in Loop: Header=BB4_2249 Depth=2
	v_cmp_ne_u32_e32 vcc, 0, v2
	v_mov_b32_e32 v18, 0
	s_and_saveexec_b64 s[34:35], vcc
	s_cbranch_execz .LBB4_2867
; %bb.2856:                             ;   in Loop: Header=BB4_2249 Depth=2
	v_bfe_u32 v18, v2, 23, 8
	v_and_b32_e32 v3, 0x7fffff, v2
	v_cmp_gt_u32_e64 s[22:23], s64, v18
	v_sub_u32_e32 v2, 0x79, v18
	v_cmp_eq_u32_e32 vcc, 0, v18
	v_cndmask_b32_e64 v2, 0, v2, s[22:23]
	v_mov_b32_e32 v17, 0x78
	v_cndmask_b32_e32 v20, v2, v17, vcc
	v_or_b32_e32 v16, 0x800000, v3
	v_add_u32_e32 v2, 20, v20
	v_cndmask_b32_e32 v52, v16, v3, vcc
	v_lshlrev_b64 v[2:3], v2, -1
	v_add_u32_e32 v16, 19, v20
	v_lshlrev_b64 v[16:17], v16, 1
	v_bfi_b32 v3, v3, 0, 0
	v_bfi_b32 v2, v2, 0, v52
	v_cmp_eq_u64_e64 s[22:23], v[2:3], v[16:17]
	v_lshrrev_b64 v[16:17], v20, v[52:53]
	v_mov_b32_e32 v2, v16
	v_mov_b32_e32 v3, v17
	s_and_saveexec_b64 s[36:37], s[22:23]
; %bb.2857:                             ;   in Loop: Header=BB4_2249 Depth=2
	v_bfe_u32 v2, v16, 20, 1
	v_add_co_u32_e64 v2, s[22:23], v16, v2
	v_add_co_u32_e64 v2, s[22:23], -1, v2
; %bb.2858:                             ;   in Loop: Header=BB4_2249 Depth=2
	s_or_b64 exec, exec, s[36:37]
	v_add_u32_e32 v3, 0xffffff81, v18
	v_cndmask_b32_e32 v3, v3, v49, vcc
	v_lshrrev_b32_e32 v17, 23, v16
	v_add3_u32 v18, v20, v3, v17
	v_add_u32_e32 v3, 6, v18
	v_and_b32_e32 v2, 0xfffff, v2
	v_add_u32_e32 v52, v2, v16
	v_cmp_ne_u32_e32 vcc, 0, v3
                                        ; implicit-def: $vgpr16_vgpr17
                                        ; implicit-def: $vgpr2
	s_and_saveexec_b64 s[22:23], vcc
	s_xor_b64 s[22:23], exec, s[22:23]
; %bb.2859:                             ;   in Loop: Header=BB4_2249 Depth=2
	v_cmp_lt_u64_e32 vcc, s[76:77], v[52:53]
	v_add_u32_e32 v2, 7, v18
	v_cndmask_b32_e32 v2, v3, v2, vcc
	v_cndmask_b32_e64 v3, 0, 1, vcc
	v_lshrrev_b64 v[16:17], v3, v[52:53]
; %bb.2860:                             ;   in Loop: Header=BB4_2249 Depth=2
	s_andn2_saveexec_b64 s[22:23], s[22:23]
; %bb.2861:                             ;   in Loop: Header=BB4_2249 Depth=2
	v_mov_b32_e32 v16, v52
	v_bfe_u32 v2, v52, 23, 1
	v_mov_b32_e32 v17, v53
; %bb.2862:                             ;   in Loop: Header=BB4_2249 Depth=2
	s_or_b64 exec, exec, s[22:23]
	v_lshrrev_b64 v[16:17], 20, v[16:17]
	v_cmp_gt_i32_e32 vcc, 16, v2
	v_cndmask_b32_e32 v17, 0, v17, vcc
	v_cndmask_b32_e32 v16, 7, v16, vcc
	v_cmp_ne_u64_e32 vcc, 0, v[16:17]
	v_cmp_ne_u32_e64 s[22:23], 0, v2
	s_or_b64 s[22:23], s[22:23], vcc
                                        ; implicit-def: $vgpr18
	s_and_saveexec_b64 vcc, s[22:23]
	s_xor_b64 s[22:23], exec, vcc
; %bb.2863:                             ;   in Loop: Header=BB4_2249 Depth=2
	v_min_i32_e32 v2, 15, v2
	v_lshl_or_b32 v2, v2, 3, v19
	v_and_or_b32 v18, v16, 7, v2
                                        ; implicit-def: $vgpr19
; %bb.2864:                             ;   in Loop: Header=BB4_2249 Depth=2
	s_andn2_saveexec_b64 s[22:23], s[22:23]
; %bb.2865:                             ;   in Loop: Header=BB4_2249 Depth=2
	v_mov_b32_e32 v18, v19
; %bb.2866:                             ;   in Loop: Header=BB4_2249 Depth=2
	s_or_b64 exec, exec, s[22:23]
.LBB4_2867:                             ;   in Loop: Header=BB4_2249 Depth=2
	s_or_b64 exec, exec, s[34:35]
                                        ; implicit-def: $vgpr19
.LBB4_2868:                             ;   in Loop: Header=BB4_2249 Depth=2
	s_andn2_saveexec_b64 s[22:23], s[30:31]
; %bb.2869:                             ;   in Loop: Header=BB4_2249 Depth=2
	v_or_b32_e32 v18, 0x7e, v19
; %bb.2870:                             ;   in Loop: Header=BB4_2249 Depth=2
	s_or_b64 exec, exec, s[22:23]
                                        ; implicit-def: $vgpr2
.LBB4_2871:                             ;   in Loop: Header=BB4_2249 Depth=2
	s_andn2_saveexec_b64 s[22:23], s[94:95]
; %bb.2872:                             ;   in Loop: Header=BB4_2249 Depth=2
	v_or_b32_sdwa v18, v2, s54 dst_sel:DWORD dst_unused:UNUSED_PAD src0_sel:BYTE_3 src1_sel:DWORD
; %bb.2873:                             ;   in Loop: Header=BB4_2249 Depth=2
	s_or_b64 exec, exec, s[22:23]
	v_and_b32_e32 v16, 0xff, v31
	v_cmp_ne_u16_e64 s[22:23], 0, v16
	s_and_b64 vcc, exec, s[20:21]
	s_mov_b64 s[94:95], -1
                                        ; implicit-def: $vgpr2
	s_cbranch_vccnz .LBB4_2887
; %bb.2874:                             ;   in Loop: Header=BB4_2249 Depth=2
	v_mov_b32_e32 v3, 0
	v_mov_b32_e32 v2, 0
	s_and_saveexec_b64 s[94:95], s[22:23]
	s_cbranch_execz .LBB4_2880
; %bb.2875:                             ;   in Loop: Header=BB4_2249 Depth=2
	v_cmp_ne_u16_e32 vcc, s53, v16
	v_bfrev_b32_e32 v2, 1
	s_and_saveexec_b64 s[30:31], vcc
	s_cbranch_execz .LBB4_2879
; %bb.2876:                             ;   in Loop: Header=BB4_2249 Depth=2
	v_and_b32_e32 v17, 0x7f, v31
	v_cmp_ne_u32_e32 vcc, s54, v17
	v_mov_b32_e32 v2, 0x7f800001
	s_and_saveexec_b64 s[34:35], vcc
	s_cbranch_execz .LBB4_2878
; %bb.2877:                             ;   in Loop: Header=BB4_2249 Depth=2
	v_and_b32_e32 v2, 7, v16
	v_lshrrev_b32_e32 v35, 3, v17
	v_cmp_gt_u32_e32 vcc, 8, v17
	v_ffbh_u32_e32 v17, v2
	v_min_u32_e32 v17, 32, v17
	v_subrev_u32_e32 v19, 28, v17
	v_lshlrev_b64 v[19:20], v19, v[16:17]
	v_sub_u32_e32 v17, 29, v17
	v_and_b32_e32 v19, 7, v19
	v_cndmask_b32_e32 v17, v35, v17, vcc
	v_cndmask_b32_e32 v2, v2, v19, vcc
	v_lshlrev_b32_e32 v19, 24, v31
	v_lshlrev_b32_e32 v2, 20, v2
	v_and_b32_e32 v19, 0x80000000, v19
	v_lshl_add_u32 v17, v17, 23, v43
	v_or3_b32 v2, v19, v17, v2
.LBB4_2878:                             ;   in Loop: Header=BB4_2249 Depth=2
	s_or_b64 exec, exec, s[34:35]
.LBB4_2879:                             ;   in Loop: Header=BB4_2249 Depth=2
	s_or_b64 exec, exec, s[30:31]
.LBB4_2880:                             ;   in Loop: Header=BB4_2249 Depth=2
	s_or_b64 exec, exec, s[94:95]
	v_and_b32_e32 v17, 0xff, v30
	v_cmp_ne_u16_e32 vcc, 0, v17
	s_and_saveexec_b64 s[94:95], vcc
	s_cbranch_execz .LBB4_2886
; %bb.2881:                             ;   in Loop: Header=BB4_2249 Depth=2
	v_cmp_ne_u16_e32 vcc, s53, v17
	v_bfrev_b32_e32 v3, 1
	s_and_saveexec_b64 s[30:31], vcc
	s_cbranch_execz .LBB4_2885
; %bb.2882:                             ;   in Loop: Header=BB4_2249 Depth=2
	v_and_b32_e32 v19, 0x7f, v30
	v_cmp_ne_u32_e32 vcc, s54, v19
	v_mov_b32_e32 v3, 0x7f800001
	s_and_saveexec_b64 s[34:35], vcc
	s_cbranch_execz .LBB4_2884
; %bb.2883:                             ;   in Loop: Header=BB4_2249 Depth=2
	v_and_b32_e32 v3, 7, v17
	v_lshrrev_b32_e32 v35, 3, v19
	v_cmp_gt_u32_e32 vcc, 8, v19
	v_ffbh_u32_e32 v19, v3
	v_min_u32_e32 v36, 32, v19
	v_subrev_u32_e32 v19, 28, v36
	v_lshlrev_b64 v[19:20], v19, v[17:18]
	v_sub_u32_e32 v17, 29, v36
	v_and_b32_e32 v19, 7, v19
	v_cndmask_b32_e32 v17, v35, v17, vcc
	v_cndmask_b32_e32 v3, v3, v19, vcc
	v_lshlrev_b32_e32 v19, 24, v30
	v_lshlrev_b32_e32 v3, 20, v3
	v_and_b32_e32 v19, 0x80000000, v19
	v_lshl_add_u32 v17, v17, 23, v43
	v_or3_b32 v3, v19, v17, v3
.LBB4_2884:                             ;   in Loop: Header=BB4_2249 Depth=2
	s_or_b64 exec, exec, s[34:35]
.LBB4_2885:                             ;   in Loop: Header=BB4_2249 Depth=2
	s_or_b64 exec, exec, s[30:31]
.LBB4_2886:                             ;   in Loop: Header=BB4_2249 Depth=2
	s_or_b64 exec, exec, s[94:95]
	v_max_f32_e32 v3, v3, v3
	v_max_f32_e32 v2, v2, v2
	;; [unrolled: 1-line block ×3, first 2 shown]
	s_mov_b64 s[94:95], 0
.LBB4_2887:                             ;   in Loop: Header=BB4_2249 Depth=2
	s_and_b64 vcc, exec, s[94:95]
	s_cbranch_vccz .LBB4_2901
; %bb.2888:                             ;   in Loop: Header=BB4_2249 Depth=2
	v_mov_b32_e32 v3, 0
	v_mov_b32_e32 v2, 0
	s_and_saveexec_b64 s[94:95], s[22:23]
	s_cbranch_execz .LBB4_2894
; %bb.2889:                             ;   in Loop: Header=BB4_2249 Depth=2
	v_cmp_ne_u16_e32 vcc, s53, v16
	v_bfrev_b32_e32 v2, 1
	s_and_saveexec_b64 s[22:23], vcc
	s_cbranch_execz .LBB4_2893
; %bb.2890:                             ;   in Loop: Header=BB4_2249 Depth=2
	v_and_b32_e32 v17, 0x7f, v31
	v_cmp_ne_u32_e32 vcc, s54, v17
	v_mov_b32_e32 v2, 0x7f800001
	s_and_saveexec_b64 s[30:31], vcc
	s_cbranch_execz .LBB4_2892
; %bb.2891:                             ;   in Loop: Header=BB4_2249 Depth=2
	v_and_b32_e32 v2, 7, v16
	v_lshrrev_b32_e32 v19, 3, v17
	v_cmp_gt_u32_e32 vcc, 8, v17
	v_ffbh_u32_e32 v17, v2
	v_min_u32_e32 v20, 32, v17
	v_subrev_u32_e32 v17, 28, v20
	v_lshlrev_b64 v[16:17], v17, v[16:17]
	v_sub_u32_e32 v17, 29, v20
	v_and_b32_e32 v16, 7, v16
	v_cndmask_b32_e32 v17, v19, v17, vcc
	v_cndmask_b32_e32 v2, v2, v16, vcc
	v_lshlrev_b32_e32 v16, 24, v31
	v_lshlrev_b32_e32 v2, 20, v2
	v_and_b32_e32 v16, 0x80000000, v16
	v_lshl_add_u32 v17, v17, 23, v43
	v_or3_b32 v2, v16, v17, v2
.LBB4_2892:                             ;   in Loop: Header=BB4_2249 Depth=2
	s_or_b64 exec, exec, s[30:31]
.LBB4_2893:                             ;   in Loop: Header=BB4_2249 Depth=2
	s_or_b64 exec, exec, s[22:23]
.LBB4_2894:                             ;   in Loop: Header=BB4_2249 Depth=2
	s_or_b64 exec, exec, s[94:95]
	v_and_b32_e32 v16, 0xff, v30
	v_cmp_ne_u16_e32 vcc, 0, v16
	s_and_saveexec_b64 s[22:23], vcc
	s_cbranch_execz .LBB4_2900
; %bb.2895:                             ;   in Loop: Header=BB4_2249 Depth=2
	v_cmp_ne_u16_e32 vcc, s53, v16
	v_bfrev_b32_e32 v3, 1
	s_and_saveexec_b64 s[94:95], vcc
	s_cbranch_execz .LBB4_2899
; %bb.2896:                             ;   in Loop: Header=BB4_2249 Depth=2
	v_and_b32_e32 v17, 0x7f, v30
	v_cmp_ne_u32_e32 vcc, s54, v17
	v_mov_b32_e32 v3, 0x7f800001
	s_and_saveexec_b64 s[30:31], vcc
	s_cbranch_execz .LBB4_2898
; %bb.2897:                             ;   in Loop: Header=BB4_2249 Depth=2
	v_and_b32_e32 v3, 7, v16
	v_lshrrev_b32_e32 v19, 3, v17
	v_cmp_gt_u32_e32 vcc, 8, v17
	v_ffbh_u32_e32 v17, v3
	v_min_u32_e32 v20, 32, v17
	v_subrev_u32_e32 v17, 28, v20
	v_lshlrev_b64 v[16:17], v17, v[16:17]
	v_sub_u32_e32 v17, 29, v20
	v_and_b32_e32 v16, 7, v16
	v_cndmask_b32_e32 v17, v19, v17, vcc
	v_cndmask_b32_e32 v3, v3, v16, vcc
	v_lshlrev_b32_e32 v16, 24, v30
	v_lshlrev_b32_e32 v3, 20, v3
	v_and_b32_e32 v16, 0x80000000, v16
	v_lshl_add_u32 v17, v17, 23, v43
	v_or3_b32 v3, v16, v17, v3
.LBB4_2898:                             ;   in Loop: Header=BB4_2249 Depth=2
	s_or_b64 exec, exec, s[30:31]
.LBB4_2899:                             ;   in Loop: Header=BB4_2249 Depth=2
	s_or_b64 exec, exec, s[94:95]
.LBB4_2900:                             ;   in Loop: Header=BB4_2249 Depth=2
	s_or_b64 exec, exec, s[22:23]
	v_max_f32_e32 v3, v3, v3
	v_max_f32_e32 v2, v2, v2
	v_min_f32_e32 v2, v2, v3
.LBB4_2901:                             ;   in Loop: Header=BB4_2249 Depth=2
	v_and_b32_e32 v52, 0x7f800000, v2
	v_cmp_ne_u64_e32 vcc, s[72:73], v[52:53]
                                        ; implicit-def: $vgpr20
	s_and_saveexec_b64 s[22:23], vcc
	s_xor_b64 s[94:95], exec, s[22:23]
	s_cbranch_execz .LBB4_2919
; %bb.2902:                             ;   in Loop: Header=BB4_2249 Depth=2
	v_and_b32_e32 v52, 0x7fffffff, v2
	v_cmp_gt_u64_e32 vcc, s[74:75], v[52:53]
	v_and_b32_sdwa v19, v2, s53 dst_sel:DWORD dst_unused:UNUSED_PAD src0_sel:BYTE_3 src1_sel:DWORD
                                        ; implicit-def: $vgpr20
	s_and_saveexec_b64 s[22:23], vcc
	s_xor_b64 s[30:31], exec, s[22:23]
	s_cbranch_execz .LBB4_2916
; %bb.2903:                             ;   in Loop: Header=BB4_2249 Depth=2
	v_cmp_ne_u32_e32 vcc, 0, v2
	v_mov_b32_e32 v20, 0
	s_and_saveexec_b64 s[34:35], vcc
	s_cbranch_execz .LBB4_2915
; %bb.2904:                             ;   in Loop: Header=BB4_2249 Depth=2
	v_bfe_u32 v20, v2, 23, 8
	v_and_b32_e32 v3, 0x7fffff, v2
	v_cmp_gt_u32_e64 s[22:23], s64, v20
	v_sub_u32_e32 v2, 0x79, v20
	v_cmp_eq_u32_e32 vcc, 0, v20
	v_cndmask_b32_e64 v2, 0, v2, s[22:23]
	v_mov_b32_e32 v17, 0x78
	v_cndmask_b32_e32 v30, v2, v17, vcc
	v_or_b32_e32 v16, 0x800000, v3
	v_add_u32_e32 v2, 20, v30
	v_cndmask_b32_e32 v52, v16, v3, vcc
	v_lshlrev_b64 v[2:3], v2, -1
	v_add_u32_e32 v16, 19, v30
	v_lshlrev_b64 v[16:17], v16, 1
	v_bfi_b32 v3, v3, 0, 0
	v_bfi_b32 v2, v2, 0, v52
	v_cmp_eq_u64_e64 s[22:23], v[2:3], v[16:17]
	v_lshrrev_b64 v[16:17], v30, v[52:53]
	v_mov_b32_e32 v2, v16
	v_mov_b32_e32 v3, v17
	s_and_saveexec_b64 s[36:37], s[22:23]
; %bb.2905:                             ;   in Loop: Header=BB4_2249 Depth=2
	v_bfe_u32 v2, v16, 20, 1
	v_add_co_u32_e64 v2, s[22:23], v16, v2
	v_add_co_u32_e64 v2, s[22:23], -1, v2
; %bb.2906:                             ;   in Loop: Header=BB4_2249 Depth=2
	s_or_b64 exec, exec, s[36:37]
	v_add_u32_e32 v3, 0xffffff81, v20
	v_cndmask_b32_e32 v3, v3, v49, vcc
	v_lshrrev_b32_e32 v17, 23, v16
	v_add3_u32 v20, v30, v3, v17
	v_add_u32_e32 v3, 6, v20
	v_and_b32_e32 v2, 0xfffff, v2
	v_add_u32_e32 v52, v2, v16
	v_cmp_ne_u32_e32 vcc, 0, v3
                                        ; implicit-def: $vgpr16_vgpr17
                                        ; implicit-def: $vgpr2
	s_and_saveexec_b64 s[22:23], vcc
	s_xor_b64 s[22:23], exec, s[22:23]
; %bb.2907:                             ;   in Loop: Header=BB4_2249 Depth=2
	v_cmp_lt_u64_e32 vcc, s[76:77], v[52:53]
	v_add_u32_e32 v2, 7, v20
	v_cndmask_b32_e32 v2, v3, v2, vcc
	v_cndmask_b32_e64 v3, 0, 1, vcc
	v_lshrrev_b64 v[16:17], v3, v[52:53]
; %bb.2908:                             ;   in Loop: Header=BB4_2249 Depth=2
	s_andn2_saveexec_b64 s[22:23], s[22:23]
; %bb.2909:                             ;   in Loop: Header=BB4_2249 Depth=2
	v_mov_b32_e32 v16, v52
	v_bfe_u32 v2, v52, 23, 1
	v_mov_b32_e32 v17, v53
; %bb.2910:                             ;   in Loop: Header=BB4_2249 Depth=2
	s_or_b64 exec, exec, s[22:23]
	v_lshrrev_b64 v[16:17], 20, v[16:17]
	v_cmp_gt_i32_e32 vcc, 16, v2
	v_cndmask_b32_e32 v17, 0, v17, vcc
	v_cndmask_b32_e32 v16, 7, v16, vcc
	v_cmp_ne_u64_e32 vcc, 0, v[16:17]
	v_cmp_ne_u32_e64 s[22:23], 0, v2
	s_or_b64 s[22:23], s[22:23], vcc
                                        ; implicit-def: $vgpr20
	s_and_saveexec_b64 vcc, s[22:23]
	s_xor_b64 s[22:23], exec, vcc
; %bb.2911:                             ;   in Loop: Header=BB4_2249 Depth=2
	v_min_i32_e32 v2, 15, v2
	v_lshl_or_b32 v2, v2, 3, v19
	v_and_or_b32 v20, v16, 7, v2
                                        ; implicit-def: $vgpr19
; %bb.2912:                             ;   in Loop: Header=BB4_2249 Depth=2
	s_andn2_saveexec_b64 s[22:23], s[22:23]
; %bb.2913:                             ;   in Loop: Header=BB4_2249 Depth=2
	v_mov_b32_e32 v20, v19
; %bb.2914:                             ;   in Loop: Header=BB4_2249 Depth=2
	s_or_b64 exec, exec, s[22:23]
.LBB4_2915:                             ;   in Loop: Header=BB4_2249 Depth=2
	s_or_b64 exec, exec, s[34:35]
                                        ; implicit-def: $vgpr19
.LBB4_2916:                             ;   in Loop: Header=BB4_2249 Depth=2
	s_andn2_saveexec_b64 s[22:23], s[30:31]
; %bb.2917:                             ;   in Loop: Header=BB4_2249 Depth=2
	v_or_b32_e32 v20, 0x7e, v19
; %bb.2918:                             ;   in Loop: Header=BB4_2249 Depth=2
	s_or_b64 exec, exec, s[22:23]
                                        ; implicit-def: $vgpr2
.LBB4_2919:                             ;   in Loop: Header=BB4_2249 Depth=2
	s_andn2_saveexec_b64 s[22:23], s[94:95]
; %bb.2920:                             ;   in Loop: Header=BB4_2249 Depth=2
	v_or_b32_sdwa v20, v2, s54 dst_sel:DWORD dst_unused:UNUSED_PAD src0_sel:BYTE_3 src1_sel:DWORD
; %bb.2921:                             ;   in Loop: Header=BB4_2249 Depth=2
	s_or_b64 exec, exec, s[22:23]
	v_and_b32_e32 v16, 0xff, v27
	v_cmp_ne_u16_e64 s[22:23], 0, v16
	s_and_b64 vcc, exec, s[20:21]
	s_mov_b64 s[94:95], -1
                                        ; implicit-def: $vgpr2
	s_cbranch_vccnz .LBB4_2935
; %bb.2922:                             ;   in Loop: Header=BB4_2249 Depth=2
	v_mov_b32_e32 v3, 0
	v_mov_b32_e32 v2, 0
	s_and_saveexec_b64 s[94:95], s[22:23]
	s_cbranch_execz .LBB4_2928
; %bb.2923:                             ;   in Loop: Header=BB4_2249 Depth=2
	v_cmp_ne_u16_e32 vcc, s53, v16
	v_bfrev_b32_e32 v2, 1
	s_and_saveexec_b64 s[30:31], vcc
	s_cbranch_execz .LBB4_2927
; %bb.2924:                             ;   in Loop: Header=BB4_2249 Depth=2
	v_and_b32_e32 v17, 0x7f, v27
	v_cmp_ne_u32_e32 vcc, s54, v17
	v_mov_b32_e32 v2, 0x7f800001
	s_and_saveexec_b64 s[34:35], vcc
	s_cbranch_execz .LBB4_2926
; %bb.2925:                             ;   in Loop: Header=BB4_2249 Depth=2
	v_and_b32_e32 v2, 7, v16
	v_lshrrev_b32_e32 v19, 3, v17
	v_cmp_gt_u32_e32 vcc, 8, v17
	v_ffbh_u32_e32 v17, v2
	v_min_u32_e32 v17, 32, v17
	v_subrev_u32_e32 v30, 28, v17
	v_lshlrev_b64 v[30:31], v30, v[16:17]
	v_sub_u32_e32 v17, 29, v17
	v_and_b32_e32 v30, 7, v30
	v_cndmask_b32_e32 v17, v19, v17, vcc
	v_cndmask_b32_e32 v2, v2, v30, vcc
	v_lshlrev_b32_e32 v19, 24, v27
	v_lshlrev_b32_e32 v2, 20, v2
	v_and_b32_e32 v19, 0x80000000, v19
	v_lshl_add_u32 v17, v17, 23, v43
	v_or3_b32 v2, v19, v17, v2
.LBB4_2926:                             ;   in Loop: Header=BB4_2249 Depth=2
	s_or_b64 exec, exec, s[34:35]
.LBB4_2927:                             ;   in Loop: Header=BB4_2249 Depth=2
	s_or_b64 exec, exec, s[30:31]
.LBB4_2928:                             ;   in Loop: Header=BB4_2249 Depth=2
	s_or_b64 exec, exec, s[94:95]
	v_and_b32_e32 v17, 0xff, v26
	v_cmp_ne_u16_e32 vcc, 0, v17
	s_and_saveexec_b64 s[94:95], vcc
	s_cbranch_execz .LBB4_2934
; %bb.2929:                             ;   in Loop: Header=BB4_2249 Depth=2
	v_cmp_ne_u16_e32 vcc, s53, v17
	v_bfrev_b32_e32 v3, 1
	s_and_saveexec_b64 s[30:31], vcc
	s_cbranch_execz .LBB4_2933
; %bb.2930:                             ;   in Loop: Header=BB4_2249 Depth=2
	v_and_b32_e32 v19, 0x7f, v26
	v_cmp_ne_u32_e32 vcc, s54, v19
	v_mov_b32_e32 v3, 0x7f800001
	s_and_saveexec_b64 s[34:35], vcc
	s_cbranch_execz .LBB4_2932
; %bb.2931:                             ;   in Loop: Header=BB4_2249 Depth=2
	v_and_b32_e32 v3, 7, v17
	v_lshrrev_b32_e32 v35, 3, v19
	v_cmp_gt_u32_e32 vcc, 8, v19
	v_ffbh_u32_e32 v19, v3
	v_min_u32_e32 v19, 32, v19
	v_subrev_u32_e32 v30, 28, v19
	v_lshlrev_b64 v[30:31], v30, v[17:18]
	v_sub_u32_e32 v17, 29, v19
	v_and_b32_e32 v19, 7, v30
	v_cndmask_b32_e32 v17, v35, v17, vcc
	v_cndmask_b32_e32 v3, v3, v19, vcc
	v_lshlrev_b32_e32 v19, 24, v26
	v_lshlrev_b32_e32 v3, 20, v3
	v_and_b32_e32 v19, 0x80000000, v19
	v_lshl_add_u32 v17, v17, 23, v43
	v_or3_b32 v3, v19, v17, v3
.LBB4_2932:                             ;   in Loop: Header=BB4_2249 Depth=2
	s_or_b64 exec, exec, s[34:35]
.LBB4_2933:                             ;   in Loop: Header=BB4_2249 Depth=2
	s_or_b64 exec, exec, s[30:31]
.LBB4_2934:                             ;   in Loop: Header=BB4_2249 Depth=2
	s_or_b64 exec, exec, s[94:95]
	v_max_f32_e32 v3, v3, v3
	v_max_f32_e32 v2, v2, v2
	;; [unrolled: 1-line block ×3, first 2 shown]
	s_mov_b64 s[94:95], 0
.LBB4_2935:                             ;   in Loop: Header=BB4_2249 Depth=2
	s_and_b64 vcc, exec, s[94:95]
	s_cbranch_vccz .LBB4_2949
; %bb.2936:                             ;   in Loop: Header=BB4_2249 Depth=2
	v_mov_b32_e32 v3, 0
	v_mov_b32_e32 v2, 0
	s_and_saveexec_b64 s[94:95], s[22:23]
	s_cbranch_execz .LBB4_2942
; %bb.2937:                             ;   in Loop: Header=BB4_2249 Depth=2
	v_cmp_ne_u16_e32 vcc, s53, v16
	v_bfrev_b32_e32 v2, 1
	s_and_saveexec_b64 s[22:23], vcc
	s_cbranch_execz .LBB4_2941
; %bb.2938:                             ;   in Loop: Header=BB4_2249 Depth=2
	v_and_b32_e32 v17, 0x7f, v27
	v_cmp_ne_u32_e32 vcc, s54, v17
	v_mov_b32_e32 v2, 0x7f800001
	s_and_saveexec_b64 s[30:31], vcc
	s_cbranch_execz .LBB4_2940
; %bb.2939:                             ;   in Loop: Header=BB4_2249 Depth=2
	v_and_b32_e32 v2, 7, v16
	v_lshrrev_b32_e32 v19, 3, v17
	v_cmp_gt_u32_e32 vcc, 8, v17
	v_ffbh_u32_e32 v17, v2
	v_min_u32_e32 v30, 32, v17
	v_subrev_u32_e32 v17, 28, v30
	v_lshlrev_b64 v[16:17], v17, v[16:17]
	v_sub_u32_e32 v17, 29, v30
	v_and_b32_e32 v16, 7, v16
	v_cndmask_b32_e32 v17, v19, v17, vcc
	v_cndmask_b32_e32 v2, v2, v16, vcc
	v_lshlrev_b32_e32 v16, 24, v27
	v_lshlrev_b32_e32 v2, 20, v2
	v_and_b32_e32 v16, 0x80000000, v16
	v_lshl_add_u32 v17, v17, 23, v43
	v_or3_b32 v2, v16, v17, v2
.LBB4_2940:                             ;   in Loop: Header=BB4_2249 Depth=2
	s_or_b64 exec, exec, s[30:31]
.LBB4_2941:                             ;   in Loop: Header=BB4_2249 Depth=2
	s_or_b64 exec, exec, s[22:23]
.LBB4_2942:                             ;   in Loop: Header=BB4_2249 Depth=2
	s_or_b64 exec, exec, s[94:95]
	v_and_b32_e32 v16, 0xff, v26
	v_cmp_ne_u16_e32 vcc, 0, v16
	s_and_saveexec_b64 s[22:23], vcc
	s_cbranch_execz .LBB4_2948
; %bb.2943:                             ;   in Loop: Header=BB4_2249 Depth=2
	v_cmp_ne_u16_e32 vcc, s53, v16
	v_bfrev_b32_e32 v3, 1
	s_and_saveexec_b64 s[94:95], vcc
	s_cbranch_execz .LBB4_2947
; %bb.2944:                             ;   in Loop: Header=BB4_2249 Depth=2
	v_and_b32_e32 v17, 0x7f, v26
	v_cmp_ne_u32_e32 vcc, s54, v17
	v_mov_b32_e32 v3, 0x7f800001
	s_and_saveexec_b64 s[30:31], vcc
	s_cbranch_execz .LBB4_2946
; %bb.2945:                             ;   in Loop: Header=BB4_2249 Depth=2
	v_and_b32_e32 v3, 7, v16
	v_lshrrev_b32_e32 v19, 3, v17
	v_cmp_gt_u32_e32 vcc, 8, v17
	v_ffbh_u32_e32 v17, v3
	v_min_u32_e32 v27, 32, v17
	v_subrev_u32_e32 v17, 28, v27
	v_lshlrev_b64 v[16:17], v17, v[16:17]
	v_sub_u32_e32 v17, 29, v27
	v_and_b32_e32 v16, 7, v16
	v_cndmask_b32_e32 v17, v19, v17, vcc
	v_cndmask_b32_e32 v3, v3, v16, vcc
	v_lshlrev_b32_e32 v16, 24, v26
	v_lshlrev_b32_e32 v3, 20, v3
	v_and_b32_e32 v16, 0x80000000, v16
	v_lshl_add_u32 v17, v17, 23, v43
	v_or3_b32 v3, v16, v17, v3
.LBB4_2946:                             ;   in Loop: Header=BB4_2249 Depth=2
	s_or_b64 exec, exec, s[30:31]
.LBB4_2947:                             ;   in Loop: Header=BB4_2249 Depth=2
	s_or_b64 exec, exec, s[94:95]
.LBB4_2948:                             ;   in Loop: Header=BB4_2249 Depth=2
	s_or_b64 exec, exec, s[22:23]
	v_max_f32_e32 v3, v3, v3
	v_max_f32_e32 v2, v2, v2
	v_min_f32_e32 v2, v2, v3
.LBB4_2949:                             ;   in Loop: Header=BB4_2249 Depth=2
	v_and_b32_e32 v52, 0x7f800000, v2
	v_cmp_ne_u64_e32 vcc, s[72:73], v[52:53]
                                        ; implicit-def: $vgpr19
	s_and_saveexec_b64 s[22:23], vcc
	s_xor_b64 s[94:95], exec, s[22:23]
	s_cbranch_execz .LBB4_2967
; %bb.2950:                             ;   in Loop: Header=BB4_2249 Depth=2
	v_and_b32_e32 v52, 0x7fffffff, v2
	v_cmp_gt_u64_e32 vcc, s[74:75], v[52:53]
	v_and_b32_sdwa v26, v2, s53 dst_sel:DWORD dst_unused:UNUSED_PAD src0_sel:BYTE_3 src1_sel:DWORD
                                        ; implicit-def: $vgpr19
	s_and_saveexec_b64 s[22:23], vcc
	s_xor_b64 s[30:31], exec, s[22:23]
	s_cbranch_execz .LBB4_2964
; %bb.2951:                             ;   in Loop: Header=BB4_2249 Depth=2
	v_cmp_ne_u32_e32 vcc, 0, v2
	v_mov_b32_e32 v19, 0
	s_and_saveexec_b64 s[34:35], vcc
	s_cbranch_execz .LBB4_2963
; %bb.2952:                             ;   in Loop: Header=BB4_2249 Depth=2
	v_bfe_u32 v19, v2, 23, 8
	v_and_b32_e32 v3, 0x7fffff, v2
	v_cmp_gt_u32_e64 s[22:23], s64, v19
	v_sub_u32_e32 v2, 0x79, v19
	v_cmp_eq_u32_e32 vcc, 0, v19
	v_cndmask_b32_e64 v2, 0, v2, s[22:23]
	v_mov_b32_e32 v17, 0x78
	v_cndmask_b32_e32 v27, v2, v17, vcc
	v_or_b32_e32 v16, 0x800000, v3
	v_add_u32_e32 v2, 20, v27
	v_cndmask_b32_e32 v52, v16, v3, vcc
	v_lshlrev_b64 v[2:3], v2, -1
	v_add_u32_e32 v16, 19, v27
	v_lshlrev_b64 v[16:17], v16, 1
	v_bfi_b32 v3, v3, 0, 0
	v_bfi_b32 v2, v2, 0, v52
	v_cmp_eq_u64_e64 s[22:23], v[2:3], v[16:17]
	v_lshrrev_b64 v[16:17], v27, v[52:53]
	v_mov_b32_e32 v2, v16
	v_mov_b32_e32 v3, v17
	s_and_saveexec_b64 s[36:37], s[22:23]
; %bb.2953:                             ;   in Loop: Header=BB4_2249 Depth=2
	v_bfe_u32 v2, v16, 20, 1
	v_add_co_u32_e64 v2, s[22:23], v16, v2
	v_add_co_u32_e64 v2, s[22:23], -1, v2
; %bb.2954:                             ;   in Loop: Header=BB4_2249 Depth=2
	s_or_b64 exec, exec, s[36:37]
	v_add_u32_e32 v3, 0xffffff81, v19
	v_cndmask_b32_e32 v3, v3, v49, vcc
	v_lshrrev_b32_e32 v17, 23, v16
	v_add3_u32 v19, v27, v3, v17
	v_add_u32_e32 v3, 6, v19
	v_and_b32_e32 v2, 0xfffff, v2
	v_add_u32_e32 v52, v2, v16
	v_cmp_ne_u32_e32 vcc, 0, v3
                                        ; implicit-def: $vgpr16_vgpr17
                                        ; implicit-def: $vgpr2
	s_and_saveexec_b64 s[22:23], vcc
	s_xor_b64 s[22:23], exec, s[22:23]
; %bb.2955:                             ;   in Loop: Header=BB4_2249 Depth=2
	v_cmp_lt_u64_e32 vcc, s[76:77], v[52:53]
	v_add_u32_e32 v2, 7, v19
	v_cndmask_b32_e32 v2, v3, v2, vcc
	v_cndmask_b32_e64 v3, 0, 1, vcc
	v_lshrrev_b64 v[16:17], v3, v[52:53]
; %bb.2956:                             ;   in Loop: Header=BB4_2249 Depth=2
	s_andn2_saveexec_b64 s[22:23], s[22:23]
; %bb.2957:                             ;   in Loop: Header=BB4_2249 Depth=2
	v_mov_b32_e32 v16, v52
	v_bfe_u32 v2, v52, 23, 1
	v_mov_b32_e32 v17, v53
; %bb.2958:                             ;   in Loop: Header=BB4_2249 Depth=2
	s_or_b64 exec, exec, s[22:23]
	v_lshrrev_b64 v[16:17], 20, v[16:17]
	v_cmp_gt_i32_e32 vcc, 16, v2
	v_cndmask_b32_e32 v17, 0, v17, vcc
	v_cndmask_b32_e32 v16, 7, v16, vcc
	v_cmp_ne_u64_e32 vcc, 0, v[16:17]
	v_cmp_ne_u32_e64 s[22:23], 0, v2
	s_or_b64 s[22:23], s[22:23], vcc
                                        ; implicit-def: $vgpr19
	s_and_saveexec_b64 vcc, s[22:23]
	s_xor_b64 s[22:23], exec, vcc
; %bb.2959:                             ;   in Loop: Header=BB4_2249 Depth=2
	v_min_i32_e32 v2, 15, v2
	v_lshl_or_b32 v2, v2, 3, v26
	v_and_or_b32 v19, v16, 7, v2
                                        ; implicit-def: $vgpr26
; %bb.2960:                             ;   in Loop: Header=BB4_2249 Depth=2
	s_andn2_saveexec_b64 s[22:23], s[22:23]
; %bb.2961:                             ;   in Loop: Header=BB4_2249 Depth=2
	v_mov_b32_e32 v19, v26
; %bb.2962:                             ;   in Loop: Header=BB4_2249 Depth=2
	s_or_b64 exec, exec, s[22:23]
.LBB4_2963:                             ;   in Loop: Header=BB4_2249 Depth=2
	s_or_b64 exec, exec, s[34:35]
                                        ; implicit-def: $vgpr26
.LBB4_2964:                             ;   in Loop: Header=BB4_2249 Depth=2
	s_andn2_saveexec_b64 s[22:23], s[30:31]
; %bb.2965:                             ;   in Loop: Header=BB4_2249 Depth=2
	v_or_b32_e32 v19, 0x7e, v26
; %bb.2966:                             ;   in Loop: Header=BB4_2249 Depth=2
	s_or_b64 exec, exec, s[22:23]
                                        ; implicit-def: $vgpr2
.LBB4_2967:                             ;   in Loop: Header=BB4_2249 Depth=2
	s_andn2_saveexec_b64 s[22:23], s[94:95]
; %bb.2968:                             ;   in Loop: Header=BB4_2249 Depth=2
	v_or_b32_sdwa v19, v2, s54 dst_sel:DWORD dst_unused:UNUSED_PAD src0_sel:BYTE_3 src1_sel:DWORD
; %bb.2969:                             ;   in Loop: Header=BB4_2249 Depth=2
	s_or_b64 exec, exec, s[22:23]
	v_and_b32_e32 v16, 0xff, v24
	v_cmp_ne_u16_e64 s[22:23], 0, v16
	s_and_b64 vcc, exec, s[20:21]
	s_mov_b64 s[20:21], -1
                                        ; implicit-def: $vgpr3
	s_cbranch_vccnz .LBB4_2983
; %bb.2970:                             ;   in Loop: Header=BB4_2249 Depth=2
	v_mov_b32_e32 v3, 0
	v_mov_b32_e32 v2, 0
	s_and_saveexec_b64 s[20:21], s[22:23]
	s_cbranch_execz .LBB4_2976
; %bb.2971:                             ;   in Loop: Header=BB4_2249 Depth=2
	v_cmp_ne_u16_e32 vcc, s53, v16
	v_bfrev_b32_e32 v2, 1
	s_and_saveexec_b64 s[94:95], vcc
	s_cbranch_execz .LBB4_2975
; %bb.2972:                             ;   in Loop: Header=BB4_2249 Depth=2
	v_and_b32_e32 v17, 0x7f, v24
	v_cmp_ne_u32_e32 vcc, s54, v17
	v_mov_b32_e32 v2, 0x7f800001
	s_and_saveexec_b64 s[30:31], vcc
	s_cbranch_execz .LBB4_2974
; %bb.2973:                             ;   in Loop: Header=BB4_2249 Depth=2
	v_and_b32_e32 v2, 7, v16
	v_lshrrev_b32_e32 v30, 3, v17
	v_cmp_gt_u32_e32 vcc, 8, v17
	v_ffbh_u32_e32 v17, v2
	v_min_u32_e32 v17, 32, v17
	v_subrev_u32_e32 v26, 28, v17
	v_lshlrev_b64 v[26:27], v26, v[16:17]
	v_sub_u32_e32 v17, 29, v17
	v_and_b32_e32 v26, 7, v26
	v_cndmask_b32_e32 v17, v30, v17, vcc
	v_cndmask_b32_e32 v2, v2, v26, vcc
	v_lshlrev_b32_e32 v26, 24, v24
	v_lshlrev_b32_e32 v2, 20, v2
	v_and_b32_e32 v26, 0x80000000, v26
	v_lshl_add_u32 v17, v17, 23, v43
	v_or3_b32 v2, v26, v17, v2
.LBB4_2974:                             ;   in Loop: Header=BB4_2249 Depth=2
	s_or_b64 exec, exec, s[30:31]
.LBB4_2975:                             ;   in Loop: Header=BB4_2249 Depth=2
	s_or_b64 exec, exec, s[94:95]
.LBB4_2976:                             ;   in Loop: Header=BB4_2249 Depth=2
	s_or_b64 exec, exec, s[20:21]
	v_and_b32_e32 v17, 0xff, v23
	v_cmp_ne_u16_e32 vcc, 0, v17
	s_and_saveexec_b64 s[20:21], vcc
	s_cbranch_execz .LBB4_2982
; %bb.2977:                             ;   in Loop: Header=BB4_2249 Depth=2
	v_cmp_ne_u16_e32 vcc, s53, v17
	v_bfrev_b32_e32 v3, 1
	s_and_saveexec_b64 s[94:95], vcc
	s_cbranch_execz .LBB4_2981
; %bb.2978:                             ;   in Loop: Header=BB4_2249 Depth=2
	v_and_b32_e32 v26, 0x7f, v23
	v_cmp_ne_u32_e32 vcc, s54, v26
	v_mov_b32_e32 v3, 0x7f800001
	s_and_saveexec_b64 s[30:31], vcc
	s_cbranch_execz .LBB4_2980
; %bb.2979:                             ;   in Loop: Header=BB4_2249 Depth=2
	v_and_b32_e32 v3, 7, v17
	v_lshrrev_b32_e32 v30, 3, v26
	v_cmp_gt_u32_e32 vcc, 8, v26
	v_ffbh_u32_e32 v26, v3
	v_min_u32_e32 v31, 32, v26
	v_subrev_u32_e32 v26, 28, v31
	v_lshlrev_b64 v[26:27], v26, v[17:18]
	v_sub_u32_e32 v17, 29, v31
	v_and_b32_e32 v26, 7, v26
	v_cndmask_b32_e32 v17, v30, v17, vcc
	v_cndmask_b32_e32 v3, v3, v26, vcc
	v_lshlrev_b32_e32 v26, 24, v23
	v_lshlrev_b32_e32 v3, 20, v3
	v_and_b32_e32 v26, 0x80000000, v26
	v_lshl_add_u32 v17, v17, 23, v43
	v_or3_b32 v3, v26, v17, v3
.LBB4_2980:                             ;   in Loop: Header=BB4_2249 Depth=2
	s_or_b64 exec, exec, s[30:31]
.LBB4_2981:                             ;   in Loop: Header=BB4_2249 Depth=2
	s_or_b64 exec, exec, s[94:95]
.LBB4_2982:                             ;   in Loop: Header=BB4_2249 Depth=2
	s_or_b64 exec, exec, s[20:21]
	v_max_f32_e32 v3, v3, v3
	v_max_f32_e32 v2, v2, v2
	;; [unrolled: 1-line block ×3, first 2 shown]
	s_mov_b64 s[20:21], 0
.LBB4_2983:                             ;   in Loop: Header=BB4_2249 Depth=2
	s_and_b64 vcc, exec, s[20:21]
	s_cbranch_vccz .LBB4_2997
; %bb.2984:                             ;   in Loop: Header=BB4_2249 Depth=2
	v_mov_b32_e32 v3, 0
	v_mov_b32_e32 v2, 0
	s_and_saveexec_b64 s[20:21], s[22:23]
	s_cbranch_execz .LBB4_2990
; %bb.2985:                             ;   in Loop: Header=BB4_2249 Depth=2
	v_cmp_ne_u16_e32 vcc, s53, v16
	v_bfrev_b32_e32 v2, 1
	s_and_saveexec_b64 s[22:23], vcc
	s_cbranch_execz .LBB4_2989
; %bb.2986:                             ;   in Loop: Header=BB4_2249 Depth=2
	v_and_b32_e32 v17, 0x7f, v24
	v_cmp_ne_u32_e32 vcc, s54, v17
	v_mov_b32_e32 v2, 0x7f800001
	s_and_saveexec_b64 s[94:95], vcc
	s_cbranch_execz .LBB4_2988
; %bb.2987:                             ;   in Loop: Header=BB4_2249 Depth=2
	v_and_b32_e32 v2, 7, v16
	v_lshrrev_b32_e32 v26, 3, v17
	v_cmp_gt_u32_e32 vcc, 8, v17
	v_ffbh_u32_e32 v17, v2
	v_min_u32_e32 v27, 32, v17
	v_subrev_u32_e32 v17, 28, v27
	v_lshlrev_b64 v[16:17], v17, v[16:17]
	v_sub_u32_e32 v17, 29, v27
	v_and_b32_e32 v16, 7, v16
	v_cndmask_b32_e32 v17, v26, v17, vcc
	v_cndmask_b32_e32 v2, v2, v16, vcc
	v_lshlrev_b32_e32 v16, 24, v24
	v_lshlrev_b32_e32 v2, 20, v2
	v_and_b32_e32 v16, 0x80000000, v16
	v_lshl_add_u32 v17, v17, 23, v43
	v_or3_b32 v2, v16, v17, v2
.LBB4_2988:                             ;   in Loop: Header=BB4_2249 Depth=2
	s_or_b64 exec, exec, s[94:95]
.LBB4_2989:                             ;   in Loop: Header=BB4_2249 Depth=2
	s_or_b64 exec, exec, s[22:23]
.LBB4_2990:                             ;   in Loop: Header=BB4_2249 Depth=2
	s_or_b64 exec, exec, s[20:21]
	v_and_b32_e32 v16, 0xff, v23
	v_cmp_ne_u16_e32 vcc, 0, v16
	s_and_saveexec_b64 s[20:21], vcc
	s_cbranch_execz .LBB4_2996
; %bb.2991:                             ;   in Loop: Header=BB4_2249 Depth=2
	v_cmp_ne_u16_e32 vcc, s53, v16
	v_bfrev_b32_e32 v3, 1
	s_and_saveexec_b64 s[22:23], vcc
	s_cbranch_execz .LBB4_2995
; %bb.2992:                             ;   in Loop: Header=BB4_2249 Depth=2
	v_and_b32_e32 v17, 0x7f, v23
	v_cmp_ne_u32_e32 vcc, s54, v17
	v_mov_b32_e32 v3, 0x7f800001
	s_and_saveexec_b64 s[94:95], vcc
	s_cbranch_execz .LBB4_2994
; %bb.2993:                             ;   in Loop: Header=BB4_2249 Depth=2
	v_and_b32_e32 v3, 7, v16
	v_lshrrev_b32_e32 v24, 3, v17
	v_cmp_gt_u32_e32 vcc, 8, v17
	v_ffbh_u32_e32 v17, v3
	v_min_u32_e32 v26, 32, v17
	v_subrev_u32_e32 v17, 28, v26
	v_lshlrev_b64 v[16:17], v17, v[16:17]
	v_sub_u32_e32 v17, 29, v26
	v_and_b32_e32 v16, 7, v16
	v_cndmask_b32_e32 v17, v24, v17, vcc
	v_cndmask_b32_e32 v3, v3, v16, vcc
	v_lshlrev_b32_e32 v16, 24, v23
	v_lshlrev_b32_e32 v3, 20, v3
	v_and_b32_e32 v16, 0x80000000, v16
	v_lshl_add_u32 v17, v17, 23, v43
	v_or3_b32 v3, v16, v17, v3
.LBB4_2994:                             ;   in Loop: Header=BB4_2249 Depth=2
	s_or_b64 exec, exec, s[94:95]
.LBB4_2995:                             ;   in Loop: Header=BB4_2249 Depth=2
	s_or_b64 exec, exec, s[22:23]
.LBB4_2996:                             ;   in Loop: Header=BB4_2249 Depth=2
	s_or_b64 exec, exec, s[20:21]
	v_max_f32_e32 v3, v3, v3
	v_max_f32_e32 v2, v2, v2
	v_min_f32_e32 v3, v2, v3
.LBB4_2997:                             ;   in Loop: Header=BB4_2249 Depth=2
	v_and_b32_e32 v52, 0x7f800000, v3
	v_cmp_ne_u64_e32 vcc, s[72:73], v[52:53]
                                        ; implicit-def: $vgpr2
	s_and_saveexec_b64 s[20:21], vcc
	s_xor_b64 s[22:23], exec, s[20:21]
	s_cbranch_execz .LBB4_3015
; %bb.2998:                             ;   in Loop: Header=BB4_2249 Depth=2
	v_and_b32_e32 v52, 0x7fffffff, v3
	v_cmp_gt_u64_e32 vcc, s[74:75], v[52:53]
	v_and_b32_sdwa v23, v3, s53 dst_sel:DWORD dst_unused:UNUSED_PAD src0_sel:BYTE_3 src1_sel:DWORD
                                        ; implicit-def: $vgpr2
	s_and_saveexec_b64 s[20:21], vcc
	s_xor_b64 s[94:95], exec, s[20:21]
	s_cbranch_execz .LBB4_3012
; %bb.2999:                             ;   in Loop: Header=BB4_2249 Depth=2
	v_cmp_ne_u32_e32 vcc, 0, v3
	v_mov_b32_e32 v2, 0
	s_and_saveexec_b64 s[30:31], vcc
	s_cbranch_execz .LBB4_3011
; %bb.3000:                             ;   in Loop: Header=BB4_2249 Depth=2
	v_bfe_u32 v24, v3, 23, 8
	v_and_b32_e32 v2, 0x7fffff, v3
	v_cmp_gt_u32_e64 s[20:21], s64, v24
	v_sub_u32_e32 v3, 0x79, v24
	v_cmp_eq_u32_e32 vcc, 0, v24
	v_cndmask_b32_e64 v3, 0, v3, s[20:21]
	v_mov_b32_e32 v17, 0x78
	v_or_b32_e32 v16, 0x800000, v2
	v_cndmask_b32_e32 v26, v3, v17, vcc
	v_cndmask_b32_e32 v52, v16, v2, vcc
	v_add_u32_e32 v2, 20, v26
	v_lshlrev_b64 v[2:3], v2, -1
	v_add_u32_e32 v16, 19, v26
	v_lshlrev_b64 v[16:17], v16, 1
	v_bfi_b32 v3, v3, 0, 0
	v_bfi_b32 v2, v2, 0, v52
	v_cmp_eq_u64_e64 s[20:21], v[2:3], v[16:17]
	v_lshrrev_b64 v[16:17], v26, v[52:53]
	v_mov_b32_e32 v2, v16
	v_mov_b32_e32 v3, v17
	s_and_saveexec_b64 s[34:35], s[20:21]
; %bb.3001:                             ;   in Loop: Header=BB4_2249 Depth=2
	v_bfe_u32 v2, v16, 20, 1
	v_add_co_u32_e64 v2, s[20:21], v16, v2
	v_add_co_u32_e64 v2, s[20:21], -1, v2
; %bb.3002:                             ;   in Loop: Header=BB4_2249 Depth=2
	s_or_b64 exec, exec, s[34:35]
	v_add_u32_e32 v3, 0xffffff81, v24
	v_cndmask_b32_e32 v3, v3, v49, vcc
	v_lshrrev_b32_e32 v17, 23, v16
	v_add3_u32 v26, v26, v3, v17
	v_add_u32_e32 v24, 6, v26
	v_and_b32_e32 v2, 0xfffff, v2
	v_add_u32_e32 v52, v2, v16
	v_cmp_ne_u32_e32 vcc, 0, v24
                                        ; implicit-def: $vgpr16_vgpr17
                                        ; implicit-def: $vgpr3
	s_and_saveexec_b64 s[20:21], vcc
	s_xor_b64 s[20:21], exec, s[20:21]
; %bb.3003:                             ;   in Loop: Header=BB4_2249 Depth=2
	v_cmp_lt_u64_e32 vcc, s[76:77], v[52:53]
	v_add_u32_e32 v2, 7, v26
	v_cndmask_b32_e32 v3, v24, v2, vcc
	v_cndmask_b32_e64 v2, 0, 1, vcc
	v_lshrrev_b64 v[16:17], v2, v[52:53]
; %bb.3004:                             ;   in Loop: Header=BB4_2249 Depth=2
	s_andn2_saveexec_b64 s[20:21], s[20:21]
; %bb.3005:                             ;   in Loop: Header=BB4_2249 Depth=2
	v_mov_b32_e32 v16, v52
	v_bfe_u32 v3, v52, 23, 1
	v_mov_b32_e32 v17, v53
; %bb.3006:                             ;   in Loop: Header=BB4_2249 Depth=2
	s_or_b64 exec, exec, s[20:21]
	v_lshrrev_b64 v[16:17], 20, v[16:17]
	v_cmp_gt_i32_e32 vcc, 16, v3
	v_cndmask_b32_e32 v17, 0, v17, vcc
	v_cndmask_b32_e32 v16, 7, v16, vcc
	v_cmp_ne_u64_e32 vcc, 0, v[16:17]
	v_cmp_ne_u32_e64 s[20:21], 0, v3
	s_or_b64 s[20:21], s[20:21], vcc
                                        ; implicit-def: $vgpr2
	s_and_saveexec_b64 vcc, s[20:21]
	s_xor_b64 s[20:21], exec, vcc
; %bb.3007:                             ;   in Loop: Header=BB4_2249 Depth=2
	v_min_i32_e32 v2, 15, v3
	v_lshl_or_b32 v2, v2, 3, v23
	v_and_or_b32 v2, v16, 7, v2
                                        ; implicit-def: $vgpr23
; %bb.3008:                             ;   in Loop: Header=BB4_2249 Depth=2
	s_andn2_saveexec_b64 s[20:21], s[20:21]
; %bb.3009:                             ;   in Loop: Header=BB4_2249 Depth=2
	v_mov_b32_e32 v2, v23
; %bb.3010:                             ;   in Loop: Header=BB4_2249 Depth=2
	s_or_b64 exec, exec, s[20:21]
.LBB4_3011:                             ;   in Loop: Header=BB4_2249 Depth=2
	s_or_b64 exec, exec, s[30:31]
                                        ; implicit-def: $vgpr23
.LBB4_3012:                             ;   in Loop: Header=BB4_2249 Depth=2
	s_andn2_saveexec_b64 s[20:21], s[94:95]
; %bb.3013:                             ;   in Loop: Header=BB4_2249 Depth=2
	v_or_b32_e32 v2, 0x7e, v23
; %bb.3014:                             ;   in Loop: Header=BB4_2249 Depth=2
	s_or_b64 exec, exec, s[20:21]
                                        ; implicit-def: $vgpr3
.LBB4_3015:                             ;   in Loop: Header=BB4_2249 Depth=2
	s_andn2_saveexec_b64 s[20:21], s[22:23]
	s_cbranch_execz .LBB4_2248
; %bb.3016:                             ;   in Loop: Header=BB4_2249 Depth=2
	v_or_b32_sdwa v2, v3, s54 dst_sel:DWORD dst_unused:UNUSED_PAD src0_sel:BYTE_3 src1_sel:DWORD
	s_branch .LBB4_2248
.LBB4_3017:                             ;   in Loop: Header=BB4_49 Depth=1
	s_or_b64 exec, exec, s[92:93]
	buffer_load_dword v40, off, s[0:3], s33 offset:172 ; 4-byte Folded Reload
	buffer_load_dword v41, off, s[0:3], s33 offset:176 ; 4-byte Folded Reload
	;; [unrolled: 1-line block ×6, first 2 shown]
	v_mov_b32_e32 v58, 1
	v_mov_b32_e32 v23, 0xc8
	;; [unrolled: 1-line block ×3, first 2 shown]
.LBB4_3018:                             ;   in Loop: Header=BB4_49 Depth=1
	s_or_b64 exec, exec, s[24:25]
	v_and_b32_e32 v1, 0xfffffc00, v5
	v_cmp_ne_u32_e32 vcc, v5, v1
	s_and_b64 exec, exec, vcc
	s_cbranch_execz .LBB4_3070
; %bb.3019:                             ;   in Loop: Header=BB4_49 Depth=1
	s_waitcnt vmcnt(0)
	v_lshlrev_b32_e32 v0, 6, v3
	v_sub_u32_e32 v0, v2, v0
	v_lshlrev_b32_e32 v2, 6, v22
	v_sub_u32_e32 v2, v0, v2
	v_and_b32_e32 v0, 0x3ff, v5
	v_sub_u32_e32 v0, v0, v2
	v_cmp_lt_i32_e32 vcc, 0, v0
	s_and_b64 exec, exec, vcc
	s_cbranch_execz .LBB4_3070
; %bb.3020:                             ;   in Loop: Header=BB4_49 Depth=1
	s_trap 2
	ds_read_b128 v[10:13], v0
	v_add3_u32 v3, v1, v4, v2
	ds_read_b64 v[1:2], v0
	v_ashrrev_i32_e32 v15, 31, v3
	s_bitcmp1_b32 s67, 0
	s_waitcnt lgkmcnt(0)
	v_add_co_u32_e32 v10, vcc, v10, v3
	v_addc_co_u32_e32 v11, vcc, v11, v15, vcc
	v_add_co_u32_e32 v12, vcc, v12, v3
	v_addc_co_u32_e32 v13, vcc, v13, v15, vcc
	;; [unrolled: 2-line block ×3, first 2 shown]
	s_mov_b64 s[28:29], 0
	s_cselect_b64 s[92:93], -1, 0
	s_branch .LBB4_3022
.LBB4_3021:                             ;   in Loop: Header=BB4_3022 Depth=2
	s_or_b64 exec, exec, s[20:21]
	v_add_co_u32_e32 v10, vcc, v10, v57
	v_addc_co_u32_e32 v11, vcc, 0, v11, vcc
	v_add_co_u32_e32 v12, vcc, v12, v57
	v_addc_co_u32_e32 v13, vcc, 0, v13, vcc
	v_sub_u32_e32 v0, v0, v57
	v_cmp_gt_i32_e32 vcc, 1, v0
	flat_store_byte v[14:15], v2 glc slc
	s_or_b64 s[28:29], vcc, s[28:29]
	v_add_co_u32_e32 v14, vcc, v14, v57
	v_addc_co_u32_e32 v15, vcc, 0, v15, vcc
	s_andn2_b64 exec, exec, s[28:29]
	s_cbranch_execz .LBB4_3070
.LBB4_3022:                             ;   Parent Loop BB4_49 Depth=1
                                        ; =>  This Inner Loop Header: Depth=2
	flat_load_ubyte v2, v[12:13] glc slc
	flat_load_ubyte v3, v[10:11] glc slc
	s_mov_b64 s[94:95], -1
	s_and_b64 vcc, exec, s[92:93]
                                        ; implicit-def: $vgpr16
	s_waitcnt vmcnt(0) lgkmcnt(0)
	v_cmp_ne_u16_e64 s[22:23], 0, v2
	v_cmp_ne_u16_e64 s[20:21], s53, v2
	v_and_b32_sdwa v1, sext(v2), s55 dst_sel:DWORD dst_unused:UNUSED_PAD src0_sel:BYTE_0 src1_sel:DWORD
	v_cmp_ne_u16_e64 s[24:25], 0, v3
	s_cbranch_vccz .LBB4_3036
; %bb.3023:                             ;   in Loop: Header=BB4_3022 Depth=2
	v_mov_b32_e32 v17, 0
	v_mov_b32_e32 v18, 0
	s_and_saveexec_b64 s[94:95], s[24:25]
	s_cbranch_execz .LBB4_3029
; %bb.3024:                             ;   in Loop: Header=BB4_3022 Depth=2
	v_cmp_ne_u16_e32 vcc, s53, v3
	v_bfrev_b32_e32 v18, 1
	s_and_saveexec_b64 s[30:31], vcc
	s_cbranch_execz .LBB4_3028
; %bb.3025:                             ;   in Loop: Header=BB4_3022 Depth=2
	v_and_b32_e32 v16, 0xffff, v3
	v_and_b32_e32 v19, 0x7f, v16
	v_cmp_ne_u32_e32 vcc, s54, v19
	v_mov_b32_e32 v18, 0x7f800001
	s_and_saveexec_b64 s[34:35], vcc
	s_cbranch_execz .LBB4_3027
; %bb.3026:                             ;   in Loop: Header=BB4_3022 Depth=2
	v_and_b32_e32 v20, 7, v16
	v_ffbh_u32_e32 v18, v20
	v_min_u32_e32 v22, 32, v18
	v_subrev_u32_e32 v18, 28, v22
	v_lshrrev_b32_e32 v21, 3, v19
	v_cmp_gt_u32_e32 vcc, 8, v19
	v_lshlrev_b64 v[18:19], v18, v[16:17]
	v_sub_u32_e32 v16, 29, v22
	v_and_b32_e32 v18, 7, v18
	v_cndmask_b32_e32 v16, v21, v16, vcc
	v_cndmask_b32_e32 v18, v20, v18, vcc
	v_lshlrev_b32_e32 v19, 24, v3
	v_lshlrev_b32_e32 v18, 20, v18
	v_and_b32_e32 v19, 0x80000000, v19
	v_lshl_add_u32 v16, v16, 23, v43
	v_or3_b32 v18, v19, v16, v18
.LBB4_3027:                             ;   in Loop: Header=BB4_3022 Depth=2
	s_or_b64 exec, exec, s[34:35]
.LBB4_3028:                             ;   in Loop: Header=BB4_3022 Depth=2
	s_or_b64 exec, exec, s[30:31]
.LBB4_3029:                             ;   in Loop: Header=BB4_3022 Depth=2
	s_or_b64 exec, exec, s[94:95]
	s_and_saveexec_b64 s[94:95], s[22:23]
	s_cbranch_execz .LBB4_3035
; %bb.3030:                             ;   in Loop: Header=BB4_3022 Depth=2
	v_bfrev_b32_e32 v17, 1
	s_and_saveexec_b64 s[30:31], s[20:21]
	s_cbranch_execz .LBB4_3034
; %bb.3031:                             ;   in Loop: Header=BB4_3022 Depth=2
	v_and_b32_e32 v16, 0xffff, v2
	v_and_b32_e32 v19, 0x7f, v16
	v_cmp_ne_u32_e32 vcc, s54, v19
	v_mov_b32_e32 v17, 0x7f800001
	s_and_saveexec_b64 s[34:35], vcc
	s_cbranch_execz .LBB4_3033
; %bb.3032:                             ;   in Loop: Header=BB4_3022 Depth=2
	v_and_b32_e32 v20, 7, v16
	v_ffbh_u32_e32 v17, v20
	v_lshrrev_b32_e32 v21, 3, v19
	v_cmp_gt_u32_e32 vcc, 8, v19
	v_min_u32_e32 v19, 32, v17
	v_subrev_u32_e32 v17, 28, v19
	v_lshlrev_b64 v[16:17], v17, v[16:17]
	v_sub_u32_e32 v17, 29, v19
	v_and_b32_e32 v16, 7, v16
	v_cndmask_b32_e32 v16, v20, v16, vcc
	v_cndmask_b32_e32 v17, v21, v17, vcc
	v_lshlrev_b32_e32 v16, 20, v16
	v_lshl_or_b32 v16, v17, 23, v16
	v_add_u32_e32 v16, 0x3c000000, v16
	v_or_b32_e32 v17, v16, v1
.LBB4_3033:                             ;   in Loop: Header=BB4_3022 Depth=2
	s_or_b64 exec, exec, s[34:35]
.LBB4_3034:                             ;   in Loop: Header=BB4_3022 Depth=2
	s_or_b64 exec, exec, s[30:31]
.LBB4_3035:                             ;   in Loop: Header=BB4_3022 Depth=2
	s_or_b64 exec, exec, s[94:95]
	v_max_f32_e32 v16, v17, v17
	v_max_f32_e32 v17, v18, v18
	;; [unrolled: 1-line block ×3, first 2 shown]
	s_mov_b64 s[94:95], 0
.LBB4_3036:                             ;   in Loop: Header=BB4_3022 Depth=2
	s_and_b64 vcc, exec, s[94:95]
	s_cbranch_vccz .LBB4_3050
; %bb.3037:                             ;   in Loop: Header=BB4_3022 Depth=2
	v_mov_b32_e32 v17, 0
	v_mov_b32_e32 v18, 0
	s_and_saveexec_b64 s[94:95], s[24:25]
	s_cbranch_execz .LBB4_3043
; %bb.3038:                             ;   in Loop: Header=BB4_3022 Depth=2
	v_cmp_ne_u16_e32 vcc, s53, v3
	v_bfrev_b32_e32 v18, 1
	s_and_saveexec_b64 s[24:25], vcc
	s_cbranch_execz .LBB4_3042
; %bb.3039:                             ;   in Loop: Header=BB4_3022 Depth=2
	v_and_b32_e32 v16, 0xffff, v3
	v_and_b32_e32 v19, 0x7f, v16
	v_cmp_ne_u32_e32 vcc, s54, v19
	v_mov_b32_e32 v18, 0x7f800001
	s_and_saveexec_b64 s[30:31], vcc
	s_cbranch_execz .LBB4_3041
; %bb.3040:                             ;   in Loop: Header=BB4_3022 Depth=2
	v_and_b32_e32 v20, 7, v16
	v_ffbh_u32_e32 v18, v20
	v_min_u32_e32 v22, 32, v18
	v_subrev_u32_e32 v18, 28, v22
	v_lshrrev_b32_e32 v21, 3, v19
	v_cmp_gt_u32_e32 vcc, 8, v19
	v_lshlrev_b64 v[18:19], v18, v[16:17]
	v_sub_u32_e32 v16, 29, v22
	v_and_b32_e32 v18, 7, v18
	v_cndmask_b32_e32 v16, v21, v16, vcc
	v_cndmask_b32_e32 v18, v20, v18, vcc
	v_lshlrev_b32_e32 v3, 24, v3
	v_lshlrev_b32_e32 v18, 20, v18
	v_and_b32_e32 v3, 0x80000000, v3
	v_lshl_add_u32 v16, v16, 23, v43
	v_or3_b32 v18, v3, v16, v18
.LBB4_3041:                             ;   in Loop: Header=BB4_3022 Depth=2
	s_or_b64 exec, exec, s[30:31]
.LBB4_3042:                             ;   in Loop: Header=BB4_3022 Depth=2
	s_or_b64 exec, exec, s[24:25]
.LBB4_3043:                             ;   in Loop: Header=BB4_3022 Depth=2
	s_or_b64 exec, exec, s[94:95]
	s_and_saveexec_b64 s[24:25], s[22:23]
	s_cbranch_execz .LBB4_3049
; %bb.3044:                             ;   in Loop: Header=BB4_3022 Depth=2
	v_bfrev_b32_e32 v17, 1
	s_and_saveexec_b64 s[22:23], s[20:21]
	s_cbranch_execz .LBB4_3048
; %bb.3045:                             ;   in Loop: Header=BB4_3022 Depth=2
	v_and_b32_e32 v16, 0xffff, v2
	v_and_b32_e32 v2, 0x7f, v16
	v_cmp_ne_u32_e32 vcc, s54, v2
	v_mov_b32_e32 v17, 0x7f800001
	s_and_saveexec_b64 s[20:21], vcc
	s_cbranch_execz .LBB4_3047
; %bb.3046:                             ;   in Loop: Header=BB4_3022 Depth=2
	v_and_b32_e32 v17, 7, v16
	v_lshrrev_b32_e32 v19, 3, v2
	v_cmp_gt_u32_e32 vcc, 8, v2
	v_ffbh_u32_e32 v2, v17
	v_min_u32_e32 v20, 32, v2
	v_subrev_u32_e32 v2, 28, v20
	v_lshlrev_b64 v[2:3], v2, v[16:17]
	v_sub_u32_e32 v3, 29, v20
	v_and_b32_e32 v2, 7, v2
	v_cndmask_b32_e32 v2, v17, v2, vcc
	v_cndmask_b32_e32 v3, v19, v3, vcc
	v_lshlrev_b32_e32 v2, 20, v2
	v_lshl_or_b32 v2, v3, 23, v2
	v_add_u32_e32 v2, 0x3c000000, v2
	v_or_b32_e32 v17, v2, v1
.LBB4_3047:                             ;   in Loop: Header=BB4_3022 Depth=2
	s_or_b64 exec, exec, s[20:21]
.LBB4_3048:                             ;   in Loop: Header=BB4_3022 Depth=2
	s_or_b64 exec, exec, s[22:23]
.LBB4_3049:                             ;   in Loop: Header=BB4_3022 Depth=2
	s_or_b64 exec, exec, s[24:25]
	v_max_f32_e32 v1, v17, v17
	v_max_f32_e32 v2, v18, v18
	v_min_f32_e32 v16, v2, v1
.LBB4_3050:                             ;   in Loop: Header=BB4_3022 Depth=2
	v_and_b32_e32 v52, 0x7f800000, v16
	v_cmp_ne_u64_e32 vcc, s[72:73], v[52:53]
                                        ; implicit-def: $vgpr2
	s_and_saveexec_b64 s[20:21], vcc
	s_xor_b64 s[22:23], exec, s[20:21]
	s_cbranch_execz .LBB4_3068
; %bb.3051:                             ;   in Loop: Header=BB4_3022 Depth=2
	v_and_b32_e32 v52, 0x7fffffff, v16
	v_cmp_gt_u64_e32 vcc, s[74:75], v[52:53]
	v_and_b32_sdwa v1, v16, s53 dst_sel:DWORD dst_unused:UNUSED_PAD src0_sel:BYTE_3 src1_sel:DWORD
                                        ; implicit-def: $vgpr2
	s_and_saveexec_b64 s[20:21], vcc
	s_xor_b64 s[24:25], exec, s[20:21]
	s_cbranch_execz .LBB4_3065
; %bb.3052:                             ;   in Loop: Header=BB4_3022 Depth=2
	v_cmp_ne_u32_e32 vcc, 0, v16
	v_mov_b32_e32 v2, 0
	s_and_saveexec_b64 s[94:95], vcc
	s_cbranch_execz .LBB4_3064
; %bb.3053:                             ;   in Loop: Header=BB4_3022 Depth=2
	v_bfe_u32 v18, v16, 23, 8
	v_cmp_gt_u32_e64 s[20:21], s64, v18
	v_sub_u32_e32 v3, 0x79, v18
	v_and_b32_e32 v2, 0x7fffff, v16
	v_cmp_eq_u32_e32 vcc, 0, v18
	v_cndmask_b32_e64 v3, 0, v3, s[20:21]
	v_mov_b32_e32 v17, 0x78
	v_or_b32_e32 v16, 0x800000, v2
	v_cndmask_b32_e32 v19, v3, v17, vcc
	v_cndmask_b32_e32 v52, v16, v2, vcc
	v_add_u32_e32 v2, 20, v19
	v_lshlrev_b64 v[2:3], v2, -1
	v_add_u32_e32 v16, 19, v19
	v_lshlrev_b64 v[16:17], v16, 1
	v_bfi_b32 v3, v3, 0, 0
	v_bfi_b32 v2, v2, 0, v52
	v_cmp_eq_u64_e64 s[20:21], v[2:3], v[16:17]
	v_lshrrev_b64 v[16:17], v19, v[52:53]
	v_mov_b32_e32 v2, v16
	v_mov_b32_e32 v3, v17
	s_and_saveexec_b64 s[30:31], s[20:21]
; %bb.3054:                             ;   in Loop: Header=BB4_3022 Depth=2
	v_bfe_u32 v2, v16, 20, 1
	v_add_co_u32_e64 v2, s[20:21], v16, v2
	v_add_co_u32_e64 v2, s[20:21], -1, v2
; %bb.3055:                             ;   in Loop: Header=BB4_3022 Depth=2
	s_or_b64 exec, exec, s[30:31]
	v_add_u32_e32 v3, 0xffffff81, v18
	v_cndmask_b32_e32 v3, v3, v49, vcc
	v_lshrrev_b32_e32 v17, 23, v16
	v_add3_u32 v19, v19, v3, v17
	v_add_u32_e32 v18, 6, v19
	v_and_b32_e32 v2, 0xfffff, v2
	v_add_u32_e32 v52, v2, v16
	v_cmp_ne_u32_e32 vcc, 0, v18
                                        ; implicit-def: $vgpr16_vgpr17
                                        ; implicit-def: $vgpr3
	s_and_saveexec_b64 s[20:21], vcc
	s_xor_b64 s[20:21], exec, s[20:21]
; %bb.3056:                             ;   in Loop: Header=BB4_3022 Depth=2
	v_cmp_lt_u64_e32 vcc, s[76:77], v[52:53]
	v_add_u32_e32 v2, 7, v19
	v_cndmask_b32_e32 v3, v18, v2, vcc
	v_cndmask_b32_e64 v2, 0, 1, vcc
	v_lshrrev_b64 v[16:17], v2, v[52:53]
; %bb.3057:                             ;   in Loop: Header=BB4_3022 Depth=2
	s_andn2_saveexec_b64 s[20:21], s[20:21]
; %bb.3058:                             ;   in Loop: Header=BB4_3022 Depth=2
	v_mov_b32_e32 v16, v52
	v_bfe_u32 v3, v52, 23, 1
	v_mov_b32_e32 v17, v53
; %bb.3059:                             ;   in Loop: Header=BB4_3022 Depth=2
	s_or_b64 exec, exec, s[20:21]
	v_lshrrev_b64 v[16:17], 20, v[16:17]
	v_cmp_gt_i32_e32 vcc, 16, v3
	v_cndmask_b32_e32 v17, 0, v17, vcc
	v_cndmask_b32_e32 v16, 7, v16, vcc
	v_cmp_ne_u64_e32 vcc, 0, v[16:17]
	v_cmp_ne_u32_e64 s[20:21], 0, v3
	s_or_b64 s[20:21], s[20:21], vcc
                                        ; implicit-def: $vgpr2
	s_and_saveexec_b64 vcc, s[20:21]
	s_xor_b64 s[20:21], exec, vcc
; %bb.3060:                             ;   in Loop: Header=BB4_3022 Depth=2
	v_min_i32_e32 v2, 15, v3
	v_lshl_or_b32 v1, v2, 3, v1
	v_and_or_b32 v2, v16, 7, v1
                                        ; implicit-def: $vgpr1
; %bb.3061:                             ;   in Loop: Header=BB4_3022 Depth=2
	s_andn2_saveexec_b64 s[20:21], s[20:21]
; %bb.3062:                             ;   in Loop: Header=BB4_3022 Depth=2
	v_mov_b32_e32 v2, v1
; %bb.3063:                             ;   in Loop: Header=BB4_3022 Depth=2
	s_or_b64 exec, exec, s[20:21]
.LBB4_3064:                             ;   in Loop: Header=BB4_3022 Depth=2
	s_or_b64 exec, exec, s[94:95]
                                        ; implicit-def: $vgpr1
.LBB4_3065:                             ;   in Loop: Header=BB4_3022 Depth=2
	s_andn2_saveexec_b64 s[20:21], s[24:25]
; %bb.3066:                             ;   in Loop: Header=BB4_3022 Depth=2
	v_or_b32_e32 v2, 0x7e, v1
; %bb.3067:                             ;   in Loop: Header=BB4_3022 Depth=2
	s_or_b64 exec, exec, s[20:21]
                                        ; implicit-def: $vgpr16
.LBB4_3068:                             ;   in Loop: Header=BB4_3022 Depth=2
	s_andn2_saveexec_b64 s[20:21], s[22:23]
	s_cbranch_execz .LBB4_3021
; %bb.3069:                             ;   in Loop: Header=BB4_3022 Depth=2
	v_or_b32_sdwa v2, v16, s54 dst_sel:DWORD dst_unused:UNUSED_PAD src0_sel:BYTE_3 src1_sel:DWORD
	s_branch .LBB4_3021
.LBB4_3070:                             ;   in Loop: Header=BB4_49 Depth=1
	s_or_b64 exec, exec, s[26:27]
	buffer_load_dword v0, off, s[0:3], s33 offset:144 ; 4-byte Folded Reload
	s_waitcnt vmcnt(0)
	v_cmp_ne_u32_e64 s[20:21], 0, v0
	s_and_saveexec_b64 s[22:23], s[10:11]
	s_cbranch_execz .LBB4_3089
.LBB4_3071:                             ;   in Loop: Header=BB4_49 Depth=1
	s_and_saveexec_b64 s[24:25], s[56:57]
	s_xor_b64 s[24:25], exec, s[24:25]
	s_cbranch_execz .LBB4_3086
; %bb.3072:                             ;   in Loop: Header=BB4_49 Depth=1
	s_and_saveexec_b64 s[26:27], s[12:13]
	s_cbranch_execz .LBB4_3085
; %bb.3073:                             ;   in Loop: Header=BB4_49 Depth=1
	s_mov_b64 s[92:93], exec
	v_mbcnt_lo_u32_b32 v0, s92, 0
	v_mbcnt_hi_u32_b32 v0, s93, v0
	v_cmp_eq_u32_e32 vcc, 0, v0
	s_waitcnt vmcnt(0) lgkmcnt(0)
	buffer_wbinvl1_vol
	s_and_saveexec_b64 s[28:29], vcc
	s_cbranch_execz .LBB4_3075
; %bb.3074:                             ;   in Loop: Header=BB4_49 Depth=1
	s_bcnt1_i32_b64 s92, s[92:93]
	v_mov_b32_e32 v52, s92
	ds_add_u64 v0, v[52:53]
	s_trap 2
.LBB4_3075:                             ;   in Loop: Header=BB4_49 Depth=1
	s_or_b64 exec, exec, s[28:29]
	s_trap 2
	ds_read_b64 v[0:1], v0
	s_waitcnt lgkmcnt(0)
	buffer_load_dword v2, off, s[0:3], s33 offset:60 ; 4-byte Folded Reload
	buffer_load_dword v3, off, s[0:3], s33 offset:64 ; 4-byte Folded Reload
	;; [unrolled: 1-line block ×3, first 2 shown]
	s_waitcnt vmcnt(0)
	v_add_co_u32_e32 v2, vcc, v2, v10
	v_addc_co_u32_e32 v3, vcc, 0, v3, vcc
	buffer_store_dword v2, off, s[0:3], s33 offset:60 ; 4-byte Folded Spill
	s_nop 0
	buffer_store_dword v3, off, s[0:3], s33 offset:64 ; 4-byte Folded Spill
	v_cmp_lt_u64_e32 vcc, v[0:1], v[2:3]
	s_and_saveexec_b64 s[28:29], vcc
	s_cbranch_execz .LBB4_3084
; %bb.3076:                             ;   in Loop: Header=BB4_49 Depth=1
	s_mov_b32 s38, 0
	s_mov_b64 s[92:93], 0
                                        ; implicit-def: $sgpr94_sgpr95
                                        ; implicit-def: $sgpr30_sgpr31
	s_branch .LBB4_3078
.LBB4_3077:                             ;   in Loop: Header=BB4_3078 Depth=2
	s_or_b64 exec, exec, s[36:37]
	s_and_b64 vcc, exec, vcc
	s_or_b64 s[92:93], vcc, s[92:93]
	s_andn2_b64 s[94:95], s[94:95], exec
	s_and_b64 vcc, s[30:31], exec
	s_or_b64 s[94:95], s[94:95], vcc
	s_andn2_b64 exec, exec, s[92:93]
	s_cbranch_execz .LBB4_3082
.LBB4_3078:                             ;   Parent Loop BB4_49 Depth=1
                                        ; =>  This Inner Loop Header: Depth=2
	s_add_i32 s38, s38, 1
	s_cmpk_lg_i32 s38, 0x2710
	s_cselect_b64 s[34:35], -1, 0
	s_and_b64 vcc, exec, s[34:35]
	s_cbranch_vccz .LBB4_3080
; %bb.3079:                             ;   in Loop: Header=BB4_3078 Depth=2
	s_mov_b64 vcc, -1
	s_or_b64 s[30:31], s[30:31], exec
	s_and_saveexec_b64 s[36:37], s[34:35]
	s_cbranch_execz .LBB4_3077
	s_branch .LBB4_3081
.LBB4_3080:                             ;   in Loop: Header=BB4_3078 Depth=2
	s_trap 2
	ds_read_b64 v[0:1], v0
	s_andn2_b64 s[34:35], s[34:35], exec
	s_mov_b32 s38, 0
	s_waitcnt vmcnt(0) lgkmcnt(0)
	flat_load_dword v0, v[0:1] glc
	s_waitcnt vmcnt(0) lgkmcnt(0)
	buffer_wbinvl1_vol
	v_cmp_eq_u32_e32 vcc, 0, v0
	s_and_b64 vcc, vcc, exec
	s_or_b64 s[34:35], s[34:35], vcc
	s_mov_b64 vcc, -1
	s_or_b64 s[30:31], s[30:31], exec
	s_and_saveexec_b64 s[36:37], s[34:35]
	s_cbranch_execz .LBB4_3077
.LBB4_3081:                             ;   in Loop: Header=BB4_3078 Depth=2
	s_sleep 1
	s_trap 2
	ds_read_b64 v[0:1], v0
	s_waitcnt lgkmcnt(0)
	buffer_load_dword v2, off, s[0:3], s33 offset:60 ; 4-byte Folded Reload
	buffer_load_dword v3, off, s[0:3], s33 offset:64 ; 4-byte Folded Reload
	s_andn2_b64 s[30:31], s[30:31], exec
	s_waitcnt vmcnt(0)
	v_cmp_ge_u64_e32 vcc, v[0:1], v[2:3]
	s_orn2_b64 vcc, vcc, exec
	s_branch .LBB4_3077
.LBB4_3082:                             ;   in Loop: Header=BB4_49 Depth=1
	s_or_b64 exec, exec, s[92:93]
	s_and_saveexec_b64 s[92:93], s[94:95]
	s_xor_b64 s[92:93], exec, s[92:93]
	s_cbranch_execz .LBB4_3084
; %bb.3083:                             ;   in Loop: Header=BB4_49 Depth=1
	ds_write_b32 v0, v58
	s_trap 2
.LBB4_3084:                             ;   in Loop: Header=BB4_49 Depth=1
	s_or_b64 exec, exec, s[28:29]
	;;#ASMSTART
	s_wakeup
	;;#ASMEND
.LBB4_3085:                             ;   in Loop: Header=BB4_49 Depth=1
	s_or_b64 exec, exec, s[26:27]
.LBB4_3086:                             ;   in Loop: Header=BB4_49 Depth=1
	s_andn2_saveexec_b64 s[24:25], s[24:25]
	s_cbranch_execz .LBB4_3088
; %bb.3087:                             ;   in Loop: Header=BB4_49 Depth=1
	s_waitcnt vmcnt(0) lgkmcnt(0)
	buffer_wbinvl1_vol
	s_barrier
.LBB4_3088:                             ;   in Loop: Header=BB4_49 Depth=1
	s_or_b64 exec, exec, s[24:25]
.LBB4_3089:                             ;   in Loop: Header=BB4_49 Depth=1
	s_or_b64 exec, exec, s[22:23]
	v_and_b32_e32 v0, 16, v28
	v_cmp_ne_u32_e32 vcc, 0, v0
	s_and_b64 s[22:23], vcc, s[20:21]
	s_and_saveexec_b64 s[20:21], s[22:23]
	s_cbranch_execz .LBB4_3091
; %bb.3090:                             ;   in Loop: Header=BB4_49 Depth=1
	s_waitcnt vmcnt(0) lgkmcnt(0)
	buffer_wbinvl1_vol
.LBB4_3091:                             ;   in Loop: Header=BB4_49 Depth=1
	s_or_b64 exec, exec, s[20:21]
	v_cmp_ne_u32_e32 vcc, 0, v0
	s_xor_b64 s[20:21], s[18:19], -1
	s_and_b64 s[22:23], vcc, s[20:21]
	s_and_saveexec_b64 s[20:21], s[22:23]
	s_cbranch_execz .LBB4_3093
; %bb.3092:                             ;   in Loop: Header=BB4_49 Depth=1
	flat_store_dword v[40:41], v58
.LBB4_3093:                             ;   in Loop: Header=BB4_49 Depth=1
	s_or_b64 exec, exec, s[20:21]
	v_and_b32_e32 v0, 48, v28
	v_cmp_ne_u32_e32 vcc, 0, v0
	s_and_saveexec_b64 s[20:21], vcc
	s_cbranch_execz .LBB4_3095
; %bb.3094:                             ;   in Loop: Header=BB4_49 Depth=1
	v_add_co_u32_e32 v8, vcc, 1, v8
	v_addc_co_u32_e32 v9, vcc, 0, v9, vcc
	flat_store_dwordx2 v[32:33], v[8:9]
.LBB4_3095:                             ;   in Loop: Header=BB4_49 Depth=1
	s_or_b64 exec, exec, s[20:21]
	buffer_load_dword v0, off, s[0:3], s33 offset:80 ; 4-byte Folded Reload
	buffer_load_dword v1, off, s[0:3], s33 offset:84 ; 4-byte Folded Reload
.LBB4_3096:                             ;   in Loop: Header=BB4_49 Depth=1
	s_or_b64 exec, exec, s[90:91]
	s_and_saveexec_b64 s[22:23], s[88:89]
	s_cbranch_execz .LBB4_48
; %bb.3097:                             ;   in Loop: Header=BB4_49 Depth=1
	buffer_load_dword v1, off, s[0:3], s33 offset:120 ; 4-byte Folded Reload
	buffer_load_dword v2, off, s[0:3], s33 offset:124 ; 4-byte Folded Reload
	s_waitcnt vmcnt(0)
	v_sub_u32_e32 v0, v1, v0
	buffer_load_dword v1, off, s[0:3], s33 offset:80 ; 4-byte Folded Reload
	buffer_load_dword v2, off, s[0:3], s33 offset:84 ; 4-byte Folded Reload
	s_waitcnt vmcnt(0)
	v_min_i32_e32 v10, v1, v0
	v_and_b32_e32 v0, 12, v28
	v_cmp_ne_u32_e32 vcc, 0, v0
	s_and_saveexec_b64 s[24:25], vcc
	s_cbranch_execz .LBB4_3121
; %bb.3098:                             ;   in Loop: Header=BB4_49 Depth=1
	v_and_b32_e32 v0, 8, v28
	v_add_co_u32_e32 v1, vcc, v38, v0
	v_addc_co_u32_e32 v2, vcc, 0, v39, vcc
	s_waitcnt lgkmcnt(0)
	v_add_co_u32_e32 v12, vcc, 1, v8
	v_addc_co_u32_e32 v13, vcc, 0, v9, vcc
	v_cmp_lt_u64_e32 vcc, v[1:2], v[12:13]
	s_and_saveexec_b64 s[26:27], vcc
	s_cbranch_execz .LBB4_3110
; %bb.3099:                             ;   in Loop: Header=BB4_49 Depth=1
	v_and_b32_e32 v1, 64, v28
	s_mov_b32 s48, 0
	v_cmp_eq_u32_e32 vcc, 0, v1
	s_mov_b64 s[28:29], 0
                                        ; implicit-def: $sgpr88_sgpr89
                                        ; implicit-def: $sgpr90_sgpr91
                                        ; implicit-def: $sgpr92_sgpr93
	s_branch .LBB4_3103
.LBB4_3100:                             ;   in Loop: Header=BB4_3103 Depth=2
	s_waitcnt vmcnt(0) lgkmcnt(0)
	v_add_co_u32_e64 v2, s[20:21], v38, v0
	v_addc_co_u32_e64 v3, s[20:21], 0, v39, s[20:21]
	v_cmp_ge_u64_e64 s[20:21], v[2:3], v[12:13]
	s_or_b64 s[34:35], s[34:35], exec
	s_orn2_b64 s[30:31], s[20:21], exec
.LBB4_3101:                             ;   in Loop: Header=BB4_3103 Depth=2
	s_or_b64 exec, exec, s[38:39]
	s_andn2_b64 s[20:21], s[92:93], exec
	s_and_b64 s[92:93], s[34:35], exec
	s_or_b64 s[92:93], s[20:21], s[92:93]
	s_andn2_b64 s[20:21], s[90:91], exec
	s_and_b64 s[90:91], s[30:31], exec
	s_or_b64 s[90:91], s[20:21], s[90:91]
.LBB4_3102:                             ;   in Loop: Header=BB4_3103 Depth=2
	s_or_b64 exec, exec, s[94:95]
	s_and_b64 s[20:21], exec, s[90:91]
	s_or_b64 s[28:29], s[20:21], s[28:29]
	s_andn2_b64 s[20:21], s[88:89], exec
	s_and_b64 s[88:89], s[92:93], exec
	s_or_b64 s[88:89], s[20:21], s[88:89]
	s_andn2_b64 exec, exec, s[28:29]
	s_cbranch_execz .LBB4_3107
.LBB4_3103:                             ;   Parent Loop BB4_49 Depth=1
                                        ; =>  This Inner Loop Header: Depth=2
	s_sleep 1
	s_waitcnt vmcnt(0) lgkmcnt(0)
	flat_load_dwordx2 v[38:39], v[32:33] glc
	s_or_b64 s[92:93], s[92:93], exec
	s_or_b64 s[90:91], s[90:91], exec
                                        ; implicit-def: $vgpr1
	s_and_saveexec_b64 s[94:95], vcc
	s_cbranch_execz .LBB4_3102
; %bb.3104:                             ;   in Loop: Header=BB4_3103 Depth=2
	s_cmpk_lt_i32 s48, 0x270f
	s_cselect_b64 s[36:37], -1, 0
	s_cmpk_gt_i32 s48, 0x270e
	s_mov_b64 s[30:31], -1
	s_cbranch_scc0 .LBB4_3106
; %bb.3105:                             ;   in Loop: Header=BB4_3103 Depth=2
	s_trap 2
	ds_read_b64 v[1:2], v0
	s_andn2_b64 s[36:37], s[36:37], exec
	s_mov_b32 s48, 0
	s_mov_b64 s[34:35], 0
	s_waitcnt vmcnt(0) lgkmcnt(0)
	flat_load_dword v1, v[1:2] glc
	s_waitcnt vmcnt(0) lgkmcnt(0)
	buffer_wbinvl1_vol
	v_cmp_eq_u32_e64 s[20:21], 0, v1
	s_and_b64 s[20:21], s[20:21], exec
	s_or_b64 s[36:37], s[36:37], s[20:21]
	s_and_saveexec_b64 s[38:39], s[36:37]
	s_cbranch_execz .LBB4_3101
	s_branch .LBB4_3100
.LBB4_3106:                             ;   in Loop: Header=BB4_3103 Depth=2
	s_add_i32 s48, s48, 1
	s_mov_b64 s[34:35], -1
                                        ; implicit-def: $vgpr1
	s_and_saveexec_b64 s[38:39], s[36:37]
	s_cbranch_execz .LBB4_3101
	s_branch .LBB4_3100
.LBB4_3107:                             ;   in Loop: Header=BB4_49 Depth=1
	s_or_b64 exec, exec, s[28:29]
	s_xor_b64 s[20:21], s[88:89], -1
	s_and_saveexec_b64 s[28:29], s[20:21]
	s_xor_b64 s[20:21], exec, s[28:29]
	s_cbranch_execz .LBB4_3109
; %bb.3108:                             ;   in Loop: Header=BB4_49 Depth=1
	v_or_b32_e32 v28, 64, v28
	s_waitcnt lgkmcnt(0)
	ds_write_b32 v0, v1
	s_trap 2
.LBB4_3109:                             ;   in Loop: Header=BB4_49 Depth=1
	s_or_b64 exec, exec, s[20:21]
.LBB4_3110:                             ;   in Loop: Header=BB4_49 Depth=1
	s_or_b64 exec, exec, s[26:27]
	v_and_b32_e32 v1, 0x108, v28
	v_cmp_ne_u32_e32 vcc, s52, v1
	v_and_b32_e32 v1, 7, v8
	;;#ASMSTART
	s_wakeup
	;;#ASMEND
	s_and_saveexec_b64 s[20:21], vcc
	s_xor_b64 s[20:21], exec, s[20:21]
	s_andn2_saveexec_b64 s[20:21], s[20:21]
	s_cbranch_execz .LBB4_3112
; %bb.3111:                             ;   in Loop: Header=BB4_49 Depth=1
	v_mad_u64_u32 v[2:3], s[26:27], v1, 24, v[6:7]
	v_ashrrev_i32_e32 v11, 31, v10
	flat_store_dwordx2 v[2:3], v[10:11] offset:8
.LBB4_3112:                             ;   in Loop: Header=BB4_49 Depth=1
	s_or_b64 exec, exec, s[20:21]
	v_and_b32_e32 v2, 0x100, v28
	v_cmp_ne_u32_e32 vcc, 0, v2
	s_mov_b64 s[20:21], -1
                                        ; implicit-def: $vgpr8_vgpr9
	s_and_saveexec_b64 s[26:27], vcc
	s_cbranch_execz .LBB4_3116
; %bb.3113:                             ;   in Loop: Header=BB4_49 Depth=1
	v_mad_u64_u32 v[2:3], s[20:21], v1, 24, v[6:7]
	v_mad_u64_u32 v[8:9], s[20:21], v53, 24, v[3:4]
	v_mov_b32_e32 v3, v8
	flat_load_dword v8, v[2:3]
	s_waitcnt vmcnt(0) lgkmcnt(0)
	v_cmp_ne_u32_e32 vcc, 1, v8
	v_cmp_eq_u32_e64 s[20:21], 1, v8
                                        ; implicit-def: $vgpr8_vgpr9
	s_and_saveexec_b64 s[28:29], s[20:21]
	s_cbranch_execz .LBB4_3115
; %bb.3114:                             ;   in Loop: Header=BB4_49 Depth=1
	flat_load_dword v8, v[2:3] offset:4 glc
	s_waitcnt vmcnt(0) lgkmcnt(0)
	v_ashrrev_i32_e32 v9, 31, v8
.LBB4_3115:                             ;   in Loop: Header=BB4_49 Depth=1
	s_or_b64 exec, exec, s[28:29]
	s_orn2_b64 s[20:21], vcc, exec
.LBB4_3116:                             ;   in Loop: Header=BB4_49 Depth=1
	s_or_b64 exec, exec, s[26:27]
	s_and_saveexec_b64 s[26:27], s[20:21]
	s_cbranch_execz .LBB4_3118
; %bb.3117:                             ;   in Loop: Header=BB4_49 Depth=1
	buffer_load_dword v8, off, s[0:3], s33 offset:132 ; 4-byte Folded Reload
	v_mul_lo_u32 v3, v1, v56
	s_waitcnt vmcnt(0)
	v_mul_lo_u32 v2, v53, v8
	v_mad_u64_u32 v[8:9], s[20:21], v1, v8, 0
	v_add3_u32 v9, v9, v3, v2
.LBB4_3118:                             ;   in Loop: Header=BB4_49 Depth=1
	s_or_b64 exec, exec, s[26:27]
	v_cmp_eq_u32_e32 vcc, 0, v0
	buffer_load_dword v0, off, s[0:3], s33 offset:92 ; 4-byte Folded Reload
	buffer_load_dword v1, off, s[0:3], s33 offset:96 ; 4-byte Folded Reload
	v_cndmask_b32_e32 v2, v23, v24, vcc
	s_waitcnt vmcnt(0)
	v_add_co_u32_e32 v0, vcc, v0, v8
	v_addc_co_u32_e32 v1, vcc, v1, v9, vcc
	v_add_u32_e32 v2, v0, v2
	ds_write_b64 v2, v[0:1] offset:584
	v_and_b32_e32 v0, 0x2000, v28
	v_cmp_ne_u32_e32 vcc, 0, v0
	s_and_saveexec_b64 s[20:21], vcc
	s_cbranch_execz .LBB4_3120
; %bb.3119:                             ;   in Loop: Header=BB4_49 Depth=1
	ds_read_b64 v[0:1], v0 offset:872
	s_waitcnt lgkmcnt(0)
	v_add_co_u32_e32 v0, vcc, 1, v0
	v_addc_co_u32_e32 v1, vcc, 0, v1, vcc
	ds_write_b64 v0, v[0:1] offset:872
.LBB4_3120:                             ;   in Loop: Header=BB4_49 Depth=1
	s_or_b64 exec, exec, s[20:21]
	v_mov_b32_e32 v8, v12
	v_mov_b32_e32 v9, v13
.LBB4_3121:                             ;   in Loop: Header=BB4_49 Depth=1
	s_or_b64 exec, exec, s[24:25]
	s_and_saveexec_b64 s[20:21], s[10:11]
	s_cbranch_execz .LBB4_3140
; %bb.3122:                             ;   in Loop: Header=BB4_49 Depth=1
	s_and_saveexec_b64 s[24:25], s[56:57]
	s_xor_b64 s[24:25], exec, s[24:25]
	s_cbranch_execz .LBB4_3137
; %bb.3123:                             ;   in Loop: Header=BB4_49 Depth=1
	s_and_saveexec_b64 s[26:27], s[12:13]
	s_cbranch_execz .LBB4_3136
; %bb.3124:                             ;   in Loop: Header=BB4_49 Depth=1
	s_mov_b64 s[88:89], exec
	v_mbcnt_lo_u32_b32 v0, s88, 0
	v_mbcnt_hi_u32_b32 v0, s89, v0
	v_cmp_eq_u32_e32 vcc, 0, v0
	s_waitcnt lgkmcnt(0)
	buffer_wbinvl1_vol
	s_and_saveexec_b64 s[28:29], vcc
	s_cbranch_execz .LBB4_3126
; %bb.3125:                             ;   in Loop: Header=BB4_49 Depth=1
	s_bcnt1_i32_b64 s88, s[88:89]
	v_mov_b32_e32 v52, s88
	ds_add_u64 v0, v[52:53]
	s_trap 2
.LBB4_3126:                             ;   in Loop: Header=BB4_49 Depth=1
	s_or_b64 exec, exec, s[28:29]
	s_trap 2
	ds_read_b64 v[0:1], v0
	s_waitcnt lgkmcnt(0)
	buffer_load_dword v2, off, s[0:3], s33 offset:60 ; 4-byte Folded Reload
	buffer_load_dword v3, off, s[0:3], s33 offset:64 ; 4-byte Folded Reload
	;; [unrolled: 1-line block ×3, first 2 shown]
	s_waitcnt vmcnt(0)
	v_add_co_u32_e32 v2, vcc, v2, v11
	v_addc_co_u32_e32 v3, vcc, 0, v3, vcc
	buffer_store_dword v2, off, s[0:3], s33 offset:60 ; 4-byte Folded Spill
	s_nop 0
	buffer_store_dword v3, off, s[0:3], s33 offset:64 ; 4-byte Folded Spill
	v_cmp_lt_u64_e32 vcc, v[0:1], v[2:3]
	s_and_saveexec_b64 s[28:29], vcc
	s_cbranch_execz .LBB4_3135
; %bb.3127:                             ;   in Loop: Header=BB4_49 Depth=1
	s_mov_b32 s34, 0
	s_mov_b64 s[88:89], 0
                                        ; implicit-def: $sgpr90_sgpr91
                                        ; implicit-def: $sgpr92_sgpr93
	s_branch .LBB4_3129
.LBB4_3128:                             ;   in Loop: Header=BB4_3129 Depth=2
	s_or_b64 exec, exec, s[30:31]
	s_and_b64 s[94:95], exec, vcc
	s_or_b64 s[88:89], s[94:95], s[88:89]
	s_andn2_b64 s[90:91], s[90:91], exec
	s_and_b64 s[94:95], s[92:93], exec
	s_or_b64 s[90:91], s[90:91], s[94:95]
	s_andn2_b64 exec, exec, s[88:89]
	s_cbranch_execz .LBB4_3133
.LBB4_3129:                             ;   Parent Loop BB4_49 Depth=1
                                        ; =>  This Inner Loop Header: Depth=2
	s_add_i32 s34, s34, 1
	s_cmpk_lg_i32 s34, 0x2710
	s_cselect_b64 s[94:95], -1, 0
	s_and_b64 vcc, exec, s[94:95]
	s_cbranch_vccz .LBB4_3131
; %bb.3130:                             ;   in Loop: Header=BB4_3129 Depth=2
	s_mov_b64 vcc, -1
	s_or_b64 s[92:93], s[92:93], exec
	s_and_saveexec_b64 s[30:31], s[94:95]
	s_cbranch_execz .LBB4_3128
	s_branch .LBB4_3132
.LBB4_3131:                             ;   in Loop: Header=BB4_3129 Depth=2
	s_trap 2
	ds_read_b64 v[0:1], v0
	s_andn2_b64 s[94:95], s[94:95], exec
	s_mov_b32 s34, 0
	s_waitcnt vmcnt(0) lgkmcnt(0)
	flat_load_dword v0, v[0:1] glc
	s_waitcnt vmcnt(0) lgkmcnt(0)
	buffer_wbinvl1_vol
	v_cmp_eq_u32_e32 vcc, 0, v0
	s_and_b64 vcc, vcc, exec
	s_or_b64 s[94:95], s[94:95], vcc
	s_mov_b64 vcc, -1
	s_or_b64 s[92:93], s[92:93], exec
	s_and_saveexec_b64 s[30:31], s[94:95]
	s_cbranch_execz .LBB4_3128
.LBB4_3132:                             ;   in Loop: Header=BB4_3129 Depth=2
	s_sleep 1
	s_trap 2
	ds_read_b64 v[0:1], v0
	s_waitcnt lgkmcnt(0)
	buffer_load_dword v2, off, s[0:3], s33 offset:60 ; 4-byte Folded Reload
	buffer_load_dword v3, off, s[0:3], s33 offset:64 ; 4-byte Folded Reload
	s_andn2_b64 s[92:93], s[92:93], exec
	s_waitcnt vmcnt(0)
	v_cmp_ge_u64_e32 vcc, v[0:1], v[2:3]
	s_orn2_b64 vcc, vcc, exec
	s_branch .LBB4_3128
.LBB4_3133:                             ;   in Loop: Header=BB4_49 Depth=1
	s_or_b64 exec, exec, s[88:89]
	s_and_saveexec_b64 s[88:89], s[90:91]
	s_xor_b64 s[88:89], exec, s[88:89]
	s_cbranch_execz .LBB4_3135
; %bb.3134:                             ;   in Loop: Header=BB4_49 Depth=1
	ds_write_b32 v0, v58
	s_trap 2
.LBB4_3135:                             ;   in Loop: Header=BB4_49 Depth=1
	s_or_b64 exec, exec, s[28:29]
	;;#ASMSTART
	s_wakeup
	;;#ASMEND
.LBB4_3136:                             ;   in Loop: Header=BB4_49 Depth=1
	s_or_b64 exec, exec, s[26:27]
.LBB4_3137:                             ;   in Loop: Header=BB4_49 Depth=1
	s_andn2_saveexec_b64 s[24:25], s[24:25]
	s_cbranch_execz .LBB4_3139
; %bb.3138:                             ;   in Loop: Header=BB4_49 Depth=1
	s_waitcnt vmcnt(0) lgkmcnt(0)
	buffer_wbinvl1_vol
	s_barrier
.LBB4_3139:                             ;   in Loop: Header=BB4_49 Depth=1
	s_or_b64 exec, exec, s[24:25]
.LBB4_3140:                             ;   in Loop: Header=BB4_49 Depth=1
	s_or_b64 exec, exec, s[20:21]
	s_trap 2
	ds_read_b32 v1, v0
	v_cmp_lt_i32_e32 vcc, 0, v10
	v_and_b32_e32 v0, 16, v28
	s_waitcnt lgkmcnt(0)
	v_readfirstlane_b32 s20, v1
	s_cmp_eq_u32 s20, 0
	s_cselect_b64 s[20:21], -1, 0
	s_and_b64 s[20:21], vcc, s[20:21]
	v_cmp_ne_u32_e32 vcc, 0, v0
	s_and_b64 s[24:25], vcc, s[20:21]
	s_and_saveexec_b64 s[20:21], s[24:25]
	s_cbranch_execz .LBB4_3142
; %bb.3141:                             ;   in Loop: Header=BB4_49 Depth=1
	s_waitcnt vmcnt(0)
	buffer_wbinvl1_vol
.LBB4_3142:                             ;   in Loop: Header=BB4_49 Depth=1
	s_or_b64 exec, exec, s[20:21]
	v_cmp_ne_u32_e32 vcc, 0, v0
	s_xor_b64 s[20:21], s[18:19], -1
	s_and_b64 s[24:25], vcc, s[20:21]
	s_and_saveexec_b64 s[20:21], s[24:25]
	s_cbranch_execz .LBB4_3144
; %bb.3143:                             ;   in Loop: Header=BB4_49 Depth=1
	flat_store_dword v[40:41], v58
.LBB4_3144:                             ;   in Loop: Header=BB4_49 Depth=1
	s_or_b64 exec, exec, s[20:21]
	v_and_b32_e32 v0, 48, v28
	v_cmp_ne_u32_e32 vcc, 0, v0
	s_and_saveexec_b64 s[20:21], vcc
	s_cbranch_execz .LBB4_47
; %bb.3145:                             ;   in Loop: Header=BB4_49 Depth=1
	v_add_co_u32_e32 v8, vcc, 1, v8
	v_addc_co_u32_e32 v9, vcc, 0, v9, vcc
	flat_store_dwordx2 v[32:33], v[8:9]
	s_branch .LBB4_47
.LBB4_3146:
	s_or_b64 exec, exec, s[60:61]
	buffer_load_dword v36, off, s[0:3], s33 offset:180 ; 4-byte Folded Reload
	buffer_load_dword v31, off, s[0:3], s33 offset:184 ; 4-byte Folded Reload
.LBB4_3147:
	s_or_b64 exec, exec, s[46:47]
                                        ; implicit-def: $vgpr0
                                        ; kill: killed $vgpr0
                                        ; implicit-def: $vgpr53_vgpr54
                                        ; implicit-def: $vgpr4_vgpr5
                                        ; implicit-def: $vgpr38_vgpr39
                                        ; implicit-def: $vgpr32_vgpr33
                                        ; implicit-def: $vgpr52
                                        ; implicit-def: $vgpr24
                                        ; implicit-def: $vgpr0_vgpr1
                                        ; kill: killed $vgpr0_vgpr1
                                        ; implicit-def: $vgpr0
	buffer_store_dword v0, off, s[0:3], s33 offset:68 ; 4-byte Folded Spill
	s_nop 0
	buffer_store_dword v1, off, s[0:3], s33 offset:72 ; 4-byte Folded Spill
.LBB4_3148:
	s_andn2_saveexec_b64 s[28:29], s[44:45]
	s_cbranch_execz .LBB4_6244
; %bb.3149:
	v_mov_b32_e32 v0, 0
	v_cmp_ne_u64_e32 vcc, 0, v[4:5]
	v_mov_b32_e32 v1, 0
	buffer_store_dword v0, off, s[0:3], s33 offset:60 ; 4-byte Folded Spill
	s_nop 0
	buffer_store_dword v1, off, s[0:3], s33 offset:64 ; 4-byte Folded Spill
	s_and_saveexec_b64 s[44:45], vcc
	s_cbranch_execz .LBB4_6243
; %bb.3150:
	buffer_store_dword v53, off, s[0:3], s33 offset:148 ; 4-byte Folded Spill
	s_nop 0
	buffer_store_dword v54, off, s[0:3], s33 offset:152 ; 4-byte Folded Spill
	s_trap 2
	buffer_load_dword v0, off, s[0:3], s33 offset:160 ; 4-byte Folded Reload
	v_and_b32_e32 v2, 63, v52
	s_waitcnt vmcnt(0)
	v_lshrrev_b32_e32 v1, 6, v36
	buffer_store_dword v31, off, s[0:3], s33 offset:184 ; 4-byte Folded Spill
	buffer_store_dword v52, off, s[0:3], s33 offset:156 ; 4-byte Folded Spill
	;; [unrolled: 1-line block ×3, first 2 shown]
	v_cmp_le_u32_e64 s[14:15], v2, v24
	v_cmp_eq_u32_e64 s[16:17], 0, v2
	s_ashr_i32 s6, s50, 31
	s_lshr_b32 s6, s6, 24
	s_add_i32 s6, s50, s6
	s_ashr_i32 s48, s6, 8
	v_cmp_ge_u32_e64 s[6:7], v52, v36
	v_cmp_eq_u32_e32 vcc, 64, v36
	s_mov_b32 s56, 0
	s_mov_b32 s76, -1
	v_cmp_ne_u32_e64 s[10:11], 64, v36
	s_mov_b32 s57, 0x1000000
	v_mov_b32_e32 v51, 0
	v_and_b32_e32 v47, 0x3fc0, v36
	s_mov_b64 s[58:59], 0
	s_xor_b64 s[60:61], vcc, -1
	s_movk_i32 s49, 0x80
	s_movk_i32 s51, 0x7f
	s_brev_b32 s52, 1
	s_mov_b64 s[62:63], 0x7f800000
	s_mov_b64 s[72:73], 0x43e00001
	s_movk_i32 s53, 0x7a
	s_mov_b64 s[74:75], 0xffffff
	s_mov_b32 s77, 0xffffff
	s_movk_i32 s54, 0xffc0
	s_mov_b32 s55, 0x3ffffc00
	v_bfrev_b32_e32 v62, 60
	v_mov_b32_e32 v49, 0xffffff82
	v_cmp_ne_u32_sdwa s[46:47], v36, v0 src0_sel:DWORD src1_sel:WORD_0
	v_and_b32_e32 v0, 63, v31
	v_cmp_eq_u32_e64 s[12:13], 0, v0
	v_lshrrev_b32_e32 v0, 6, v52
	buffer_store_dword v0, off, s[0:3], s33 offset:196 ; 4-byte Folded Spill
	v_lshlrev_b32_e32 v0, 11, v0
	v_lshl_or_b32 v0, v2, 4, v0
	buffer_store_dword v0, off, s[0:3], s33 offset:212 ; 4-byte Folded Spill
	v_lshlrev_b32_e32 v0, 11, v1
	buffer_store_dword v0, off, s[0:3], s33 offset:128 ; 4-byte Folded Spill
	buffer_store_dword v1, off, s[0:3], s33 offset:76 ; 4-byte Folded Spill
	v_lshlrev_b32_e32 v0, 10, v1
	buffer_store_dword v0, off, s[0:3], s33 offset:100 ; 4-byte Folded Spill
	buffer_store_dword v36, off, s[0:3], s33 offset:180 ; 4-byte Folded Spill
	v_mov_b32_e32 v0, 0
	v_mov_b32_e32 v1, 0
	buffer_store_dword v0, off, s[0:3], s33 offset:60 ; 4-byte Folded Spill
	s_nop 0
	buffer_store_dword v1, off, s[0:3], s33 offset:64 ; 4-byte Folded Spill
	buffer_load_dword v2, off, s[0:3], s33 offset:68 ; 4-byte Folded Reload
	buffer_load_dword v3, off, s[0:3], s33 offset:72 ; 4-byte Folded Reload
	v_mov_b32_e32 v52, 0
	v_mov_b32_e32 v53, 0
	buffer_store_dword v47, off, s[0:3], s33 offset:172 ; 4-byte Folded Spill
	buffer_store_dword v4, off, s[0:3], s33 offset:104 ; 4-byte Folded Spill
	s_nop 0
	buffer_store_dword v5, off, s[0:3], s33 offset:108 ; 4-byte Folded Spill
	buffer_store_dword v6, off, s[0:3], s33 offset:112 ; 4-byte Folded Spill
	;; [unrolled: 1-line block ×3, first 2 shown]
	s_branch .LBB4_3153
.LBB4_3151:                             ;   in Loop: Header=BB4_3153 Depth=1
	s_or_b64 exec, exec, s[18:19]
.LBB4_3152:                             ;   in Loop: Header=BB4_3153 Depth=1
	s_or_b64 exec, exec, s[20:21]
	buffer_load_dword v2, off, s[0:3], s33 offset:68 ; 4-byte Folded Reload
	buffer_load_dword v3, off, s[0:3], s33 offset:72 ; 4-byte Folded Reload
	;; [unrolled: 1-line block ×6, first 2 shown]
	s_waitcnt vmcnt(0)
	v_mov_b32_e32 v4, v10
	v_add_co_u32_e32 v52, vcc, v52, v2
	v_addc_co_u32_e32 v53, vcc, 0, v53, vcc
	v_mov_b32_e32 v5, v11
	v_cmp_ge_u64_e32 vcc, v[52:53], v[4:5]
	s_or_b64 s[58:59], vcc, s[58:59]
	s_andn2_b64 exec, exec, s[58:59]
	s_cbranch_execz .LBB4_6242
.LBB4_3153:                             ; =>This Loop Header: Depth=1
                                        ;     Child Loop BB4_3162 Depth 2
                                        ;     Child Loop BB4_3186 Depth 2
	;; [unrolled: 1-line block ×10, first 2 shown]
	v_sub_co_u32_e32 v0, vcc, v4, v52
	v_subb_co_u32_e32 v1, vcc, v5, v53, vcc
	s_waitcnt vmcnt(0)
	v_cmp_lt_u64_e32 vcc, v[2:3], v[0:1]
	v_cndmask_b32_e32 v2, v0, v2, vcc
	v_cndmask_b32_e64 v3, v1, 0, vcc
	v_mov_b32_e32 v1, v2
	v_add_u32_e32 v0, 15, v2
	buffer_store_dword v1, off, s[0:3], s33 offset:120 ; 4-byte Folded Spill
	s_nop 0
	buffer_store_dword v2, off, s[0:3], s33 offset:124 ; 4-byte Folded Spill
	v_and_b32_e32 v0, 0x7ffffff0, v0
	v_max_i32_e32 v0, s48, v0
	buffer_store_dword v0, off, s[0:3], s33 offset:80 ; 4-byte Folded Spill
	v_mov_b32_e32 v0, v51
	v_cmp_eq_u64_e32 vcc, 0, v[2:3]
	s_or_b64 s[78:79], s[6:7], vcc
	s_xor_b64 s[18:19], s[78:79], -1
	s_and_saveexec_b64 s[88:89], s[18:19]
	s_cbranch_execz .LBB4_6196
; %bb.3154:                             ;   in Loop: Header=BB4_3153 Depth=1
	s_and_saveexec_b64 s[18:19], s[4:5]
	s_cbranch_execz .LBB4_3156
; %bb.3155:                             ;   in Loop: Header=BB4_3153 Depth=1
	s_trap 2
	ds_read2_b64 v[0:3], v0 offset1:1
	buffer_load_dword v10, off, s[0:3], s33 offset:148 ; 4-byte Folded Reload
	buffer_load_dword v11, off, s[0:3], s33 offset:152 ; 4-byte Folded Reload
	s_waitcnt vmcnt(0)
	v_add_co_u32_e32 v12, vcc, v52, v10
	v_addc_co_u32_e32 v13, vcc, v53, v11, vcc
	s_waitcnt lgkmcnt(0)
	ds_read_b64 v[10:11], v0
	v_add_co_u32_e32 v0, vcc, v0, v12
	v_addc_co_u32_e32 v1, vcc, v1, v13, vcc
	ds_write_b64 v0, v[0:1]
	v_add_co_u32_e32 v0, vcc, v2, v12
	v_addc_co_u32_e32 v1, vcc, v3, v13, vcc
	ds_write_b64 v0, v[0:1]
	s_waitcnt lgkmcnt(2)
	v_add_co_u32_e32 v0, vcc, v10, v12
	v_addc_co_u32_e32 v1, vcc, v11, v13, vcc
	v_cmp_ne_u64_e32 vcc, 0, v[10:11]
	v_cndmask_b32_e32 v1, 0, v1, vcc
	v_cndmask_b32_e32 v0, 0, v0, vcc
	ds_write_b64 v0, v[0:1]
.LBB4_3156:                             ;   in Loop: Header=BB4_3153 Depth=1
	s_or_b64 exec, exec, s[18:19]
	v_and_b32_e32 v0, 4, v28
	v_cmp_ne_u32_e32 vcc, 0, v0
	s_and_saveexec_b64 s[20:21], vcc
	s_cbranch_execz .LBB4_3178
; %bb.3157:                             ;   in Loop: Header=BB4_3153 Depth=1
	s_waitcnt lgkmcnt(0)
	v_add_co_u32_e32 v10, vcc, 1, v8
	v_addc_co_u32_e32 v11, vcc, 0, v9, vcc
	v_cmp_lt_u64_e32 vcc, v[38:39], v[10:11]
	s_and_saveexec_b64 s[22:23], vcc
	s_cbranch_execz .LBB4_3169
; %bb.3158:                             ;   in Loop: Header=BB4_3153 Depth=1
	v_and_b32_e32 v0, 64, v28
	s_mov_b32 s64, 0
	v_cmp_eq_u32_e32 vcc, 0, v0
	s_mov_b64 s[24:25], 0
                                        ; implicit-def: $sgpr26_sgpr27
                                        ; implicit-def: $sgpr90_sgpr91
                                        ; implicit-def: $sgpr92_sgpr93
	s_branch .LBB4_3162
.LBB4_3159:                             ;   in Loop: Header=BB4_3162 Depth=2
	s_waitcnt vmcnt(0) lgkmcnt(0)
	v_cmp_ge_u64_e64 s[18:19], v[38:39], v[10:11]
	s_or_b64 s[34:35], s[34:35], exec
	s_orn2_b64 s[30:31], s[18:19], exec
.LBB4_3160:                             ;   in Loop: Header=BB4_3162 Depth=2
	s_or_b64 exec, exec, s[38:39]
	s_andn2_b64 s[18:19], s[92:93], exec
	s_and_b64 s[92:93], s[34:35], exec
	s_or_b64 s[92:93], s[18:19], s[92:93]
	s_andn2_b64 s[18:19], s[90:91], exec
	s_and_b64 s[90:91], s[30:31], exec
	s_or_b64 s[90:91], s[18:19], s[90:91]
.LBB4_3161:                             ;   in Loop: Header=BB4_3162 Depth=2
	s_or_b64 exec, exec, s[94:95]
	s_and_b64 s[18:19], exec, s[90:91]
	s_or_b64 s[24:25], s[18:19], s[24:25]
	s_andn2_b64 s[18:19], s[26:27], exec
	s_and_b64 s[26:27], s[92:93], exec
	s_or_b64 s[26:27], s[18:19], s[26:27]
	s_andn2_b64 exec, exec, s[24:25]
	s_cbranch_execz .LBB4_3166
.LBB4_3162:                             ;   Parent Loop BB4_3153 Depth=1
                                        ; =>  This Inner Loop Header: Depth=2
	s_sleep 1
	s_waitcnt vmcnt(0) lgkmcnt(0)
	flat_load_dwordx2 v[38:39], v[32:33] glc
	s_or_b64 s[92:93], s[92:93], exec
	s_or_b64 s[90:91], s[90:91], exec
                                        ; implicit-def: $vgpr0
	s_and_saveexec_b64 s[94:95], vcc
	s_cbranch_execz .LBB4_3161
; %bb.3163:                             ;   in Loop: Header=BB4_3162 Depth=2
	s_cmpk_lt_i32 s64, 0x270f
	s_cselect_b64 s[36:37], -1, 0
	s_cmpk_gt_i32 s64, 0x270e
	s_mov_b64 s[30:31], -1
	s_cbranch_scc0 .LBB4_3165
; %bb.3164:                             ;   in Loop: Header=BB4_3162 Depth=2
	s_trap 2
	ds_read_b64 v[0:1], v0
	s_andn2_b64 s[36:37], s[36:37], exec
	s_mov_b32 s64, 0
	s_mov_b64 s[34:35], 0
	s_waitcnt vmcnt(0) lgkmcnt(0)
	flat_load_dword v0, v[0:1] glc
	s_waitcnt vmcnt(0) lgkmcnt(0)
	buffer_wbinvl1_vol
	v_cmp_eq_u32_e64 s[18:19], 0, v0
	s_and_b64 s[18:19], s[18:19], exec
	s_or_b64 s[36:37], s[36:37], s[18:19]
	s_and_saveexec_b64 s[38:39], s[36:37]
	s_cbranch_execz .LBB4_3160
	s_branch .LBB4_3159
.LBB4_3165:                             ;   in Loop: Header=BB4_3162 Depth=2
	s_add_i32 s64, s64, 1
	s_mov_b64 s[34:35], -1
                                        ; implicit-def: $vgpr0
	s_and_saveexec_b64 s[38:39], s[36:37]
	s_cbranch_execz .LBB4_3160
	s_branch .LBB4_3159
.LBB4_3166:                             ;   in Loop: Header=BB4_3153 Depth=1
	s_or_b64 exec, exec, s[24:25]
	s_xor_b64 s[18:19], s[26:27], -1
	s_and_saveexec_b64 s[24:25], s[18:19]
	s_xor_b64 s[18:19], exec, s[24:25]
	s_cbranch_execz .LBB4_3168
; %bb.3167:                             ;   in Loop: Header=BB4_3153 Depth=1
	v_or_b32_e32 v28, 64, v28
	s_waitcnt lgkmcnt(0)
	ds_write_b32 v0, v0
	s_trap 2
.LBB4_3168:                             ;   in Loop: Header=BB4_3153 Depth=1
	s_or_b64 exec, exec, s[18:19]
.LBB4_3169:                             ;   in Loop: Header=BB4_3153 Depth=1
	s_or_b64 exec, exec, s[22:23]
	v_and_b32_e32 v0, 0x100, v28
	v_cmp_ne_u32_e32 vcc, 0, v0
	v_and_b32_e32 v0, 7, v8
	s_mov_b64 s[18:19], -1
	;;#ASMSTART
	s_wakeup
	;;#ASMEND
                                        ; implicit-def: $vgpr8_vgpr9
	s_and_saveexec_b64 s[22:23], vcc
	s_cbranch_execz .LBB4_3173
; %bb.3170:                             ;   in Loop: Header=BB4_3153 Depth=1
	v_mad_u64_u32 v[2:3], s[18:19], v0, 24, v[6:7]
                                        ; implicit-def: $vgpr8_vgpr9
	flat_load_dword v1, v[2:3]
	s_waitcnt vmcnt(0) lgkmcnt(0)
	v_cmp_ne_u32_e32 vcc, 1, v1
	v_cmp_eq_u32_e64 s[18:19], 1, v1
	s_and_saveexec_b64 s[24:25], s[18:19]
	s_cbranch_execz .LBB4_3172
; %bb.3171:                             ;   in Loop: Header=BB4_3153 Depth=1
	flat_load_dword v8, v[2:3] offset:4 glc
	s_waitcnt vmcnt(0) lgkmcnt(0)
	v_ashrrev_i32_e32 v9, 31, v8
.LBB4_3172:                             ;   in Loop: Header=BB4_3153 Depth=1
	s_or_b64 exec, exec, s[24:25]
	s_orn2_b64 s[18:19], vcc, exec
.LBB4_3173:                             ;   in Loop: Header=BB4_3153 Depth=1
	s_or_b64 exec, exec, s[22:23]
	s_and_saveexec_b64 s[22:23], s[18:19]
	s_cbranch_execz .LBB4_3175
; %bb.3174:                             ;   in Loop: Header=BB4_3153 Depth=1
	buffer_load_dword v1, off, s[0:3], s33 offset:132 ; 4-byte Folded Reload
	s_waitcnt vmcnt(0)
	v_mad_i64_i32 v[8:9], s[18:19], v0, v1, 0
.LBB4_3175:                             ;   in Loop: Header=BB4_3153 Depth=1
	s_or_b64 exec, exec, s[22:23]
	buffer_load_dword v0, off, s[0:3], s33 offset:92 ; 4-byte Folded Reload
	buffer_load_dword v1, off, s[0:3], s33 offset:96 ; 4-byte Folded Reload
	s_waitcnt vmcnt(0)
	v_add_co_u32_e32 v0, vcc, v0, v8
	v_addc_co_u32_e32 v1, vcc, v1, v9, vcc
	ds_write_b64 v0, v[0:1] offset:728
	v_and_b32_e32 v0, 0x2000, v28
	v_cmp_ne_u32_e32 vcc, 0, v0
	s_and_saveexec_b64 s[18:19], vcc
	s_cbranch_execz .LBB4_3177
; %bb.3176:                             ;   in Loop: Header=BB4_3153 Depth=1
	ds_read_b64 v[0:1], v0 offset:872
	s_waitcnt lgkmcnt(0)
	v_add_co_u32_e32 v0, vcc, 1, v0
	v_addc_co_u32_e32 v1, vcc, 0, v1, vcc
	ds_write_b64 v0, v[0:1] offset:872
.LBB4_3177:                             ;   in Loop: Header=BB4_3153 Depth=1
	s_or_b64 exec, exec, s[18:19]
	v_mov_b32_e32 v8, v10
	v_mov_b32_e32 v9, v11
.LBB4_3178:                             ;   in Loop: Header=BB4_3153 Depth=1
	s_or_b64 exec, exec, s[20:21]
	s_and_saveexec_b64 s[18:19], s[10:11]
	s_cbranch_execz .LBB4_3197
; %bb.3179:                             ;   in Loop: Header=BB4_3153 Depth=1
	s_and_saveexec_b64 s[20:21], s[46:47]
	s_xor_b64 s[20:21], exec, s[20:21]
	s_cbranch_execz .LBB4_3194
; %bb.3180:                             ;   in Loop: Header=BB4_3153 Depth=1
	s_and_saveexec_b64 s[22:23], s[12:13]
	s_cbranch_execz .LBB4_3193
; %bb.3181:                             ;   in Loop: Header=BB4_3153 Depth=1
	s_mov_b64 s[26:27], exec
	v_mbcnt_lo_u32_b32 v0, s26, 0
	v_mbcnt_hi_u32_b32 v0, s27, v0
	v_cmp_eq_u32_e32 vcc, 0, v0
	s_waitcnt vmcnt(0) lgkmcnt(0)
	buffer_wbinvl1_vol
	s_and_saveexec_b64 s[24:25], vcc
	s_cbranch_execz .LBB4_3183
; %bb.3182:                             ;   in Loop: Header=BB4_3153 Depth=1
	s_bcnt1_i32_b64 s26, s[26:27]
	v_mov_b32_e32 v50, s26
	ds_add_u64 v0, v[50:51]
	s_trap 2
.LBB4_3183:                             ;   in Loop: Header=BB4_3153 Depth=1
	s_or_b64 exec, exec, s[24:25]
	s_trap 2
	ds_read_b64 v[0:1], v0
	s_waitcnt lgkmcnt(0)
	buffer_load_dword v2, off, s[0:3], s33 offset:60 ; 4-byte Folded Reload
	buffer_load_dword v3, off, s[0:3], s33 offset:64 ; 4-byte Folded Reload
	;; [unrolled: 1-line block ×3, first 2 shown]
	s_waitcnt vmcnt(0)
	v_add_co_u32_e32 v2, vcc, v2, v10
	v_addc_co_u32_e32 v3, vcc, 0, v3, vcc
	buffer_store_dword v2, off, s[0:3], s33 offset:60 ; 4-byte Folded Spill
	s_nop 0
	buffer_store_dword v3, off, s[0:3], s33 offset:64 ; 4-byte Folded Spill
	v_cmp_lt_u64_e32 vcc, v[0:1], v[2:3]
	s_and_saveexec_b64 s[24:25], vcc
	s_cbranch_execz .LBB4_3192
; %bb.3184:                             ;   in Loop: Header=BB4_3153 Depth=1
	s_mov_b32 s34, 0
	s_mov_b64 s[26:27], 0
                                        ; implicit-def: $sgpr90_sgpr91
                                        ; implicit-def: $sgpr92_sgpr93
	s_branch .LBB4_3186
.LBB4_3185:                             ;   in Loop: Header=BB4_3186 Depth=2
	s_or_b64 exec, exec, s[30:31]
	s_and_b64 s[94:95], exec, vcc
	s_or_b64 s[26:27], s[94:95], s[26:27]
	s_andn2_b64 s[90:91], s[90:91], exec
	s_and_b64 s[94:95], s[92:93], exec
	s_or_b64 s[90:91], s[90:91], s[94:95]
	s_andn2_b64 exec, exec, s[26:27]
	s_cbranch_execz .LBB4_3190
.LBB4_3186:                             ;   Parent Loop BB4_3153 Depth=1
                                        ; =>  This Inner Loop Header: Depth=2
	s_add_i32 s34, s34, 1
	s_cmpk_lg_i32 s34, 0x2710
	s_cselect_b64 s[94:95], -1, 0
	s_and_b64 vcc, exec, s[94:95]
	s_cbranch_vccz .LBB4_3188
; %bb.3187:                             ;   in Loop: Header=BB4_3186 Depth=2
	s_mov_b64 vcc, -1
	s_or_b64 s[92:93], s[92:93], exec
	s_and_saveexec_b64 s[30:31], s[94:95]
	s_cbranch_execz .LBB4_3185
	s_branch .LBB4_3189
.LBB4_3188:                             ;   in Loop: Header=BB4_3186 Depth=2
	s_trap 2
	ds_read_b64 v[0:1], v0
	s_andn2_b64 s[94:95], s[94:95], exec
	s_mov_b32 s34, 0
	s_waitcnt vmcnt(0) lgkmcnt(0)
	flat_load_dword v0, v[0:1] glc
	s_waitcnt vmcnt(0) lgkmcnt(0)
	buffer_wbinvl1_vol
	v_cmp_eq_u32_e32 vcc, 0, v0
	s_and_b64 vcc, vcc, exec
	s_or_b64 s[94:95], s[94:95], vcc
	s_mov_b64 vcc, -1
	s_or_b64 s[92:93], s[92:93], exec
	s_and_saveexec_b64 s[30:31], s[94:95]
	s_cbranch_execz .LBB4_3185
.LBB4_3189:                             ;   in Loop: Header=BB4_3186 Depth=2
	s_sleep 1
	s_trap 2
	ds_read_b64 v[0:1], v0
	s_waitcnt lgkmcnt(0)
	buffer_load_dword v2, off, s[0:3], s33 offset:60 ; 4-byte Folded Reload
	buffer_load_dword v3, off, s[0:3], s33 offset:64 ; 4-byte Folded Reload
	s_andn2_b64 s[92:93], s[92:93], exec
	s_waitcnt vmcnt(0)
	v_cmp_ge_u64_e32 vcc, v[0:1], v[2:3]
	s_orn2_b64 vcc, vcc, exec
	s_branch .LBB4_3185
.LBB4_3190:                             ;   in Loop: Header=BB4_3153 Depth=1
	s_or_b64 exec, exec, s[26:27]
	s_and_saveexec_b64 s[26:27], s[90:91]
	s_xor_b64 s[26:27], exec, s[26:27]
	s_cbranch_execz .LBB4_3192
; %bb.3191:                             ;   in Loop: Header=BB4_3153 Depth=1
	v_mov_b32_e32 v0, 1
	ds_write_b32 v0, v0
	s_trap 2
.LBB4_3192:                             ;   in Loop: Header=BB4_3153 Depth=1
	s_or_b64 exec, exec, s[24:25]
	;;#ASMSTART
	s_wakeup
	;;#ASMEND
.LBB4_3193:                             ;   in Loop: Header=BB4_3153 Depth=1
	s_or_b64 exec, exec, s[22:23]
.LBB4_3194:                             ;   in Loop: Header=BB4_3153 Depth=1
	s_andn2_saveexec_b64 s[20:21], s[20:21]
	s_cbranch_execz .LBB4_3196
; %bb.3195:                             ;   in Loop: Header=BB4_3153 Depth=1
	s_waitcnt vmcnt(0) lgkmcnt(0)
	buffer_wbinvl1_vol
	s_barrier
.LBB4_3196:                             ;   in Loop: Header=BB4_3153 Depth=1
	s_or_b64 exec, exec, s[20:21]
.LBB4_3197:                             ;   in Loop: Header=BB4_3153 Depth=1
	s_or_b64 exec, exec, s[18:19]
	s_trap 2
	ds_read_b32 v0, v0
	v_and_b32_e32 v1, 0x4000, v28
	v_cmp_ne_u32_e32 vcc, 0, v1
	s_and_b64 s[20:21], s[60:61], vcc
	s_and_saveexec_b64 s[18:19], s[20:21]
	s_cbranch_execz .LBB4_3216
; %bb.3198:                             ;   in Loop: Header=BB4_3153 Depth=1
	s_and_saveexec_b64 s[20:21], s[46:47]
	s_xor_b64 s[20:21], exec, s[20:21]
	s_cbranch_execz .LBB4_3213
; %bb.3199:                             ;   in Loop: Header=BB4_3153 Depth=1
	s_and_saveexec_b64 s[22:23], s[12:13]
	s_cbranch_execz .LBB4_3212
; %bb.3200:                             ;   in Loop: Header=BB4_3153 Depth=1
	s_mov_b64 s[26:27], exec
	v_mbcnt_lo_u32_b32 v1, s26, 0
	v_mbcnt_hi_u32_b32 v1, s27, v1
	v_cmp_eq_u32_e32 vcc, 0, v1
	s_waitcnt vmcnt(0) lgkmcnt(0)
	buffer_wbinvl1_vol
	s_and_saveexec_b64 s[24:25], vcc
	s_cbranch_execz .LBB4_3202
; %bb.3201:                             ;   in Loop: Header=BB4_3153 Depth=1
	s_bcnt1_i32_b64 s26, s[26:27]
	v_mov_b32_e32 v50, s26
	ds_add_u64 v0, v[50:51]
	s_trap 2
.LBB4_3202:                             ;   in Loop: Header=BB4_3153 Depth=1
	s_or_b64 exec, exec, s[24:25]
	s_trap 2
	ds_read_b64 v[1:2], v0
	s_waitcnt lgkmcnt(0)
	buffer_load_dword v10, off, s[0:3], s33 offset:60 ; 4-byte Folded Reload
	buffer_load_dword v11, off, s[0:3], s33 offset:64 ; 4-byte Folded Reload
	;; [unrolled: 1-line block ×3, first 2 shown]
	s_waitcnt vmcnt(0)
	v_add_co_u32_e32 v10, vcc, v10, v3
	v_addc_co_u32_e32 v11, vcc, 0, v11, vcc
	buffer_store_dword v10, off, s[0:3], s33 offset:60 ; 4-byte Folded Spill
	s_nop 0
	buffer_store_dword v11, off, s[0:3], s33 offset:64 ; 4-byte Folded Spill
	v_cmp_lt_u64_e32 vcc, v[1:2], v[10:11]
	s_and_saveexec_b64 s[24:25], vcc
	s_cbranch_execz .LBB4_3211
; %bb.3203:                             ;   in Loop: Header=BB4_3153 Depth=1
	s_mov_b32 s34, 0
	s_mov_b64 s[26:27], 0
                                        ; implicit-def: $sgpr90_sgpr91
                                        ; implicit-def: $sgpr92_sgpr93
	s_branch .LBB4_3205
.LBB4_3204:                             ;   in Loop: Header=BB4_3205 Depth=2
	s_or_b64 exec, exec, s[30:31]
	s_and_b64 s[94:95], exec, vcc
	s_or_b64 s[26:27], s[94:95], s[26:27]
	s_andn2_b64 s[90:91], s[90:91], exec
	s_and_b64 s[94:95], s[92:93], exec
	s_or_b64 s[90:91], s[90:91], s[94:95]
	s_andn2_b64 exec, exec, s[26:27]
	s_cbranch_execz .LBB4_3209
.LBB4_3205:                             ;   Parent Loop BB4_3153 Depth=1
                                        ; =>  This Inner Loop Header: Depth=2
	s_add_i32 s34, s34, 1
	s_cmpk_lg_i32 s34, 0x2710
	s_cselect_b64 s[94:95], -1, 0
	s_and_b64 vcc, exec, s[94:95]
	s_cbranch_vccz .LBB4_3207
; %bb.3206:                             ;   in Loop: Header=BB4_3205 Depth=2
	s_mov_b64 vcc, -1
	s_or_b64 s[92:93], s[92:93], exec
	s_and_saveexec_b64 s[30:31], s[94:95]
	s_cbranch_execz .LBB4_3204
	s_branch .LBB4_3208
.LBB4_3207:                             ;   in Loop: Header=BB4_3205 Depth=2
	s_trap 2
	ds_read_b64 v[1:2], v0
	s_andn2_b64 s[94:95], s[94:95], exec
	s_mov_b32 s34, 0
	s_waitcnt vmcnt(0) lgkmcnt(0)
	flat_load_dword v1, v[1:2] glc
	s_waitcnt vmcnt(0) lgkmcnt(0)
	buffer_wbinvl1_vol
	v_cmp_eq_u32_e32 vcc, 0, v1
	s_and_b64 vcc, vcc, exec
	s_or_b64 s[94:95], s[94:95], vcc
	s_mov_b64 vcc, -1
	s_or_b64 s[92:93], s[92:93], exec
	s_and_saveexec_b64 s[30:31], s[94:95]
	s_cbranch_execz .LBB4_3204
.LBB4_3208:                             ;   in Loop: Header=BB4_3205 Depth=2
	s_sleep 1
	s_trap 2
	ds_read_b64 v[1:2], v0
	s_waitcnt lgkmcnt(0)
	buffer_load_dword v10, off, s[0:3], s33 offset:60 ; 4-byte Folded Reload
	buffer_load_dword v11, off, s[0:3], s33 offset:64 ; 4-byte Folded Reload
	s_andn2_b64 s[92:93], s[92:93], exec
	s_waitcnt vmcnt(0)
	v_cmp_ge_u64_e32 vcc, v[1:2], v[10:11]
	s_orn2_b64 vcc, vcc, exec
	s_branch .LBB4_3204
.LBB4_3209:                             ;   in Loop: Header=BB4_3153 Depth=1
	s_or_b64 exec, exec, s[26:27]
	s_and_saveexec_b64 s[26:27], s[90:91]
	s_xor_b64 s[26:27], exec, s[26:27]
	s_cbranch_execz .LBB4_3211
; %bb.3210:                             ;   in Loop: Header=BB4_3153 Depth=1
	v_mov_b32_e32 v1, 1
	ds_write_b32 v0, v1
	s_trap 2
.LBB4_3211:                             ;   in Loop: Header=BB4_3153 Depth=1
	s_or_b64 exec, exec, s[24:25]
	;;#ASMSTART
	s_wakeup
	;;#ASMEND
.LBB4_3212:                             ;   in Loop: Header=BB4_3153 Depth=1
	s_or_b64 exec, exec, s[22:23]
.LBB4_3213:                             ;   in Loop: Header=BB4_3153 Depth=1
	s_andn2_saveexec_b64 s[20:21], s[20:21]
	s_cbranch_execz .LBB4_3215
; %bb.3214:                             ;   in Loop: Header=BB4_3153 Depth=1
	s_waitcnt vmcnt(0) lgkmcnt(0)
	buffer_wbinvl1_vol
	s_barrier
.LBB4_3215:                             ;   in Loop: Header=BB4_3153 Depth=1
	s_or_b64 exec, exec, s[20:21]
.LBB4_3216:                             ;   in Loop: Header=BB4_3153 Depth=1
	s_or_b64 exec, exec, s[18:19]
	s_trap 2
	s_waitcnt lgkmcnt(0)
	ds_read_b64 v[10:11], v0
	buffer_load_dword v1, off, s[0:3], s33 offset:120 ; 4-byte Folded Reload
	buffer_load_dword v2, off, s[0:3], s33 offset:124 ; 4-byte Folded Reload
	;; [unrolled: 1-line block ×3, first 2 shown]
	s_waitcnt lgkmcnt(0)
	v_cmp_eq_u64_e32 vcc, 0, v[10:11]
	s_waitcnt vmcnt(0)
	v_min_u32_e32 v2, v2, v1
	buffer_store_dword v2, off, s[0:3], s33 offset:80 ; 4-byte Folded Spill
	s_cbranch_vccnz .LBB4_3224
; %bb.3217:                             ;   in Loop: Header=BB4_3153 Depth=1
	buffer_store_dword v10, off, s[0:3], s33 offset:164 ; 4-byte Folded Spill
	s_nop 0
	buffer_store_dword v11, off, s[0:3], s33 offset:168 ; 4-byte Folded Spill
	s_trap 2
	ds_read_b64 v[56:57], v0
	s_waitcnt lgkmcnt(0)
	v_cmp_eq_u64_e32 vcc, 0, v[56:57]
	s_cbranch_vccnz .LBB4_3224
; %bb.3218:                             ;   in Loop: Header=BB4_3153 Depth=1
	s_trap 2
	ds_read_b64 v[1:2], v0
	s_mov_b64 s[20:21], -1
	s_waitcnt lgkmcnt(0)
	v_readfirstlane_b32 s64, v1
	s_and_saveexec_b64 s[18:19], s[14:15]
	s_cbranch_execz .LBB4_3220
; %bb.3219:                             ;   in Loop: Header=BB4_3153 Depth=1
	ds_read_b32 v1, v0 offset:720
	s_waitcnt lgkmcnt(0)
	v_and_b32_e32 v1, 15, v1
	v_cmp_eq_u32_e32 vcc, 0, v1
	s_orn2_b64 s[20:21], vcc, exec
.LBB4_3220:                             ;   in Loop: Header=BB4_3153 Depth=1
	s_or_b64 exec, exec, s[18:19]
	s_and_saveexec_b64 s[18:19], s[16:17]
	s_cbranch_execz .LBB4_3222
; %bb.3221:                             ;   in Loop: Header=BB4_3153 Depth=1
	ds_read_b32 v1, v0 offset:784
	s_waitcnt lgkmcnt(0)
	v_and_b32_e32 v1, 15, v1
	v_cmp_eq_u32_e32 vcc, 0, v1
	s_and_b64 s[22:23], s[20:21], vcc
	s_andn2_b64 s[20:21], s[20:21], exec
	s_and_b64 s[22:23], s[22:23], exec
	s_or_b64 s[20:21], s[20:21], s[22:23]
.LBB4_3222:                             ;   in Loop: Header=BB4_3153 Depth=1
	s_or_b64 exec, exec, s[18:19]
	v_cmp_eq_u32_e32 vcc, 0, v0
	buffer_load_dword v0, off, s[0:3], s33 offset:80 ; 4-byte Folded Reload
	buffer_load_dword v5, off, s[0:3], s33 offset:156 ; 4-byte Folded Reload
	s_xor_b64 s[20:21], s[20:21], -1
	s_mov_b64 s[18:19], -1
	v_mov_b32_e32 v4, 0
	s_waitcnt vmcnt(1)
	v_cndmask_b32_e32 v2, 0, v0, vcc
	v_cndmask_b32_e64 v0, 0, 1, s[20:21]
	v_cmp_ne_u32_e32 vcc, 0, v0
	buffer_store_dword v2, off, s[0:3], s33 offset:144 ; 4-byte Folded Spill
	s_cbranch_vccz .LBB4_3225
; %bb.3223:                             ;   in Loop: Header=BB4_3153 Depth=1
	s_and_saveexec_b64 s[24:25], s[18:19]
	s_cbranch_execnz .LBB4_5348
	s_branch .LBB4_6172
.LBB4_3224:                             ;   in Loop: Header=BB4_3153 Depth=1
	s_mov_b64 s[18:19], 0
	s_and_saveexec_b64 s[20:21], s[10:11]
	s_cbranch_execnz .LBB4_6173
	s_branch .LBB4_6191
.LBB4_3225:                             ;   in Loop: Header=BB4_3153 Depth=1
	buffer_load_dword v0, off, s[0:3], s33 offset:144 ; 4-byte Folded Reload
	buffer_load_dword v1, off, s[0:3], s33 offset:196 ; 4-byte Folded Reload
	s_waitcnt vmcnt(1)
	v_lshrrev_b32_e32 v0, 11, v0
	s_waitcnt vmcnt(0)
	v_sub_u32_e32 v41, v0, v1
	v_cmp_lt_i32_e32 vcc, 0, v41
	s_and_saveexec_b64 s[22:23], vcc
	s_cbranch_execz .LBB4_4637
; %bb.3226:                             ;   in Loop: Header=BB4_3153 Depth=1
	s_trap 2
	ds_read_b64 v[0:1], v0
	buffer_load_dword v2, off, s[0:3], s33 offset:212 ; 4-byte Folded Reload
	buffer_load_dword v10, off, s[0:3], s33 offset:164 ; 4-byte Folded Reload
	;; [unrolled: 1-line block ×3, first 2 shown]
	s_bitcmp1_b32 s64, 0
	s_mov_b64 s[24:25], 0
	s_cselect_b64 s[26:27], -1, 0
	s_waitcnt vmcnt(1)
	v_add_co_u32_e32 v44, vcc, v10, v2
	s_waitcnt vmcnt(0)
	v_addc_co_u32_e32 v45, vcc, 0, v11, vcc
	s_waitcnt lgkmcnt(0)
	v_add_co_u32_e32 v46, vcc, v0, v2
	v_addc_co_u32_e32 v47, vcc, 0, v1, vcc
	v_add_co_u32_e32 v55, vcc, v56, v2
	buffer_store_dword v56, off, s[0:3], s33 offset:200 ; 4-byte Folded Spill
	s_nop 0
	buffer_store_dword v57, off, s[0:3], s33 offset:204 ; 4-byte Folded Spill
	v_addc_co_u32_e32 v56, vcc, 0, v57, vcc
	s_branch .LBB4_3228
.LBB4_3227:                             ;   in Loop: Header=BB4_3228 Depth=2
	s_or_b64 exec, exec, s[18:19]
	v_lshl_or_b32 v11, v60, 8, v43
	v_lshlrev_b32_e32 v12, 16, v59
	v_lshlrev_b32_e32 v13, 24, v30
	v_or3_b32 v35, v11, v12, v13
	buffer_load_dword v11, off, s[0:3], s33 offset:88 ; 4-byte Folded Reload
	v_lshlrev_b32_e32 v12, 16, v5
	v_lshlrev_b32_e32 v13, 24, v42
	v_lshl_or_b32 v0, v0, 8, v29
	s_waitcnt vmcnt(0)
	v_lshl_or_b32 v11, v11, 8, v4
	v_or3_b32 v34, v11, v12, v13
	v_lshlrev_b32_e32 v11, 16, v36
	v_lshlrev_b32_e32 v12, 24, v37
	v_or3_b32 v36, v0, v11, v12
	v_lshlrev_b32_e32 v0, 24, v23
	v_lshlrev_b32_e32 v11, 16, v22
	v_lshl_or_b32 v12, v58, 8, v57
	v_or3_b32 v37, v12, v11, v0
	v_lshl_or_b32 v0, v31, 8, v21
	v_lshlrev_b32_e32 v11, 16, v20
	v_lshlrev_b32_e32 v12, 24, v26
	v_or3_b32 v12, v0, v11, v12
	v_lshl_or_b32 v0, v25, 8, v24
	v_lshlrev_b32_e32 v11, 16, v27
	v_lshlrev_b32_e32 v13, 24, v40
	;; [unrolled: 4-line block ×3, first 2 shown]
	v_or3_b32 v13, v0, v1, v2
	v_lshlrev_b32_e32 v0, 24, v10
	v_lshlrev_b32_e32 v1, 16, v14
	v_lshl_or_b32 v2, v19, 8, v18
	v_or3_b32 v14, v2, v1, v0
	global_store_dwordx4 v[55:56], v[34:37], off glc slc
	global_store_dwordx4 v[55:56], v[11:14], off offset:1024 glc slc
	buffer_load_dword v1, off, s[0:3], s33 offset:128 ; 4-byte Folded Reload
	buffer_load_dword v0, off, s[0:3], s33 offset:76 ; 4-byte Folded Reload
	s_waitcnt vmcnt(1)
	v_add_co_u32_e32 v44, vcc, v44, v1
	v_addc_co_u32_e32 v45, vcc, 0, v45, vcc
	v_add_co_u32_e32 v46, vcc, v46, v1
	v_addc_co_u32_e32 v47, vcc, 0, v47, vcc
	s_waitcnt vmcnt(0)
	v_sub_u32_e32 v41, v41, v0
	v_cmp_gt_i32_e32 vcc, 1, v41
	s_or_b64 s[24:25], vcc, s[24:25]
	v_add_co_u32_e32 v55, vcc, v55, v1
	v_addc_co_u32_e32 v56, vcc, 0, v56, vcc
	s_andn2_b64 exec, exec, s[24:25]
	s_cbranch_execz .LBB4_4636
.LBB4_3228:                             ;   Parent Loop BB4_3153 Depth=1
                                        ; =>  This Inner Loop Header: Depth=2
	global_load_dwordx4 v[22:25], v[44:45], off glc slc
	global_load_dwordx4 v[14:17], v[44:45], off offset:1024 glc slc
	global_load_dwordx4 v[18:21], v[46:47], off glc slc
	global_load_dwordx4 v[10:13], v[46:47], off offset:1024 glc slc
	s_mov_b64 s[20:21], -1
	s_and_b64 vcc, exec, s[26:27]
                                        ; implicit-def: $vgpr1
	s_waitcnt vmcnt(3)
	v_cmp_ne_u16_sdwa s[18:19], v22, v51 src0_sel:BYTE_0 src1_sel:DWORD
	s_cbranch_vccz .LBB4_3242
; %bb.3229:                             ;   in Loop: Header=BB4_3228 Depth=2
	v_mov_b32_e32 v1, 0
	v_mov_b32_e32 v0, 0
	s_and_saveexec_b64 s[20:21], s[18:19]
	s_cbranch_execz .LBB4_3235
; %bb.3230:                             ;   in Loop: Header=BB4_3228 Depth=2
	v_cmp_ne_u16_sdwa s[92:93], v22, s49 src0_sel:BYTE_0 src1_sel:DWORD
	v_bfrev_b32_e32 v0, 1
	s_and_saveexec_b64 s[90:91], s[92:93]
	s_cbranch_execz .LBB4_3234
; %bb.3231:                             ;   in Loop: Header=BB4_3228 Depth=2
	v_and_b32_e32 v2, 0x7f, v22
	v_cmp_ne_u32_e32 vcc, s51, v2
	v_mov_b32_e32 v0, 0x7f800001
	s_and_saveexec_b64 s[92:93], vcc
	s_cbranch_execz .LBB4_3233
; %bb.3232:                             ;   in Loop: Header=BB4_3228 Depth=2
	v_and_b32_e32 v0, 7, v22
	v_ffbh_u32_e32 v0, v0
	v_min_u32_e32 v0, 32, v0
	v_lshrrev_b32_e32 v3, 3, v2
	v_cmp_gt_u32_e32 vcc, 8, v2
	v_subrev_u32_e32 v2, 28, v0
	v_sub_u32_e32 v0, 29, v0
	v_cndmask_b32_e32 v2, 0, v2, vcc
	v_cndmask_b32_e32 v0, v3, v0, vcc
	v_lshlrev_b64 v[2:3], v2, v[22:23]
	v_lshlrev_b32_e32 v3, 24, v22
	v_lshlrev_b32_e32 v2, 20, v2
	v_and_b32_e32 v2, 0x700000, v2
	v_and_b32_e32 v3, 0x80000000, v3
	v_lshl_add_u32 v0, v0, 23, v62
	v_or3_b32 v0, v3, v0, v2
.LBB4_3233:                             ;   in Loop: Header=BB4_3228 Depth=2
	s_or_b64 exec, exec, s[92:93]
.LBB4_3234:                             ;   in Loop: Header=BB4_3228 Depth=2
	s_or_b64 exec, exec, s[90:91]
.LBB4_3235:                             ;   in Loop: Header=BB4_3228 Depth=2
	s_or_b64 exec, exec, s[20:21]
	s_waitcnt vmcnt(1)
	v_cmp_ne_u16_sdwa s[90:91], v18, v51 src0_sel:BYTE_0 src1_sel:DWORD
	s_and_saveexec_b64 s[20:21], s[90:91]
	s_cbranch_execz .LBB4_3241
; %bb.3236:                             ;   in Loop: Header=BB4_3228 Depth=2
	v_cmp_ne_u16_sdwa s[92:93], v18, s49 src0_sel:BYTE_0 src1_sel:DWORD
	v_bfrev_b32_e32 v1, 1
	s_and_saveexec_b64 s[90:91], s[92:93]
	s_cbranch_execz .LBB4_3240
; %bb.3237:                             ;   in Loop: Header=BB4_3228 Depth=2
	v_and_b32_e32 v2, 0x7f, v18
	v_cmp_ne_u32_e32 vcc, s51, v2
	v_mov_b32_e32 v1, 0x7f800001
	s_and_saveexec_b64 s[92:93], vcc
	s_cbranch_execz .LBB4_3239
; %bb.3238:                             ;   in Loop: Header=BB4_3228 Depth=2
	v_and_b32_e32 v1, 7, v18
	v_ffbh_u32_e32 v1, v1
	v_min_u32_e32 v1, 32, v1
	v_lshrrev_b32_e32 v3, 3, v2
	v_cmp_gt_u32_e32 vcc, 8, v2
	v_subrev_u32_e32 v2, 28, v1
	v_sub_u32_e32 v1, 29, v1
	v_cndmask_b32_e32 v3, v3, v1, vcc
	v_cndmask_b32_e32 v1, 0, v2, vcc
	v_lshlrev_b64 v[1:2], v1, v[18:19]
	v_lshlrev_b32_e32 v2, 24, v18
	v_lshlrev_b32_e32 v1, 20, v1
	v_and_b32_e32 v1, 0x700000, v1
	v_and_b32_e32 v2, 0x80000000, v2
	v_lshl_add_u32 v3, v3, 23, v62
	v_or3_b32 v1, v2, v3, v1
.LBB4_3239:                             ;   in Loop: Header=BB4_3228 Depth=2
	s_or_b64 exec, exec, s[92:93]
.LBB4_3240:                             ;   in Loop: Header=BB4_3228 Depth=2
	s_or_b64 exec, exec, s[90:91]
.LBB4_3241:                             ;   in Loop: Header=BB4_3228 Depth=2
	s_or_b64 exec, exec, s[20:21]
	v_max_f32_e32 v1, v1, v1
	v_max_f32_e32 v0, v0, v0
	;; [unrolled: 1-line block ×3, first 2 shown]
	s_mov_b64 s[20:21], 0
.LBB4_3242:                             ;   in Loop: Header=BB4_3228 Depth=2
	s_and_b64 vcc, exec, s[20:21]
	s_cbranch_vccz .LBB4_3256
; %bb.3243:                             ;   in Loop: Header=BB4_3228 Depth=2
	v_mov_b32_e32 v1, 0
	v_mov_b32_e32 v0, 0
	s_and_saveexec_b64 s[20:21], s[18:19]
	s_cbranch_execz .LBB4_3249
; %bb.3244:                             ;   in Loop: Header=BB4_3228 Depth=2
	v_cmp_ne_u16_sdwa s[90:91], v22, s49 src0_sel:BYTE_0 src1_sel:DWORD
	v_bfrev_b32_e32 v0, 1
	s_and_saveexec_b64 s[18:19], s[90:91]
	s_cbranch_execz .LBB4_3248
; %bb.3245:                             ;   in Loop: Header=BB4_3228 Depth=2
	v_and_b32_e32 v2, 0x7f, v22
	v_cmp_ne_u32_e32 vcc, s51, v2
	v_mov_b32_e32 v0, 0x7f800001
	s_and_saveexec_b64 s[90:91], vcc
	s_cbranch_execz .LBB4_3247
; %bb.3246:                             ;   in Loop: Header=BB4_3228 Depth=2
	v_and_b32_e32 v0, 7, v22
	v_ffbh_u32_e32 v0, v0
	v_min_u32_e32 v0, 32, v0
	v_lshrrev_b32_e32 v3, 3, v2
	v_cmp_gt_u32_e32 vcc, 8, v2
	v_subrev_u32_e32 v2, 28, v0
	v_sub_u32_e32 v0, 29, v0
	v_cndmask_b32_e32 v2, 0, v2, vcc
	v_cndmask_b32_e32 v0, v3, v0, vcc
	v_lshlrev_b64 v[2:3], v2, v[22:23]
	v_lshlrev_b32_e32 v3, 24, v22
	v_lshlrev_b32_e32 v2, 20, v2
	v_and_b32_e32 v2, 0x700000, v2
	v_and_b32_e32 v3, 0x80000000, v3
	v_lshl_add_u32 v0, v0, 23, v62
	v_or3_b32 v0, v3, v0, v2
.LBB4_3247:                             ;   in Loop: Header=BB4_3228 Depth=2
	s_or_b64 exec, exec, s[90:91]
.LBB4_3248:                             ;   in Loop: Header=BB4_3228 Depth=2
	s_or_b64 exec, exec, s[18:19]
.LBB4_3249:                             ;   in Loop: Header=BB4_3228 Depth=2
	s_or_b64 exec, exec, s[20:21]
	s_waitcnt vmcnt(1)
	v_cmp_ne_u16_sdwa s[20:21], v18, v51 src0_sel:BYTE_0 src1_sel:DWORD
	s_and_saveexec_b64 s[18:19], s[20:21]
	s_cbranch_execz .LBB4_3255
; %bb.3250:                             ;   in Loop: Header=BB4_3228 Depth=2
	v_cmp_ne_u16_sdwa s[90:91], v18, s49 src0_sel:BYTE_0 src1_sel:DWORD
	v_bfrev_b32_e32 v1, 1
	s_and_saveexec_b64 s[20:21], s[90:91]
	s_cbranch_execz .LBB4_3254
; %bb.3251:                             ;   in Loop: Header=BB4_3228 Depth=2
	v_and_b32_e32 v2, 0x7f, v18
	v_cmp_ne_u32_e32 vcc, s51, v2
	v_mov_b32_e32 v1, 0x7f800001
	s_and_saveexec_b64 s[90:91], vcc
	s_cbranch_execz .LBB4_3253
; %bb.3252:                             ;   in Loop: Header=BB4_3228 Depth=2
	v_and_b32_e32 v1, 7, v18
	v_ffbh_u32_e32 v1, v1
	v_min_u32_e32 v1, 32, v1
	v_lshrrev_b32_e32 v3, 3, v2
	v_cmp_gt_u32_e32 vcc, 8, v2
	v_subrev_u32_e32 v2, 28, v1
	v_sub_u32_e32 v1, 29, v1
	v_cndmask_b32_e32 v3, v3, v1, vcc
	v_cndmask_b32_e32 v1, 0, v2, vcc
	v_lshlrev_b64 v[1:2], v1, v[18:19]
	v_lshlrev_b32_e32 v2, 24, v18
	v_lshlrev_b32_e32 v1, 20, v1
	v_and_b32_e32 v1, 0x700000, v1
	v_and_b32_e32 v2, 0x80000000, v2
	v_lshl_add_u32 v3, v3, 23, v62
	v_or3_b32 v1, v2, v3, v1
.LBB4_3253:                             ;   in Loop: Header=BB4_3228 Depth=2
	s_or_b64 exec, exec, s[90:91]
.LBB4_3254:                             ;   in Loop: Header=BB4_3228 Depth=2
	s_or_b64 exec, exec, s[20:21]
.LBB4_3255:                             ;   in Loop: Header=BB4_3228 Depth=2
	s_or_b64 exec, exec, s[18:19]
	v_max_f32_e32 v1, v1, v1
	v_max_f32_e32 v0, v0, v0
	v_min_f32_e32 v1, v0, v1
.LBB4_3256:                             ;   in Loop: Header=BB4_3228 Depth=2
	v_and_b32_e32 v50, 0x7f800000, v1
	v_cmp_ne_u64_e32 vcc, s[62:63], v[50:51]
                                        ; implicit-def: $vgpr4
	s_and_saveexec_b64 s[18:19], vcc
	s_xor_b64 s[20:21], exec, s[18:19]
	s_cbranch_execz .LBB4_3270
; %bb.3257:                             ;   in Loop: Header=BB4_3228 Depth=2
	v_and_b32_e32 v50, 0x7fffffff, v1
	v_cmp_gt_u64_e32 vcc, s[72:73], v[50:51]
	v_and_b32_sdwa v0, v1, s49 dst_sel:DWORD dst_unused:UNUSED_PAD src0_sel:BYTE_3 src1_sel:DWORD
                                        ; implicit-def: $vgpr4
	s_and_saveexec_b64 s[18:19], vcc
	s_xor_b64 s[90:91], exec, s[18:19]
	s_cbranch_execz .LBB4_3267
; %bb.3258:                             ;   in Loop: Header=BB4_3228 Depth=2
	v_mov_b32_e32 v4, 0
	v_cmp_ne_u32_e32 vcc, 0, v1
	s_and_saveexec_b64 s[92:93], vcc
	s_cbranch_execz .LBB4_3266
; %bb.3259:                             ;   in Loop: Header=BB4_3228 Depth=2
	v_and_b32_e32 v3, 0x7fffff, v1
	v_bfe_u32 v1, v1, 23, 8
	v_cmp_gt_u32_e64 s[18:19], s53, v1
	v_sub_u32_e32 v2, 0x79, v1
	v_cmp_eq_u32_e32 vcc, 0, v1
	v_cndmask_b32_e64 v2, 0, v2, s[18:19]
	v_mov_b32_e32 v27, 0x78
	v_or_b32_e32 v26, 0x800000, v3
	v_cndmask_b32_e32 v2, v2, v27, vcc
	v_cndmask_b32_e32 v50, v26, v3, vcc
	v_add_u32_e32 v3, 20, v2
	v_lshlrev_b64 v[26:27], v3, -1
	v_add_u32_e32 v3, 19, v2
	v_lshlrev_b64 v[29:30], v3, 1
	v_lshrrev_b64 v[57:58], v2, v[50:51]
	v_bfi_b32 v27, v27, 0, 0
	v_bfi_b32 v26, v26, 0, v50
	v_cmp_eq_u64_e64 s[18:19], v[26:27], v[29:30]
	v_mov_b32_e32 v59, v58
	v_mov_b32_e32 v58, v57
	s_and_saveexec_b64 s[94:95], s[18:19]
; %bb.3260:                             ;   in Loop: Header=BB4_3228 Depth=2
	v_bfe_u32 v3, v57, 20, 1
	v_add_co_u32_e64 v3, s[18:19], v57, v3
	v_add_co_u32_e64 v58, s[18:19], -1, v3
; %bb.3261:                             ;   in Loop: Header=BB4_3228 Depth=2
	s_or_b64 exec, exec, s[94:95]
	v_add_u32_e32 v1, 0xffffff81, v1
	v_cndmask_b32_e32 v1, v1, v49, vcc
	v_lshrrev_b32_e32 v3, 23, v57
	v_add3_u32 v3, v2, v1, v3
	v_add_u32_e32 v2, 6, v3
	v_and_b32_e32 v1, 0xfffff, v58
	v_add_u32_e32 v50, v1, v57
	v_cmp_ne_u32_e32 vcc, 0, v2
                                        ; implicit-def: $vgpr57_vgpr58
                                        ; implicit-def: $vgpr1
	s_and_saveexec_b64 s[18:19], vcc
	s_xor_b64 s[18:19], exec, s[18:19]
; %bb.3262:                             ;   in Loop: Header=BB4_3228 Depth=2
	v_cmp_lt_u64_e32 vcc, s[74:75], v[50:51]
	v_add_u32_e32 v1, 7, v3
	v_cndmask_b32_e32 v1, v2, v1, vcc
	v_cndmask_b32_e64 v2, 0, 1, vcc
	v_lshrrev_b64 v[57:58], v2, v[50:51]
; %bb.3263:                             ;   in Loop: Header=BB4_3228 Depth=2
	s_andn2_saveexec_b64 s[18:19], s[18:19]
; %bb.3264:                             ;   in Loop: Header=BB4_3228 Depth=2
	v_mov_b32_e32 v58, v51
	v_bfe_u32 v1, v50, 23, 1
	v_mov_b32_e32 v57, v50
; %bb.3265:                             ;   in Loop: Header=BB4_3228 Depth=2
	s_or_b64 exec, exec, s[18:19]
	v_lshrrev_b64 v[2:3], 20, v[57:58]
	v_cmp_gt_i32_e32 vcc, 16, v1
	v_cndmask_b32_e32 v3, 0, v3, vcc
	v_cndmask_b32_e32 v2, 7, v2, vcc
	v_cmp_eq_u32_e32 vcc, 0, v1
	v_min_i32_e32 v1, 15, v1
	v_cmp_eq_u64_e64 s[18:19], 0, v[2:3]
	v_lshlrev_b32_e32 v1, 3, v1
	v_and_b32_e32 v1, 0xf8, v1
	v_and_or_b32 v1, v2, 7, v1
	s_and_b64 s[18:19], vcc, s[18:19]
	v_cndmask_b32_e64 v1, v1, 0, s[18:19]
	v_or_b32_e32 v4, v1, v0
.LBB4_3266:                             ;   in Loop: Header=BB4_3228 Depth=2
	s_or_b64 exec, exec, s[92:93]
                                        ; implicit-def: $vgpr0
.LBB4_3267:                             ;   in Loop: Header=BB4_3228 Depth=2
	s_andn2_saveexec_b64 s[18:19], s[90:91]
; %bb.3268:                             ;   in Loop: Header=BB4_3228 Depth=2
	v_or_b32_e32 v4, 0x7e, v0
; %bb.3269:                             ;   in Loop: Header=BB4_3228 Depth=2
	s_or_b64 exec, exec, s[18:19]
                                        ; implicit-def: $vgpr1
.LBB4_3270:                             ;   in Loop: Header=BB4_3228 Depth=2
	s_andn2_saveexec_b64 s[18:19], s[20:21]
; %bb.3271:                             ;   in Loop: Header=BB4_3228 Depth=2
	v_or_b32_sdwa v4, v1, s51 dst_sel:DWORD dst_unused:UNUSED_PAD src0_sel:BYTE_3 src1_sel:DWORD
; %bb.3272:                             ;   in Loop: Header=BB4_3228 Depth=2
	s_or_b64 exec, exec, s[18:19]
	v_lshrrev_b16_e32 v50, 8, v22
	s_waitcnt vmcnt(1)
	v_lshrrev_b16_e32 v30, 8, v18
	v_cmp_ne_u16_e64 s[18:19], 0, v50
	s_mov_b64 s[20:21], -1
	s_and_b64 vcc, exec, s[26:27]
                                        ; implicit-def: $vgpr1
	s_cbranch_vccz .LBB4_3286
; %bb.3273:                             ;   in Loop: Header=BB4_3228 Depth=2
	v_mov_b32_e32 v1, 0
	v_mov_b32_e32 v0, 0
	s_and_saveexec_b64 s[20:21], s[18:19]
	s_cbranch_execz .LBB4_3279
; %bb.3274:                             ;   in Loop: Header=BB4_3228 Depth=2
	v_cmp_ne_u16_e32 vcc, s49, v50
	v_bfrev_b32_e32 v0, 1
	s_and_saveexec_b64 s[90:91], vcc
	s_cbranch_execz .LBB4_3278
; %bb.3275:                             ;   in Loop: Header=BB4_3228 Depth=2
	v_and_b32_e32 v2, 0x7f, v50
	v_cmp_ne_u32_e32 vcc, s51, v2
	v_mov_b32_e32 v0, 0x7f800001
	s_and_saveexec_b64 s[92:93], vcc
	s_cbranch_execz .LBB4_3277
; %bb.3276:                             ;   in Loop: Header=BB4_3228 Depth=2
	v_and_b32_e32 v0, 7, v50
	v_lshrrev_b32_e32 v26, 3, v2
	v_cmp_gt_u32_e32 vcc, 8, v2
	v_ffbh_u32_e32 v2, v0
	v_min_u32_e32 v27, 32, v2
	v_subrev_u32_e32 v2, 28, v27
	v_lshlrev_b64 v[2:3], v2, v[50:51]
	v_sub_u32_e32 v3, 29, v27
	v_and_b32_e32 v2, 7, v2
	v_cndmask_b32_e32 v3, v26, v3, vcc
	v_cndmask_b32_e32 v0, v0, v2, vcc
	v_lshlrev_b32_e32 v2, 16, v22
	v_lshlrev_b32_e32 v0, 20, v0
	v_and_b32_e32 v2, 0x80000000, v2
	v_lshl_add_u32 v3, v3, 23, v62
	v_or3_b32 v0, v2, v3, v0
.LBB4_3277:                             ;   in Loop: Header=BB4_3228 Depth=2
	s_or_b64 exec, exec, s[92:93]
.LBB4_3278:                             ;   in Loop: Header=BB4_3228 Depth=2
	s_or_b64 exec, exec, s[90:91]
.LBB4_3279:                             ;   in Loop: Header=BB4_3228 Depth=2
	s_or_b64 exec, exec, s[20:21]
	v_cmp_ne_u16_e32 vcc, 0, v30
	s_and_saveexec_b64 s[20:21], vcc
	s_cbranch_execz .LBB4_3285
; %bb.3280:                             ;   in Loop: Header=BB4_3228 Depth=2
	v_cmp_ne_u16_e32 vcc, s49, v30
	v_bfrev_b32_e32 v1, 1
	s_and_saveexec_b64 s[90:91], vcc
	s_cbranch_execz .LBB4_3284
; %bb.3281:                             ;   in Loop: Header=BB4_3228 Depth=2
	v_and_b32_e32 v2, 0x7f, v30
	v_cmp_ne_u32_e32 vcc, s51, v2
	v_mov_b32_e32 v1, 0x7f800001
	s_and_saveexec_b64 s[92:93], vcc
	s_cbranch_execz .LBB4_3283
; %bb.3282:                             ;   in Loop: Header=BB4_3228 Depth=2
	v_and_b32_e32 v3, 7, v30
	v_ffbh_u32_e32 v1, v3
	v_min_u32_e32 v27, 32, v1
	v_subrev_u32_e32 v1, 28, v27
	v_lshrrev_b32_e32 v26, 3, v2
	v_cmp_gt_u32_e32 vcc, 8, v2
	v_lshlrev_b64 v[1:2], v1, v[30:31]
	v_sub_u32_e32 v2, 29, v27
	v_and_b32_e32 v1, 7, v1
	v_cndmask_b32_e32 v2, v26, v2, vcc
	v_cndmask_b32_e32 v1, v3, v1, vcc
	v_lshlrev_b32_e32 v3, 16, v18
	v_lshlrev_b32_e32 v1, 20, v1
	v_and_b32_e32 v3, 0x80000000, v3
	v_lshl_add_u32 v2, v2, 23, v62
	v_or3_b32 v1, v3, v2, v1
.LBB4_3283:                             ;   in Loop: Header=BB4_3228 Depth=2
	s_or_b64 exec, exec, s[92:93]
.LBB4_3284:                             ;   in Loop: Header=BB4_3228 Depth=2
	s_or_b64 exec, exec, s[90:91]
.LBB4_3285:                             ;   in Loop: Header=BB4_3228 Depth=2
	s_or_b64 exec, exec, s[20:21]
	v_max_f32_e32 v1, v1, v1
	v_max_f32_e32 v0, v0, v0
	;; [unrolled: 1-line block ×3, first 2 shown]
	s_mov_b64 s[20:21], 0
.LBB4_3286:                             ;   in Loop: Header=BB4_3228 Depth=2
	s_and_b64 vcc, exec, s[20:21]
	s_cbranch_vccz .LBB4_3300
; %bb.3287:                             ;   in Loop: Header=BB4_3228 Depth=2
	v_mov_b32_e32 v1, 0
	v_mov_b32_e32 v0, 0
	s_and_saveexec_b64 s[20:21], s[18:19]
	s_cbranch_execz .LBB4_3293
; %bb.3288:                             ;   in Loop: Header=BB4_3228 Depth=2
	v_cmp_ne_u16_e32 vcc, s49, v50
	v_bfrev_b32_e32 v0, 1
	s_and_saveexec_b64 s[18:19], vcc
	s_cbranch_execz .LBB4_3292
; %bb.3289:                             ;   in Loop: Header=BB4_3228 Depth=2
	v_and_b32_e32 v2, 0x7f, v50
	v_cmp_ne_u32_e32 vcc, s51, v2
	v_mov_b32_e32 v0, 0x7f800001
	s_and_saveexec_b64 s[90:91], vcc
	s_cbranch_execz .LBB4_3291
; %bb.3290:                             ;   in Loop: Header=BB4_3228 Depth=2
	v_and_b32_e32 v0, 7, v50
	v_lshrrev_b32_e32 v26, 3, v2
	v_cmp_gt_u32_e32 vcc, 8, v2
	v_ffbh_u32_e32 v2, v0
	v_min_u32_e32 v27, 32, v2
	v_subrev_u32_e32 v2, 28, v27
	v_lshlrev_b64 v[2:3], v2, v[50:51]
	v_sub_u32_e32 v3, 29, v27
	v_and_b32_e32 v2, 7, v2
	v_cndmask_b32_e32 v3, v26, v3, vcc
	v_cndmask_b32_e32 v0, v0, v2, vcc
	v_lshlrev_b32_e32 v2, 16, v22
	v_lshlrev_b32_e32 v0, 20, v0
	v_and_b32_e32 v2, 0x80000000, v2
	v_lshl_add_u32 v3, v3, 23, v62
	v_or3_b32 v0, v2, v3, v0
.LBB4_3291:                             ;   in Loop: Header=BB4_3228 Depth=2
	s_or_b64 exec, exec, s[90:91]
.LBB4_3292:                             ;   in Loop: Header=BB4_3228 Depth=2
	s_or_b64 exec, exec, s[18:19]
.LBB4_3293:                             ;   in Loop: Header=BB4_3228 Depth=2
	s_or_b64 exec, exec, s[20:21]
	v_cmp_ne_u16_e32 vcc, 0, v30
	s_and_saveexec_b64 s[18:19], vcc
	s_cbranch_execz .LBB4_3299
; %bb.3294:                             ;   in Loop: Header=BB4_3228 Depth=2
	v_cmp_ne_u16_e32 vcc, s49, v30
	v_bfrev_b32_e32 v1, 1
	s_and_saveexec_b64 s[20:21], vcc
	s_cbranch_execz .LBB4_3298
; %bb.3295:                             ;   in Loop: Header=BB4_3228 Depth=2
	v_and_b32_e32 v2, 0x7f, v30
	v_cmp_ne_u32_e32 vcc, s51, v2
	v_mov_b32_e32 v1, 0x7f800001
	s_and_saveexec_b64 s[90:91], vcc
	s_cbranch_execz .LBB4_3297
; %bb.3296:                             ;   in Loop: Header=BB4_3228 Depth=2
	v_and_b32_e32 v3, 7, v30
	v_ffbh_u32_e32 v1, v3
	v_min_u32_e32 v27, 32, v1
	v_subrev_u32_e32 v1, 28, v27
	v_lshrrev_b32_e32 v26, 3, v2
	v_cmp_gt_u32_e32 vcc, 8, v2
	v_lshlrev_b64 v[1:2], v1, v[30:31]
	v_sub_u32_e32 v2, 29, v27
	v_and_b32_e32 v1, 7, v1
	v_cndmask_b32_e32 v2, v26, v2, vcc
	v_cndmask_b32_e32 v1, v3, v1, vcc
	v_lshlrev_b32_e32 v3, 16, v18
	v_lshlrev_b32_e32 v1, 20, v1
	v_and_b32_e32 v3, 0x80000000, v3
	v_lshl_add_u32 v2, v2, 23, v62
	v_or3_b32 v1, v3, v2, v1
.LBB4_3297:                             ;   in Loop: Header=BB4_3228 Depth=2
	s_or_b64 exec, exec, s[90:91]
.LBB4_3298:                             ;   in Loop: Header=BB4_3228 Depth=2
	s_or_b64 exec, exec, s[20:21]
.LBB4_3299:                             ;   in Loop: Header=BB4_3228 Depth=2
	s_or_b64 exec, exec, s[18:19]
	v_max_f32_e32 v1, v1, v1
	v_max_f32_e32 v0, v0, v0
	v_min_f32_e32 v1, v0, v1
.LBB4_3300:                             ;   in Loop: Header=BB4_3228 Depth=2
	v_and_b32_e32 v50, 0x7f800000, v1
	v_cmp_ne_u64_e32 vcc, s[62:63], v[50:51]
                                        ; implicit-def: $vgpr5
	s_and_saveexec_b64 s[18:19], vcc
	s_xor_b64 s[20:21], exec, s[18:19]
	s_cbranch_execz .LBB4_3314
; %bb.3301:                             ;   in Loop: Header=BB4_3228 Depth=2
	v_and_b32_e32 v50, 0x7fffffff, v1
	v_cmp_gt_u64_e32 vcc, s[72:73], v[50:51]
	v_and_b32_sdwa v0, v1, s49 dst_sel:DWORD dst_unused:UNUSED_PAD src0_sel:BYTE_3 src1_sel:DWORD
                                        ; implicit-def: $vgpr5
	s_and_saveexec_b64 s[18:19], vcc
	s_xor_b64 s[90:91], exec, s[18:19]
	s_cbranch_execz .LBB4_3311
; %bb.3302:                             ;   in Loop: Header=BB4_3228 Depth=2
	v_mov_b32_e32 v5, 0
	v_cmp_ne_u32_e32 vcc, 0, v1
	s_and_saveexec_b64 s[92:93], vcc
	s_cbranch_execz .LBB4_3310
; %bb.3303:                             ;   in Loop: Header=BB4_3228 Depth=2
	v_and_b32_e32 v3, 0x7fffff, v1
	v_bfe_u32 v1, v1, 23, 8
	v_cmp_gt_u32_e64 s[18:19], s53, v1
	v_sub_u32_e32 v2, 0x79, v1
	v_cmp_eq_u32_e32 vcc, 0, v1
	v_cndmask_b32_e64 v2, 0, v2, s[18:19]
	v_mov_b32_e32 v27, 0x78
	v_or_b32_e32 v26, 0x800000, v3
	v_cndmask_b32_e32 v2, v2, v27, vcc
	v_cndmask_b32_e32 v50, v26, v3, vcc
	v_add_u32_e32 v3, 20, v2
	v_lshlrev_b64 v[26:27], v3, -1
	v_add_u32_e32 v3, 19, v2
	v_lshlrev_b64 v[29:30], v3, 1
	v_lshrrev_b64 v[57:58], v2, v[50:51]
	v_bfi_b32 v27, v27, 0, 0
	v_bfi_b32 v26, v26, 0, v50
	v_cmp_eq_u64_e64 s[18:19], v[26:27], v[29:30]
	v_mov_b32_e32 v59, v58
	v_mov_b32_e32 v58, v57
	s_and_saveexec_b64 s[94:95], s[18:19]
; %bb.3304:                             ;   in Loop: Header=BB4_3228 Depth=2
	v_bfe_u32 v3, v57, 20, 1
	v_add_co_u32_e64 v3, s[18:19], v57, v3
	v_add_co_u32_e64 v58, s[18:19], -1, v3
; %bb.3305:                             ;   in Loop: Header=BB4_3228 Depth=2
	s_or_b64 exec, exec, s[94:95]
	v_add_u32_e32 v1, 0xffffff81, v1
	v_cndmask_b32_e32 v1, v1, v49, vcc
	v_lshrrev_b32_e32 v3, 23, v57
	v_add3_u32 v3, v2, v1, v3
	v_add_u32_e32 v2, 6, v3
	v_and_b32_e32 v1, 0xfffff, v58
	v_add_u32_e32 v50, v1, v57
	v_cmp_ne_u32_e32 vcc, 0, v2
                                        ; implicit-def: $vgpr57_vgpr58
                                        ; implicit-def: $vgpr1
	s_and_saveexec_b64 s[18:19], vcc
	s_xor_b64 s[18:19], exec, s[18:19]
; %bb.3306:                             ;   in Loop: Header=BB4_3228 Depth=2
	v_cmp_lt_u64_e32 vcc, s[74:75], v[50:51]
	v_add_u32_e32 v1, 7, v3
	v_cndmask_b32_e32 v1, v2, v1, vcc
	v_cndmask_b32_e64 v2, 0, 1, vcc
	v_lshrrev_b64 v[57:58], v2, v[50:51]
; %bb.3307:                             ;   in Loop: Header=BB4_3228 Depth=2
	s_andn2_saveexec_b64 s[18:19], s[18:19]
; %bb.3308:                             ;   in Loop: Header=BB4_3228 Depth=2
	v_mov_b32_e32 v58, v51
	v_bfe_u32 v1, v50, 23, 1
	v_mov_b32_e32 v57, v50
; %bb.3309:                             ;   in Loop: Header=BB4_3228 Depth=2
	s_or_b64 exec, exec, s[18:19]
	v_lshrrev_b64 v[2:3], 20, v[57:58]
	v_cmp_gt_i32_e32 vcc, 16, v1
	v_cndmask_b32_e32 v3, 0, v3, vcc
	v_cndmask_b32_e32 v2, 7, v2, vcc
	v_cmp_eq_u32_e32 vcc, 0, v1
	v_min_i32_e32 v1, 15, v1
	v_cmp_eq_u64_e64 s[18:19], 0, v[2:3]
	v_lshlrev_b32_e32 v1, 3, v1
	v_and_b32_e32 v1, 0xf8, v1
	v_and_or_b32 v1, v2, 7, v1
	s_and_b64 s[18:19], vcc, s[18:19]
	v_cndmask_b32_e64 v1, v1, 0, s[18:19]
	v_or_b32_e32 v5, v1, v0
.LBB4_3310:                             ;   in Loop: Header=BB4_3228 Depth=2
	s_or_b64 exec, exec, s[92:93]
                                        ; implicit-def: $vgpr0
.LBB4_3311:                             ;   in Loop: Header=BB4_3228 Depth=2
	s_andn2_saveexec_b64 s[18:19], s[90:91]
; %bb.3312:                             ;   in Loop: Header=BB4_3228 Depth=2
	v_or_b32_e32 v5, 0x7e, v0
; %bb.3313:                             ;   in Loop: Header=BB4_3228 Depth=2
	s_or_b64 exec, exec, s[18:19]
                                        ; implicit-def: $vgpr1
.LBB4_3314:                             ;   in Loop: Header=BB4_3228 Depth=2
	s_andn2_saveexec_b64 s[18:19], s[20:21]
; %bb.3315:                             ;   in Loop: Header=BB4_3228 Depth=2
	v_or_b32_sdwa v5, v1, s51 dst_sel:DWORD dst_unused:UNUSED_PAD src0_sel:BYTE_3 src1_sel:DWORD
; %bb.3316:                             ;   in Loop: Header=BB4_3228 Depth=2
	s_or_b64 exec, exec, s[18:19]
	v_lshrrev_b32_e32 v50, 16, v22
	v_lshrrev_b32_e32 v30, 16, v18
	v_cmp_ne_u16_sdwa s[18:19], v50, v51 src0_sel:BYTE_0 src1_sel:DWORD
	s_mov_b64 s[20:21], -1
	s_and_b64 vcc, exec, s[26:27]
                                        ; implicit-def: $vgpr1
	s_cbranch_vccz .LBB4_3330
; %bb.3317:                             ;   in Loop: Header=BB4_3228 Depth=2
	v_mov_b32_e32 v1, 0
	v_mov_b32_e32 v0, 0
	s_and_saveexec_b64 s[20:21], s[18:19]
	s_cbranch_execz .LBB4_3323
; %bb.3318:                             ;   in Loop: Header=BB4_3228 Depth=2
	v_cmp_ne_u16_sdwa s[92:93], v50, s49 src0_sel:BYTE_0 src1_sel:DWORD
	v_bfrev_b32_e32 v0, 1
	s_and_saveexec_b64 s[90:91], s[92:93]
	s_cbranch_execz .LBB4_3322
; %bb.3319:                             ;   in Loop: Header=BB4_3228 Depth=2
	v_bfe_u32 v2, v22, 16, 7
	v_cmp_ne_u32_e32 vcc, s51, v2
	v_mov_b32_e32 v0, 0x7f800001
	s_and_saveexec_b64 s[92:93], vcc
	s_cbranch_execz .LBB4_3321
; %bb.3320:                             ;   in Loop: Header=BB4_3228 Depth=2
	v_and_b32_e32 v0, 7, v50
	v_lshrrev_b32_e32 v26, 3, v2
	v_cmp_gt_u32_e32 vcc, 8, v2
	v_ffbh_u32_e32 v2, v0
	v_min_u32_e32 v27, 32, v2
	v_subrev_u32_e32 v2, 28, v27
	v_lshlrev_b64 v[2:3], v2, v[50:51]
	v_sub_u32_e32 v3, 29, v27
	v_and_b32_e32 v2, 7, v2
	v_cndmask_b32_e32 v3, v26, v3, vcc
	v_cndmask_b32_e32 v0, v0, v2, vcc
	v_lshlrev_b32_e32 v2, 24, v50
	v_lshlrev_b32_e32 v0, 20, v0
	v_and_b32_e32 v2, 0x80000000, v2
	v_lshl_add_u32 v3, v3, 23, v62
	v_or3_b32 v0, v2, v3, v0
.LBB4_3321:                             ;   in Loop: Header=BB4_3228 Depth=2
	s_or_b64 exec, exec, s[92:93]
.LBB4_3322:                             ;   in Loop: Header=BB4_3228 Depth=2
	s_or_b64 exec, exec, s[90:91]
.LBB4_3323:                             ;   in Loop: Header=BB4_3228 Depth=2
	s_or_b64 exec, exec, s[20:21]
	v_cmp_ne_u16_sdwa s[90:91], v30, v51 src0_sel:BYTE_0 src1_sel:DWORD
	s_and_saveexec_b64 s[20:21], s[90:91]
	s_cbranch_execz .LBB4_3329
; %bb.3324:                             ;   in Loop: Header=BB4_3228 Depth=2
	v_cmp_ne_u16_sdwa s[92:93], v30, s49 src0_sel:BYTE_0 src1_sel:DWORD
	v_bfrev_b32_e32 v1, 1
	s_and_saveexec_b64 s[90:91], s[92:93]
	s_cbranch_execz .LBB4_3328
; %bb.3325:                             ;   in Loop: Header=BB4_3228 Depth=2
	v_bfe_u32 v2, v18, 16, 7
	v_cmp_ne_u32_e32 vcc, s51, v2
	v_mov_b32_e32 v1, 0x7f800001
	s_and_saveexec_b64 s[92:93], vcc
	s_cbranch_execz .LBB4_3327
; %bb.3326:                             ;   in Loop: Header=BB4_3228 Depth=2
	v_and_b32_e32 v3, 7, v30
	v_ffbh_u32_e32 v1, v3
	v_min_u32_e32 v27, 32, v1
	v_subrev_u32_e32 v1, 28, v27
	v_lshrrev_b32_e32 v26, 3, v2
	v_cmp_gt_u32_e32 vcc, 8, v2
	v_lshlrev_b64 v[1:2], v1, v[30:31]
	v_sub_u32_e32 v2, 29, v27
	v_and_b32_e32 v1, 7, v1
	v_cndmask_b32_e32 v2, v26, v2, vcc
	v_cndmask_b32_e32 v1, v3, v1, vcc
	v_lshlrev_b32_e32 v3, 24, v30
	v_lshlrev_b32_e32 v1, 20, v1
	v_and_b32_e32 v3, 0x80000000, v3
	v_lshl_add_u32 v2, v2, 23, v62
	v_or3_b32 v1, v3, v2, v1
.LBB4_3327:                             ;   in Loop: Header=BB4_3228 Depth=2
	s_or_b64 exec, exec, s[92:93]
.LBB4_3328:                             ;   in Loop: Header=BB4_3228 Depth=2
	s_or_b64 exec, exec, s[90:91]
.LBB4_3329:                             ;   in Loop: Header=BB4_3228 Depth=2
	s_or_b64 exec, exec, s[20:21]
	v_max_f32_e32 v1, v1, v1
	v_max_f32_e32 v0, v0, v0
	;; [unrolled: 1-line block ×3, first 2 shown]
	s_mov_b64 s[20:21], 0
.LBB4_3330:                             ;   in Loop: Header=BB4_3228 Depth=2
	s_and_b64 vcc, exec, s[20:21]
	s_cbranch_vccz .LBB4_3344
; %bb.3331:                             ;   in Loop: Header=BB4_3228 Depth=2
	v_mov_b32_e32 v1, 0
	v_mov_b32_e32 v0, 0
	s_and_saveexec_b64 s[20:21], s[18:19]
	s_cbranch_execz .LBB4_3337
; %bb.3332:                             ;   in Loop: Header=BB4_3228 Depth=2
	v_cmp_ne_u16_sdwa s[90:91], v50, s49 src0_sel:BYTE_0 src1_sel:DWORD
	v_bfrev_b32_e32 v0, 1
	s_and_saveexec_b64 s[18:19], s[90:91]
	s_cbranch_execz .LBB4_3336
; %bb.3333:                             ;   in Loop: Header=BB4_3228 Depth=2
	v_bfe_u32 v2, v22, 16, 7
	v_cmp_ne_u32_e32 vcc, s51, v2
	v_mov_b32_e32 v0, 0x7f800001
	s_and_saveexec_b64 s[90:91], vcc
	s_cbranch_execz .LBB4_3335
; %bb.3334:                             ;   in Loop: Header=BB4_3228 Depth=2
	v_and_b32_e32 v0, 7, v50
	v_lshrrev_b32_e32 v26, 3, v2
	v_cmp_gt_u32_e32 vcc, 8, v2
	v_ffbh_u32_e32 v2, v0
	v_min_u32_e32 v27, 32, v2
	v_subrev_u32_e32 v2, 28, v27
	v_lshlrev_b64 v[2:3], v2, v[50:51]
	v_sub_u32_e32 v3, 29, v27
	v_and_b32_e32 v2, 7, v2
	v_cndmask_b32_e32 v3, v26, v3, vcc
	v_cndmask_b32_e32 v0, v0, v2, vcc
	v_lshlrev_b32_e32 v2, 24, v50
	v_lshlrev_b32_e32 v0, 20, v0
	v_and_b32_e32 v2, 0x80000000, v2
	v_lshl_add_u32 v3, v3, 23, v62
	v_or3_b32 v0, v2, v3, v0
.LBB4_3335:                             ;   in Loop: Header=BB4_3228 Depth=2
	s_or_b64 exec, exec, s[90:91]
.LBB4_3336:                             ;   in Loop: Header=BB4_3228 Depth=2
	s_or_b64 exec, exec, s[18:19]
.LBB4_3337:                             ;   in Loop: Header=BB4_3228 Depth=2
	s_or_b64 exec, exec, s[20:21]
	v_cmp_ne_u16_sdwa s[20:21], v30, v51 src0_sel:BYTE_0 src1_sel:DWORD
	s_and_saveexec_b64 s[18:19], s[20:21]
	s_cbranch_execz .LBB4_3343
; %bb.3338:                             ;   in Loop: Header=BB4_3228 Depth=2
	v_cmp_ne_u16_sdwa s[90:91], v30, s49 src0_sel:BYTE_0 src1_sel:DWORD
	v_bfrev_b32_e32 v1, 1
	s_and_saveexec_b64 s[20:21], s[90:91]
	s_cbranch_execz .LBB4_3342
; %bb.3339:                             ;   in Loop: Header=BB4_3228 Depth=2
	v_bfe_u32 v2, v18, 16, 7
	v_cmp_ne_u32_e32 vcc, s51, v2
	v_mov_b32_e32 v1, 0x7f800001
	s_and_saveexec_b64 s[90:91], vcc
	s_cbranch_execz .LBB4_3341
; %bb.3340:                             ;   in Loop: Header=BB4_3228 Depth=2
	v_and_b32_e32 v3, 7, v30
	v_ffbh_u32_e32 v1, v3
	v_min_u32_e32 v27, 32, v1
	v_subrev_u32_e32 v1, 28, v27
	v_lshrrev_b32_e32 v26, 3, v2
	v_cmp_gt_u32_e32 vcc, 8, v2
	v_lshlrev_b64 v[1:2], v1, v[30:31]
	v_sub_u32_e32 v2, 29, v27
	v_and_b32_e32 v1, 7, v1
	v_cndmask_b32_e32 v2, v26, v2, vcc
	v_cndmask_b32_e32 v1, v3, v1, vcc
	v_lshlrev_b32_e32 v3, 24, v30
	v_lshlrev_b32_e32 v1, 20, v1
	v_and_b32_e32 v3, 0x80000000, v3
	v_lshl_add_u32 v2, v2, 23, v62
	v_or3_b32 v1, v3, v2, v1
.LBB4_3341:                             ;   in Loop: Header=BB4_3228 Depth=2
	s_or_b64 exec, exec, s[90:91]
.LBB4_3342:                             ;   in Loop: Header=BB4_3228 Depth=2
	s_or_b64 exec, exec, s[20:21]
.LBB4_3343:                             ;   in Loop: Header=BB4_3228 Depth=2
	s_or_b64 exec, exec, s[18:19]
	v_max_f32_e32 v1, v1, v1
	v_max_f32_e32 v0, v0, v0
	v_min_f32_e32 v1, v0, v1
.LBB4_3344:                             ;   in Loop: Header=BB4_3228 Depth=2
	v_and_b32_e32 v50, 0x7f800000, v1
	v_cmp_ne_u64_e32 vcc, s[62:63], v[50:51]
	buffer_store_dword v5, off, s[0:3], s33 offset:88 ; 4-byte Folded Spill
                                        ; implicit-def: $vgpr5
	s_and_saveexec_b64 s[18:19], vcc
	s_xor_b64 s[20:21], exec, s[18:19]
	s_cbranch_execz .LBB4_3358
; %bb.3345:                             ;   in Loop: Header=BB4_3228 Depth=2
	v_and_b32_e32 v50, 0x7fffffff, v1
	v_cmp_gt_u64_e32 vcc, s[72:73], v[50:51]
	v_and_b32_sdwa v0, v1, s49 dst_sel:DWORD dst_unused:UNUSED_PAD src0_sel:BYTE_3 src1_sel:DWORD
                                        ; implicit-def: $vgpr5
	s_and_saveexec_b64 s[18:19], vcc
	s_xor_b64 s[90:91], exec, s[18:19]
	s_cbranch_execz .LBB4_3355
; %bb.3346:                             ;   in Loop: Header=BB4_3228 Depth=2
	v_mov_b32_e32 v5, 0
	v_cmp_ne_u32_e32 vcc, 0, v1
	s_and_saveexec_b64 s[92:93], vcc
	s_cbranch_execz .LBB4_3354
; %bb.3347:                             ;   in Loop: Header=BB4_3228 Depth=2
	v_and_b32_e32 v3, 0x7fffff, v1
	v_bfe_u32 v1, v1, 23, 8
	v_cmp_gt_u32_e64 s[18:19], s53, v1
	v_sub_u32_e32 v2, 0x79, v1
	v_cmp_eq_u32_e32 vcc, 0, v1
	v_cndmask_b32_e64 v2, 0, v2, s[18:19]
	v_mov_b32_e32 v27, 0x78
	v_or_b32_e32 v26, 0x800000, v3
	v_cndmask_b32_e32 v2, v2, v27, vcc
	v_cndmask_b32_e32 v50, v26, v3, vcc
	v_add_u32_e32 v3, 20, v2
	v_lshlrev_b64 v[26:27], v3, -1
	v_add_u32_e32 v3, 19, v2
	v_lshlrev_b64 v[29:30], v3, 1
	v_lshrrev_b64 v[57:58], v2, v[50:51]
	v_bfi_b32 v27, v27, 0, 0
	v_bfi_b32 v26, v26, 0, v50
	v_cmp_eq_u64_e64 s[18:19], v[26:27], v[29:30]
	v_mov_b32_e32 v59, v58
	v_mov_b32_e32 v58, v57
	s_and_saveexec_b64 s[94:95], s[18:19]
; %bb.3348:                             ;   in Loop: Header=BB4_3228 Depth=2
	v_bfe_u32 v3, v57, 20, 1
	v_add_co_u32_e64 v3, s[18:19], v57, v3
	v_add_co_u32_e64 v58, s[18:19], -1, v3
; %bb.3349:                             ;   in Loop: Header=BB4_3228 Depth=2
	s_or_b64 exec, exec, s[94:95]
	v_add_u32_e32 v1, 0xffffff81, v1
	v_cndmask_b32_e32 v1, v1, v49, vcc
	v_lshrrev_b32_e32 v3, 23, v57
	v_add3_u32 v3, v2, v1, v3
	v_add_u32_e32 v2, 6, v3
	v_and_b32_e32 v1, 0xfffff, v58
	v_add_u32_e32 v50, v1, v57
	v_cmp_ne_u32_e32 vcc, 0, v2
                                        ; implicit-def: $vgpr57_vgpr58
                                        ; implicit-def: $vgpr1
	s_and_saveexec_b64 s[18:19], vcc
	s_xor_b64 s[18:19], exec, s[18:19]
; %bb.3350:                             ;   in Loop: Header=BB4_3228 Depth=2
	v_cmp_lt_u64_e32 vcc, s[74:75], v[50:51]
	v_add_u32_e32 v1, 7, v3
	v_cndmask_b32_e32 v1, v2, v1, vcc
	v_cndmask_b32_e64 v2, 0, 1, vcc
	v_lshrrev_b64 v[57:58], v2, v[50:51]
; %bb.3351:                             ;   in Loop: Header=BB4_3228 Depth=2
	s_andn2_saveexec_b64 s[18:19], s[18:19]
; %bb.3352:                             ;   in Loop: Header=BB4_3228 Depth=2
	v_mov_b32_e32 v58, v51
	v_bfe_u32 v1, v50, 23, 1
	v_mov_b32_e32 v57, v50
; %bb.3353:                             ;   in Loop: Header=BB4_3228 Depth=2
	s_or_b64 exec, exec, s[18:19]
	v_lshrrev_b64 v[2:3], 20, v[57:58]
	v_cmp_gt_i32_e32 vcc, 16, v1
	v_cndmask_b32_e32 v3, 0, v3, vcc
	v_cndmask_b32_e32 v2, 7, v2, vcc
	v_cmp_eq_u32_e32 vcc, 0, v1
	v_min_i32_e32 v1, 15, v1
	v_cmp_eq_u64_e64 s[18:19], 0, v[2:3]
	v_lshlrev_b32_e32 v1, 3, v1
	v_and_b32_e32 v1, 0xf8, v1
	v_and_or_b32 v1, v2, 7, v1
	s_and_b64 s[18:19], vcc, s[18:19]
	v_cndmask_b32_e64 v1, v1, 0, s[18:19]
	v_or_b32_e32 v5, v1, v0
.LBB4_3354:                             ;   in Loop: Header=BB4_3228 Depth=2
	s_or_b64 exec, exec, s[92:93]
                                        ; implicit-def: $vgpr0
.LBB4_3355:                             ;   in Loop: Header=BB4_3228 Depth=2
	s_andn2_saveexec_b64 s[18:19], s[90:91]
; %bb.3356:                             ;   in Loop: Header=BB4_3228 Depth=2
	v_or_b32_e32 v5, 0x7e, v0
; %bb.3357:                             ;   in Loop: Header=BB4_3228 Depth=2
	s_or_b64 exec, exec, s[18:19]
                                        ; implicit-def: $vgpr1
.LBB4_3358:                             ;   in Loop: Header=BB4_3228 Depth=2
	s_andn2_saveexec_b64 s[18:19], s[20:21]
; %bb.3359:                             ;   in Loop: Header=BB4_3228 Depth=2
	v_or_b32_sdwa v5, v1, s51 dst_sel:DWORD dst_unused:UNUSED_PAD src0_sel:BYTE_3 src1_sel:DWORD
; %bb.3360:                             ;   in Loop: Header=BB4_3228 Depth=2
	s_or_b64 exec, exec, s[18:19]
	v_lshrrev_b32_e32 v50, 24, v22
	v_lshrrev_b32_e32 v30, 24, v18
	v_cmp_lt_u32_e64 s[18:19], s77, v22
	s_mov_b64 s[20:21], -1
	s_and_b64 vcc, exec, s[26:27]
                                        ; implicit-def: $vgpr1
	s_cbranch_vccz .LBB4_3374
; %bb.3361:                             ;   in Loop: Header=BB4_3228 Depth=2
	v_mov_b32_e32 v1, 0
	v_mov_b32_e32 v0, 0
	s_and_saveexec_b64 s[20:21], s[18:19]
	s_cbranch_execz .LBB4_3367
; %bb.3362:                             ;   in Loop: Header=BB4_3228 Depth=2
	v_cmp_ne_u32_e32 vcc, s49, v50
	v_bfrev_b32_e32 v0, 1
	s_and_saveexec_b64 s[90:91], vcc
	s_cbranch_execz .LBB4_3366
; %bb.3363:                             ;   in Loop: Header=BB4_3228 Depth=2
	v_bfe_u32 v2, v22, 24, 7
	v_cmp_ne_u32_e32 vcc, s51, v2
	v_mov_b32_e32 v0, 0x7f800001
	s_and_saveexec_b64 s[92:93], vcc
	s_cbranch_execz .LBB4_3365
; %bb.3364:                             ;   in Loop: Header=BB4_3228 Depth=2
	v_and_b32_e32 v0, 7, v50
	v_lshrrev_b32_e32 v26, 3, v2
	v_cmp_gt_u32_e32 vcc, 8, v2
	v_ffbh_u32_e32 v2, v0
	v_min_u32_e32 v27, 32, v2
	v_subrev_u32_e32 v2, 28, v27
	v_lshlrev_b64 v[2:3], v2, v[50:51]
	v_sub_u32_e32 v3, 29, v27
	v_and_b32_e32 v2, 7, v2
	v_cndmask_b32_e32 v3, v26, v3, vcc
	v_cndmask_b32_e32 v0, v0, v2, vcc
	v_lshlrev_b32_e32 v2, 24, v50
	v_lshlrev_b32_e32 v0, 20, v0
	v_and_b32_e32 v2, 0x80000000, v2
	v_lshl_add_u32 v3, v3, 23, v62
	v_or3_b32 v0, v2, v3, v0
.LBB4_3365:                             ;   in Loop: Header=BB4_3228 Depth=2
	s_or_b64 exec, exec, s[92:93]
.LBB4_3366:                             ;   in Loop: Header=BB4_3228 Depth=2
	s_or_b64 exec, exec, s[90:91]
.LBB4_3367:                             ;   in Loop: Header=BB4_3228 Depth=2
	s_or_b64 exec, exec, s[20:21]
	v_cmp_lt_u32_e32 vcc, s77, v18
	s_and_saveexec_b64 s[20:21], vcc
	s_cbranch_execz .LBB4_3373
; %bb.3368:                             ;   in Loop: Header=BB4_3228 Depth=2
	v_cmp_ne_u32_e32 vcc, s49, v30
	v_bfrev_b32_e32 v1, 1
	s_and_saveexec_b64 s[90:91], vcc
	s_cbranch_execz .LBB4_3372
; %bb.3369:                             ;   in Loop: Header=BB4_3228 Depth=2
	v_bfe_u32 v2, v18, 24, 7
	v_cmp_ne_u32_e32 vcc, s51, v2
	v_mov_b32_e32 v1, 0x7f800001
	s_and_saveexec_b64 s[92:93], vcc
	s_cbranch_execz .LBB4_3371
; %bb.3370:                             ;   in Loop: Header=BB4_3228 Depth=2
	v_and_b32_e32 v3, 7, v30
	v_ffbh_u32_e32 v1, v3
	v_min_u32_e32 v27, 32, v1
	v_subrev_u32_e32 v1, 28, v27
	v_lshrrev_b32_e32 v26, 3, v2
	v_cmp_gt_u32_e32 vcc, 8, v2
	v_lshlrev_b64 v[1:2], v1, v[30:31]
	v_sub_u32_e32 v2, 29, v27
	v_and_b32_e32 v1, 7, v1
	v_cndmask_b32_e32 v2, v26, v2, vcc
	v_cndmask_b32_e32 v1, v3, v1, vcc
	v_lshlrev_b32_e32 v3, 24, v30
	v_lshlrev_b32_e32 v1, 20, v1
	v_and_b32_e32 v3, 0x80000000, v3
	v_lshl_add_u32 v2, v2, 23, v62
	v_or3_b32 v1, v3, v2, v1
.LBB4_3371:                             ;   in Loop: Header=BB4_3228 Depth=2
	s_or_b64 exec, exec, s[92:93]
.LBB4_3372:                             ;   in Loop: Header=BB4_3228 Depth=2
	s_or_b64 exec, exec, s[90:91]
.LBB4_3373:                             ;   in Loop: Header=BB4_3228 Depth=2
	s_or_b64 exec, exec, s[20:21]
	v_max_f32_e32 v1, v1, v1
	v_max_f32_e32 v0, v0, v0
	;; [unrolled: 1-line block ×3, first 2 shown]
	s_mov_b64 s[20:21], 0
.LBB4_3374:                             ;   in Loop: Header=BB4_3228 Depth=2
	s_and_b64 vcc, exec, s[20:21]
	s_cbranch_vccz .LBB4_3388
; %bb.3375:                             ;   in Loop: Header=BB4_3228 Depth=2
	v_mov_b32_e32 v1, 0
	v_mov_b32_e32 v0, 0
	s_and_saveexec_b64 s[20:21], s[18:19]
	s_cbranch_execz .LBB4_3381
; %bb.3376:                             ;   in Loop: Header=BB4_3228 Depth=2
	v_cmp_ne_u32_e32 vcc, s49, v50
	v_bfrev_b32_e32 v0, 1
	s_and_saveexec_b64 s[18:19], vcc
	s_cbranch_execz .LBB4_3380
; %bb.3377:                             ;   in Loop: Header=BB4_3228 Depth=2
	v_bfe_u32 v2, v22, 24, 7
	v_cmp_ne_u32_e32 vcc, s51, v2
	v_mov_b32_e32 v0, 0x7f800001
	s_and_saveexec_b64 s[90:91], vcc
	s_cbranch_execz .LBB4_3379
; %bb.3378:                             ;   in Loop: Header=BB4_3228 Depth=2
	v_and_b32_e32 v0, 7, v50
	v_lshrrev_b32_e32 v26, 3, v2
	v_cmp_gt_u32_e32 vcc, 8, v2
	v_ffbh_u32_e32 v2, v0
	v_min_u32_e32 v27, 32, v2
	v_subrev_u32_e32 v2, 28, v27
	v_lshlrev_b64 v[2:3], v2, v[50:51]
	v_sub_u32_e32 v3, 29, v27
	v_and_b32_e32 v2, 7, v2
	v_cndmask_b32_e32 v3, v26, v3, vcc
	v_cndmask_b32_e32 v0, v0, v2, vcc
	v_lshlrev_b32_e32 v2, 24, v50
	v_lshlrev_b32_e32 v0, 20, v0
	v_and_b32_e32 v2, 0x80000000, v2
	v_lshl_add_u32 v3, v3, 23, v62
	v_or3_b32 v0, v2, v3, v0
.LBB4_3379:                             ;   in Loop: Header=BB4_3228 Depth=2
	s_or_b64 exec, exec, s[90:91]
.LBB4_3380:                             ;   in Loop: Header=BB4_3228 Depth=2
	s_or_b64 exec, exec, s[18:19]
.LBB4_3381:                             ;   in Loop: Header=BB4_3228 Depth=2
	s_or_b64 exec, exec, s[20:21]
	v_cmp_lt_u32_e32 vcc, s77, v18
	s_and_saveexec_b64 s[18:19], vcc
	s_cbranch_execz .LBB4_3387
; %bb.3382:                             ;   in Loop: Header=BB4_3228 Depth=2
	v_cmp_ne_u32_e32 vcc, s49, v30
	v_bfrev_b32_e32 v1, 1
	s_and_saveexec_b64 s[20:21], vcc
	s_cbranch_execz .LBB4_3386
; %bb.3383:                             ;   in Loop: Header=BB4_3228 Depth=2
	v_bfe_u32 v2, v18, 24, 7
	v_cmp_ne_u32_e32 vcc, s51, v2
	v_mov_b32_e32 v1, 0x7f800001
	s_and_saveexec_b64 s[90:91], vcc
	s_cbranch_execz .LBB4_3385
; %bb.3384:                             ;   in Loop: Header=BB4_3228 Depth=2
	v_and_b32_e32 v3, 7, v30
	v_ffbh_u32_e32 v1, v3
	v_min_u32_e32 v27, 32, v1
	v_subrev_u32_e32 v1, 28, v27
	v_lshrrev_b32_e32 v26, 3, v2
	v_cmp_gt_u32_e32 vcc, 8, v2
	v_lshlrev_b64 v[1:2], v1, v[30:31]
	v_sub_u32_e32 v2, 29, v27
	v_and_b32_e32 v1, 7, v1
	v_cndmask_b32_e32 v2, v26, v2, vcc
	v_cndmask_b32_e32 v1, v3, v1, vcc
	v_lshlrev_b32_e32 v3, 24, v30
	v_lshlrev_b32_e32 v1, 20, v1
	v_and_b32_e32 v3, 0x80000000, v3
	v_lshl_add_u32 v2, v2, 23, v62
	v_or3_b32 v1, v3, v2, v1
.LBB4_3385:                             ;   in Loop: Header=BB4_3228 Depth=2
	s_or_b64 exec, exec, s[90:91]
.LBB4_3386:                             ;   in Loop: Header=BB4_3228 Depth=2
	s_or_b64 exec, exec, s[20:21]
.LBB4_3387:                             ;   in Loop: Header=BB4_3228 Depth=2
	s_or_b64 exec, exec, s[18:19]
	v_max_f32_e32 v1, v1, v1
	v_max_f32_e32 v0, v0, v0
	v_min_f32_e32 v1, v0, v1
.LBB4_3388:                             ;   in Loop: Header=BB4_3228 Depth=2
	v_and_b32_e32 v50, 0x7f800000, v1
	v_cmp_ne_u64_e32 vcc, s[62:63], v[50:51]
                                        ; implicit-def: $vgpr42
	s_and_saveexec_b64 s[18:19], vcc
	s_xor_b64 s[20:21], exec, s[18:19]
	s_cbranch_execz .LBB4_3402
; %bb.3389:                             ;   in Loop: Header=BB4_3228 Depth=2
	v_and_b32_e32 v50, 0x7fffffff, v1
	v_cmp_gt_u64_e32 vcc, s[72:73], v[50:51]
	v_and_b32_sdwa v0, v1, s49 dst_sel:DWORD dst_unused:UNUSED_PAD src0_sel:BYTE_3 src1_sel:DWORD
                                        ; implicit-def: $vgpr42
	s_and_saveexec_b64 s[18:19], vcc
	s_xor_b64 s[90:91], exec, s[18:19]
	s_cbranch_execz .LBB4_3399
; %bb.3390:                             ;   in Loop: Header=BB4_3228 Depth=2
	v_mov_b32_e32 v42, 0
	v_cmp_ne_u32_e32 vcc, 0, v1
	s_and_saveexec_b64 s[92:93], vcc
	s_cbranch_execz .LBB4_3398
; %bb.3391:                             ;   in Loop: Header=BB4_3228 Depth=2
	v_and_b32_e32 v3, 0x7fffff, v1
	v_bfe_u32 v1, v1, 23, 8
	v_cmp_gt_u32_e64 s[18:19], s53, v1
	v_sub_u32_e32 v2, 0x79, v1
	v_cmp_eq_u32_e32 vcc, 0, v1
	v_cndmask_b32_e64 v2, 0, v2, s[18:19]
	v_mov_b32_e32 v27, 0x78
	v_or_b32_e32 v26, 0x800000, v3
	v_cndmask_b32_e32 v2, v2, v27, vcc
	v_cndmask_b32_e32 v50, v26, v3, vcc
	v_add_u32_e32 v3, 20, v2
	v_lshlrev_b64 v[26:27], v3, -1
	v_add_u32_e32 v3, 19, v2
	v_lshlrev_b64 v[29:30], v3, 1
	v_lshrrev_b64 v[57:58], v2, v[50:51]
	v_bfi_b32 v27, v27, 0, 0
	v_bfi_b32 v26, v26, 0, v50
	v_cmp_eq_u64_e64 s[18:19], v[26:27], v[29:30]
	v_mov_b32_e32 v59, v58
	v_mov_b32_e32 v58, v57
	s_and_saveexec_b64 s[94:95], s[18:19]
; %bb.3392:                             ;   in Loop: Header=BB4_3228 Depth=2
	v_bfe_u32 v3, v57, 20, 1
	v_add_co_u32_e64 v3, s[18:19], v57, v3
	v_add_co_u32_e64 v58, s[18:19], -1, v3
; %bb.3393:                             ;   in Loop: Header=BB4_3228 Depth=2
	s_or_b64 exec, exec, s[94:95]
	v_add_u32_e32 v1, 0xffffff81, v1
	v_cndmask_b32_e32 v1, v1, v49, vcc
	v_lshrrev_b32_e32 v3, 23, v57
	v_add3_u32 v3, v2, v1, v3
	v_add_u32_e32 v2, 6, v3
	v_and_b32_e32 v1, 0xfffff, v58
	v_add_u32_e32 v50, v1, v57
	v_cmp_ne_u32_e32 vcc, 0, v2
                                        ; implicit-def: $vgpr57_vgpr58
                                        ; implicit-def: $vgpr1
	s_and_saveexec_b64 s[18:19], vcc
	s_xor_b64 s[18:19], exec, s[18:19]
; %bb.3394:                             ;   in Loop: Header=BB4_3228 Depth=2
	v_cmp_lt_u64_e32 vcc, s[74:75], v[50:51]
	v_add_u32_e32 v1, 7, v3
	v_cndmask_b32_e32 v1, v2, v1, vcc
	v_cndmask_b32_e64 v2, 0, 1, vcc
	v_lshrrev_b64 v[57:58], v2, v[50:51]
; %bb.3395:                             ;   in Loop: Header=BB4_3228 Depth=2
	s_andn2_saveexec_b64 s[18:19], s[18:19]
; %bb.3396:                             ;   in Loop: Header=BB4_3228 Depth=2
	v_mov_b32_e32 v58, v51
	v_bfe_u32 v1, v50, 23, 1
	v_mov_b32_e32 v57, v50
; %bb.3397:                             ;   in Loop: Header=BB4_3228 Depth=2
	s_or_b64 exec, exec, s[18:19]
	v_lshrrev_b64 v[2:3], 20, v[57:58]
	v_cmp_gt_i32_e32 vcc, 16, v1
	v_cndmask_b32_e32 v3, 0, v3, vcc
	v_cndmask_b32_e32 v2, 7, v2, vcc
	v_cmp_eq_u32_e32 vcc, 0, v1
	v_min_i32_e32 v1, 15, v1
	v_cmp_eq_u64_e64 s[18:19], 0, v[2:3]
	v_lshlrev_b32_e32 v1, 3, v1
	v_and_b32_e32 v1, 0xf8, v1
	v_and_or_b32 v1, v2, 7, v1
	s_and_b64 s[18:19], vcc, s[18:19]
	v_cndmask_b32_e64 v1, v1, 0, s[18:19]
	v_or_b32_e32 v42, v1, v0
.LBB4_3398:                             ;   in Loop: Header=BB4_3228 Depth=2
	s_or_b64 exec, exec, s[92:93]
                                        ; implicit-def: $vgpr0
.LBB4_3399:                             ;   in Loop: Header=BB4_3228 Depth=2
	s_andn2_saveexec_b64 s[18:19], s[90:91]
; %bb.3400:                             ;   in Loop: Header=BB4_3228 Depth=2
	v_or_b32_e32 v42, 0x7e, v0
; %bb.3401:                             ;   in Loop: Header=BB4_3228 Depth=2
	s_or_b64 exec, exec, s[18:19]
                                        ; implicit-def: $vgpr1
.LBB4_3402:                             ;   in Loop: Header=BB4_3228 Depth=2
	s_andn2_saveexec_b64 s[18:19], s[20:21]
; %bb.3403:                             ;   in Loop: Header=BB4_3228 Depth=2
	v_or_b32_sdwa v42, v1, s51 dst_sel:DWORD dst_unused:UNUSED_PAD src0_sel:BYTE_3 src1_sel:DWORD
; %bb.3404:                             ;   in Loop: Header=BB4_3228 Depth=2
	s_or_b64 exec, exec, s[18:19]
	v_mov_b32_e32 v50, v23
	v_mov_b32_e32 v57, v19
	;; [unrolled: 1-line block ×3, first 2 shown]
	v_cmp_ne_u16_sdwa s[18:19], v23, v51 src0_sel:BYTE_0 src1_sel:DWORD
	s_mov_b64 s[20:21], -1
	s_and_b64 vcc, exec, s[26:27]
                                        ; implicit-def: $vgpr1
	s_cbranch_vccz .LBB4_3418
; %bb.3405:                             ;   in Loop: Header=BB4_3228 Depth=2
	v_mov_b32_e32 v1, 0
	v_mov_b32_e32 v0, 0
	s_and_saveexec_b64 s[20:21], s[18:19]
	s_cbranch_execz .LBB4_3411
; %bb.3406:                             ;   in Loop: Header=BB4_3228 Depth=2
	v_cmp_ne_u16_sdwa s[92:93], v23, s49 src0_sel:BYTE_0 src1_sel:DWORD
	v_bfrev_b32_e32 v0, 1
	s_and_saveexec_b64 s[90:91], s[92:93]
	s_cbranch_execz .LBB4_3410
; %bb.3407:                             ;   in Loop: Header=BB4_3228 Depth=2
	v_and_b32_e32 v2, 0x7f, v23
	v_cmp_ne_u32_e32 vcc, s51, v2
	v_mov_b32_e32 v0, 0x7f800001
	s_and_saveexec_b64 s[92:93], vcc
	s_cbranch_execz .LBB4_3409
; %bb.3408:                             ;   in Loop: Header=BB4_3228 Depth=2
	v_and_b32_e32 v0, 7, v23
	v_ffbh_u32_e32 v0, v0
	v_min_u32_e32 v0, 32, v0
	v_lshrrev_b32_e32 v3, 3, v2
	v_cmp_gt_u32_e32 vcc, 8, v2
	v_subrev_u32_e32 v2, 28, v0
	v_sub_u32_e32 v0, 29, v0
	v_cndmask_b32_e32 v2, 0, v2, vcc
	v_cndmask_b32_e32 v0, v3, v0, vcc
	v_lshlrev_b64 v[2:3], v2, v[50:51]
	v_lshlrev_b32_e32 v3, 24, v50
	v_lshlrev_b32_e32 v2, 20, v2
	v_and_b32_e32 v2, 0x700000, v2
	v_and_b32_e32 v3, 0x80000000, v3
	v_lshl_add_u32 v0, v0, 23, v62
	v_or3_b32 v0, v3, v0, v2
.LBB4_3409:                             ;   in Loop: Header=BB4_3228 Depth=2
	s_or_b64 exec, exec, s[92:93]
.LBB4_3410:                             ;   in Loop: Header=BB4_3228 Depth=2
	s_or_b64 exec, exec, s[90:91]
.LBB4_3411:                             ;   in Loop: Header=BB4_3228 Depth=2
	s_or_b64 exec, exec, s[20:21]
	v_cmp_ne_u16_sdwa s[90:91], v19, v51 src0_sel:BYTE_0 src1_sel:DWORD
	s_and_saveexec_b64 s[20:21], s[90:91]
	s_cbranch_execz .LBB4_3417
; %bb.3412:                             ;   in Loop: Header=BB4_3228 Depth=2
	v_cmp_ne_u16_sdwa s[92:93], v19, s49 src0_sel:BYTE_0 src1_sel:DWORD
	v_bfrev_b32_e32 v1, 1
	s_and_saveexec_b64 s[90:91], s[92:93]
	s_cbranch_execz .LBB4_3416
; %bb.3413:                             ;   in Loop: Header=BB4_3228 Depth=2
	v_and_b32_e32 v2, 0x7f, v19
	v_cmp_ne_u32_e32 vcc, s51, v2
	v_mov_b32_e32 v1, 0x7f800001
	s_and_saveexec_b64 s[92:93], vcc
	s_cbranch_execz .LBB4_3415
; %bb.3414:                             ;   in Loop: Header=BB4_3228 Depth=2
	v_and_b32_e32 v1, 7, v19
	v_ffbh_u32_e32 v1, v1
	v_min_u32_e32 v1, 32, v1
	v_lshrrev_b32_e32 v3, 3, v2
	v_cmp_gt_u32_e32 vcc, 8, v2
	v_subrev_u32_e32 v2, 28, v1
	v_sub_u32_e32 v1, 29, v1
	v_cndmask_b32_e32 v3, v3, v1, vcc
	v_cndmask_b32_e32 v1, 0, v2, vcc
	v_lshlrev_b64 v[1:2], v1, v[57:58]
	v_lshlrev_b32_e32 v2, 24, v57
	v_lshlrev_b32_e32 v1, 20, v1
	v_and_b32_e32 v1, 0x700000, v1
	v_and_b32_e32 v2, 0x80000000, v2
	v_lshl_add_u32 v3, v3, 23, v62
	v_or3_b32 v1, v2, v3, v1
.LBB4_3415:                             ;   in Loop: Header=BB4_3228 Depth=2
	s_or_b64 exec, exec, s[92:93]
.LBB4_3416:                             ;   in Loop: Header=BB4_3228 Depth=2
	s_or_b64 exec, exec, s[90:91]
.LBB4_3417:                             ;   in Loop: Header=BB4_3228 Depth=2
	s_or_b64 exec, exec, s[20:21]
	v_max_f32_e32 v1, v1, v1
	v_max_f32_e32 v0, v0, v0
	;; [unrolled: 1-line block ×3, first 2 shown]
	s_mov_b64 s[20:21], 0
.LBB4_3418:                             ;   in Loop: Header=BB4_3228 Depth=2
	s_and_b64 vcc, exec, s[20:21]
	s_cbranch_vccz .LBB4_3432
; %bb.3419:                             ;   in Loop: Header=BB4_3228 Depth=2
	v_mov_b32_e32 v1, 0
	v_mov_b32_e32 v0, 0
	s_and_saveexec_b64 s[20:21], s[18:19]
	s_cbranch_execz .LBB4_3425
; %bb.3420:                             ;   in Loop: Header=BB4_3228 Depth=2
	v_cmp_ne_u16_sdwa s[90:91], v23, s49 src0_sel:BYTE_0 src1_sel:DWORD
	v_bfrev_b32_e32 v0, 1
	s_and_saveexec_b64 s[18:19], s[90:91]
	s_cbranch_execz .LBB4_3424
; %bb.3421:                             ;   in Loop: Header=BB4_3228 Depth=2
	v_and_b32_e32 v2, 0x7f, v23
	v_cmp_ne_u32_e32 vcc, s51, v2
	v_mov_b32_e32 v0, 0x7f800001
	s_and_saveexec_b64 s[90:91], vcc
	s_cbranch_execz .LBB4_3423
; %bb.3422:                             ;   in Loop: Header=BB4_3228 Depth=2
	v_and_b32_e32 v0, 7, v23
	v_ffbh_u32_e32 v0, v0
	v_min_u32_e32 v0, 32, v0
	v_lshrrev_b32_e32 v3, 3, v2
	v_cmp_gt_u32_e32 vcc, 8, v2
	v_subrev_u32_e32 v2, 28, v0
	v_sub_u32_e32 v0, 29, v0
	v_cndmask_b32_e32 v2, 0, v2, vcc
	v_cndmask_b32_e32 v0, v3, v0, vcc
	v_lshlrev_b64 v[2:3], v2, v[50:51]
	v_lshlrev_b32_e32 v3, 24, v50
	v_lshlrev_b32_e32 v2, 20, v2
	v_and_b32_e32 v2, 0x700000, v2
	v_and_b32_e32 v3, 0x80000000, v3
	v_lshl_add_u32 v0, v0, 23, v62
	v_or3_b32 v0, v3, v0, v2
.LBB4_3423:                             ;   in Loop: Header=BB4_3228 Depth=2
	s_or_b64 exec, exec, s[90:91]
.LBB4_3424:                             ;   in Loop: Header=BB4_3228 Depth=2
	s_or_b64 exec, exec, s[18:19]
.LBB4_3425:                             ;   in Loop: Header=BB4_3228 Depth=2
	s_or_b64 exec, exec, s[20:21]
	v_cmp_ne_u16_sdwa s[20:21], v19, v51 src0_sel:BYTE_0 src1_sel:DWORD
	s_and_saveexec_b64 s[18:19], s[20:21]
	s_cbranch_execz .LBB4_3431
; %bb.3426:                             ;   in Loop: Header=BB4_3228 Depth=2
	v_cmp_ne_u16_sdwa s[90:91], v19, s49 src0_sel:BYTE_0 src1_sel:DWORD
	v_bfrev_b32_e32 v1, 1
	s_and_saveexec_b64 s[20:21], s[90:91]
	s_cbranch_execz .LBB4_3430
; %bb.3427:                             ;   in Loop: Header=BB4_3228 Depth=2
	v_and_b32_e32 v2, 0x7f, v19
	v_cmp_ne_u32_e32 vcc, s51, v2
	v_mov_b32_e32 v1, 0x7f800001
	s_and_saveexec_b64 s[90:91], vcc
	s_cbranch_execz .LBB4_3429
; %bb.3428:                             ;   in Loop: Header=BB4_3228 Depth=2
	v_and_b32_e32 v1, 7, v19
	v_ffbh_u32_e32 v1, v1
	v_min_u32_e32 v1, 32, v1
	v_lshrrev_b32_e32 v3, 3, v2
	v_cmp_gt_u32_e32 vcc, 8, v2
	v_subrev_u32_e32 v2, 28, v1
	v_sub_u32_e32 v1, 29, v1
	v_cndmask_b32_e32 v3, v3, v1, vcc
	v_cndmask_b32_e32 v1, 0, v2, vcc
	v_lshlrev_b64 v[1:2], v1, v[57:58]
	v_lshlrev_b32_e32 v2, 24, v57
	v_lshlrev_b32_e32 v1, 20, v1
	v_and_b32_e32 v1, 0x700000, v1
	v_and_b32_e32 v2, 0x80000000, v2
	v_lshl_add_u32 v3, v3, 23, v62
	v_or3_b32 v1, v2, v3, v1
.LBB4_3429:                             ;   in Loop: Header=BB4_3228 Depth=2
	s_or_b64 exec, exec, s[90:91]
.LBB4_3430:                             ;   in Loop: Header=BB4_3228 Depth=2
	s_or_b64 exec, exec, s[20:21]
.LBB4_3431:                             ;   in Loop: Header=BB4_3228 Depth=2
	s_or_b64 exec, exec, s[18:19]
	v_max_f32_e32 v1, v1, v1
	v_max_f32_e32 v0, v0, v0
	v_min_f32_e32 v1, v0, v1
.LBB4_3432:                             ;   in Loop: Header=BB4_3228 Depth=2
	v_and_b32_e32 v2, 0x7f800000, v1
	v_mov_b32_e32 v3, v51
	v_cmp_ne_u64_e32 vcc, s[62:63], v[2:3]
                                        ; implicit-def: $vgpr43
	s_and_saveexec_b64 s[18:19], vcc
	s_xor_b64 s[20:21], exec, s[18:19]
	s_cbranch_execz .LBB4_3446
; %bb.3433:                             ;   in Loop: Header=BB4_3228 Depth=2
	v_and_b32_e32 v2, 0x7fffffff, v1
	v_mov_b32_e32 v3, v51
	v_cmp_gt_u64_e32 vcc, s[72:73], v[2:3]
	v_and_b32_sdwa v0, v1, s49 dst_sel:DWORD dst_unused:UNUSED_PAD src0_sel:BYTE_3 src1_sel:DWORD
                                        ; implicit-def: $vgpr43
	s_and_saveexec_b64 s[18:19], vcc
	s_xor_b64 s[90:91], exec, s[18:19]
	s_cbranch_execz .LBB4_3443
; %bb.3434:                             ;   in Loop: Header=BB4_3228 Depth=2
	v_mov_b32_e32 v43, 0
	v_cmp_ne_u32_e32 vcc, 0, v1
	s_and_saveexec_b64 s[92:93], vcc
	s_cbranch_execz .LBB4_3442
; %bb.3435:                             ;   in Loop: Header=BB4_3228 Depth=2
	v_and_b32_e32 v3, 0x7fffff, v1
	v_bfe_u32 v1, v1, 23, 8
	v_cmp_gt_u32_e64 s[18:19], s53, v1
	v_sub_u32_e32 v2, 0x79, v1
	v_cmp_eq_u32_e32 vcc, 0, v1
	v_cndmask_b32_e64 v2, 0, v2, s[18:19]
	v_mov_b32_e32 v27, 0x78
	v_or_b32_e32 v26, 0x800000, v3
	v_cndmask_b32_e32 v2, v2, v27, vcc
	v_cndmask_b32_e32 v26, v26, v3, vcc
	v_add_u32_e32 v3, 20, v2
	v_mov_b32_e32 v27, v51
	v_lshlrev_b64 v[29:30], v3, -1
	v_add_u32_e32 v3, 19, v2
	v_lshlrev_b64 v[34:35], v3, 1
	v_lshrrev_b64 v[58:59], v2, v[26:27]
	v_bfi_b32 v30, v30, 0, 0
	v_bfi_b32 v29, v29, 0, v26
	v_cmp_eq_u64_e64 s[18:19], v[29:30], v[34:35]
	v_mov_b32_e32 v60, v59
	v_mov_b32_e32 v59, v58
	s_and_saveexec_b64 s[94:95], s[18:19]
; %bb.3436:                             ;   in Loop: Header=BB4_3228 Depth=2
	v_bfe_u32 v3, v58, 20, 1
	v_add_co_u32_e64 v3, s[18:19], v58, v3
	v_add_co_u32_e64 v59, s[18:19], -1, v3
; %bb.3437:                             ;   in Loop: Header=BB4_3228 Depth=2
	s_or_b64 exec, exec, s[94:95]
	v_add_u32_e32 v1, 0xffffff81, v1
	v_cndmask_b32_e32 v1, v1, v49, vcc
	v_lshrrev_b32_e32 v3, 23, v58
	v_add3_u32 v3, v2, v1, v3
	v_add_u32_e32 v2, 6, v3
	v_and_b32_e32 v1, 0xfffff, v59
	v_add_u32_e32 v58, v1, v58
	v_mov_b32_e32 v59, v51
	v_cmp_ne_u32_e32 vcc, 0, v2
                                        ; implicit-def: $vgpr1
	s_and_saveexec_b64 s[18:19], vcc
	s_xor_b64 s[18:19], exec, s[18:19]
; %bb.3438:                             ;   in Loop: Header=BB4_3228 Depth=2
	v_cmp_lt_u64_e32 vcc, s[74:75], v[58:59]
	v_add_u32_e32 v1, 7, v3
	v_cndmask_b32_e32 v1, v2, v1, vcc
	v_cndmask_b32_e64 v2, 0, 1, vcc
	v_lshrrev_b64 v[58:59], v2, v[58:59]
; %bb.3439:                             ;   in Loop: Header=BB4_3228 Depth=2
	s_andn2_saveexec_b64 s[18:19], s[18:19]
; %bb.3440:                             ;   in Loop: Header=BB4_3228 Depth=2
	v_bfe_u32 v1, v58, 23, 1
; %bb.3441:                             ;   in Loop: Header=BB4_3228 Depth=2
	s_or_b64 exec, exec, s[18:19]
	v_lshrrev_b64 v[2:3], 20, v[58:59]
	v_cmp_gt_i32_e32 vcc, 16, v1
	v_cndmask_b32_e32 v3, 0, v3, vcc
	v_cndmask_b32_e32 v2, 7, v2, vcc
	v_cmp_eq_u32_e32 vcc, 0, v1
	v_min_i32_e32 v1, 15, v1
	v_cmp_eq_u64_e64 s[18:19], 0, v[2:3]
	v_lshlrev_b32_e32 v1, 3, v1
	v_and_b32_e32 v1, 0xf8, v1
	v_and_or_b32 v1, v2, 7, v1
	s_and_b64 s[18:19], vcc, s[18:19]
	v_cndmask_b32_e64 v1, v1, 0, s[18:19]
	v_or_b32_e32 v43, v1, v0
.LBB4_3442:                             ;   in Loop: Header=BB4_3228 Depth=2
	s_or_b64 exec, exec, s[92:93]
                                        ; implicit-def: $vgpr0
.LBB4_3443:                             ;   in Loop: Header=BB4_3228 Depth=2
	s_andn2_saveexec_b64 s[18:19], s[90:91]
; %bb.3444:                             ;   in Loop: Header=BB4_3228 Depth=2
	v_or_b32_e32 v43, 0x7e, v0
; %bb.3445:                             ;   in Loop: Header=BB4_3228 Depth=2
	s_or_b64 exec, exec, s[18:19]
                                        ; implicit-def: $vgpr1
.LBB4_3446:                             ;   in Loop: Header=BB4_3228 Depth=2
	s_andn2_saveexec_b64 s[18:19], s[20:21]
; %bb.3447:                             ;   in Loop: Header=BB4_3228 Depth=2
	v_or_b32_sdwa v43, v1, s51 dst_sel:DWORD dst_unused:UNUSED_PAD src0_sel:BYTE_3 src1_sel:DWORD
; %bb.3448:                             ;   in Loop: Header=BB4_3228 Depth=2
	s_or_b64 exec, exec, s[18:19]
	v_lshrrev_b16_e32 v58, 8, v50
	v_lshrrev_b16_e32 v30, 8, v57
	v_cmp_ne_u16_e64 s[18:19], 0, v58
	s_mov_b64 s[20:21], -1
	s_and_b64 vcc, exec, s[26:27]
                                        ; implicit-def: $vgpr1
	s_cbranch_vccz .LBB4_3462
; %bb.3449:                             ;   in Loop: Header=BB4_3228 Depth=2
	v_mov_b32_e32 v1, 0
	v_mov_b32_e32 v0, 0
	s_and_saveexec_b64 s[20:21], s[18:19]
	s_cbranch_execz .LBB4_3455
; %bb.3450:                             ;   in Loop: Header=BB4_3228 Depth=2
	v_cmp_ne_u16_e32 vcc, s49, v58
	v_bfrev_b32_e32 v0, 1
	s_and_saveexec_b64 s[90:91], vcc
	s_cbranch_execz .LBB4_3454
; %bb.3451:                             ;   in Loop: Header=BB4_3228 Depth=2
	v_and_b32_e32 v2, 0x7f, v58
	v_cmp_ne_u32_e32 vcc, s51, v2
	v_mov_b32_e32 v0, 0x7f800001
	s_and_saveexec_b64 s[92:93], vcc
	s_cbranch_execz .LBB4_3453
; %bb.3452:                             ;   in Loop: Header=BB4_3228 Depth=2
	v_and_b32_e32 v0, 7, v58
	v_lshrrev_b32_e32 v26, 3, v2
	v_cmp_gt_u32_e32 vcc, 8, v2
	v_ffbh_u32_e32 v2, v0
	v_min_u32_e32 v27, 32, v2
	v_subrev_u32_e32 v2, 28, v27
	v_lshlrev_b64 v[2:3], v2, v[58:59]
	v_sub_u32_e32 v3, 29, v27
	v_and_b32_e32 v2, 7, v2
	v_cndmask_b32_e32 v3, v26, v3, vcc
	v_cndmask_b32_e32 v0, v0, v2, vcc
	v_lshlrev_b32_e32 v2, 16, v50
	v_lshlrev_b32_e32 v0, 20, v0
	v_and_b32_e32 v2, 0x80000000, v2
	v_lshl_add_u32 v3, v3, 23, v62
	v_or3_b32 v0, v2, v3, v0
.LBB4_3453:                             ;   in Loop: Header=BB4_3228 Depth=2
	s_or_b64 exec, exec, s[92:93]
.LBB4_3454:                             ;   in Loop: Header=BB4_3228 Depth=2
	s_or_b64 exec, exec, s[90:91]
.LBB4_3455:                             ;   in Loop: Header=BB4_3228 Depth=2
	s_or_b64 exec, exec, s[20:21]
	v_cmp_ne_u16_e32 vcc, 0, v30
	s_and_saveexec_b64 s[20:21], vcc
	s_cbranch_execz .LBB4_3461
; %bb.3456:                             ;   in Loop: Header=BB4_3228 Depth=2
	v_cmp_ne_u16_e32 vcc, s49, v30
	v_bfrev_b32_e32 v1, 1
	s_and_saveexec_b64 s[90:91], vcc
	s_cbranch_execz .LBB4_3460
; %bb.3457:                             ;   in Loop: Header=BB4_3228 Depth=2
	v_and_b32_e32 v2, 0x7f, v30
	v_cmp_ne_u32_e32 vcc, s51, v2
	v_mov_b32_e32 v1, 0x7f800001
	s_and_saveexec_b64 s[92:93], vcc
	s_cbranch_execz .LBB4_3459
; %bb.3458:                             ;   in Loop: Header=BB4_3228 Depth=2
	v_and_b32_e32 v3, 7, v30
	v_ffbh_u32_e32 v1, v3
	v_min_u32_e32 v27, 32, v1
	v_subrev_u32_e32 v1, 28, v27
	v_lshrrev_b32_e32 v26, 3, v2
	v_cmp_gt_u32_e32 vcc, 8, v2
	v_lshlrev_b64 v[1:2], v1, v[30:31]
	v_sub_u32_e32 v2, 29, v27
	v_and_b32_e32 v1, 7, v1
	v_cndmask_b32_e32 v2, v26, v2, vcc
	v_cndmask_b32_e32 v1, v3, v1, vcc
	v_lshlrev_b32_e32 v3, 16, v57
	v_lshlrev_b32_e32 v1, 20, v1
	v_and_b32_e32 v3, 0x80000000, v3
	v_lshl_add_u32 v2, v2, 23, v62
	v_or3_b32 v1, v3, v2, v1
.LBB4_3459:                             ;   in Loop: Header=BB4_3228 Depth=2
	s_or_b64 exec, exec, s[92:93]
.LBB4_3460:                             ;   in Loop: Header=BB4_3228 Depth=2
	s_or_b64 exec, exec, s[90:91]
.LBB4_3461:                             ;   in Loop: Header=BB4_3228 Depth=2
	s_or_b64 exec, exec, s[20:21]
	v_max_f32_e32 v1, v1, v1
	v_max_f32_e32 v0, v0, v0
	;; [unrolled: 1-line block ×3, first 2 shown]
	s_mov_b64 s[20:21], 0
.LBB4_3462:                             ;   in Loop: Header=BB4_3228 Depth=2
	s_and_b64 vcc, exec, s[20:21]
	s_cbranch_vccz .LBB4_3476
; %bb.3463:                             ;   in Loop: Header=BB4_3228 Depth=2
	v_mov_b32_e32 v1, 0
	v_mov_b32_e32 v0, 0
	s_and_saveexec_b64 s[20:21], s[18:19]
	s_cbranch_execz .LBB4_3469
; %bb.3464:                             ;   in Loop: Header=BB4_3228 Depth=2
	v_cmp_ne_u16_e32 vcc, s49, v58
	v_bfrev_b32_e32 v0, 1
	s_and_saveexec_b64 s[18:19], vcc
	s_cbranch_execz .LBB4_3468
; %bb.3465:                             ;   in Loop: Header=BB4_3228 Depth=2
	v_and_b32_e32 v2, 0x7f, v58
	v_cmp_ne_u32_e32 vcc, s51, v2
	v_mov_b32_e32 v0, 0x7f800001
	s_and_saveexec_b64 s[90:91], vcc
	s_cbranch_execz .LBB4_3467
; %bb.3466:                             ;   in Loop: Header=BB4_3228 Depth=2
	v_and_b32_e32 v0, 7, v58
	v_lshrrev_b32_e32 v26, 3, v2
	v_cmp_gt_u32_e32 vcc, 8, v2
	v_ffbh_u32_e32 v2, v0
	v_min_u32_e32 v27, 32, v2
	v_subrev_u32_e32 v2, 28, v27
	v_lshlrev_b64 v[2:3], v2, v[58:59]
	v_sub_u32_e32 v3, 29, v27
	v_and_b32_e32 v2, 7, v2
	v_cndmask_b32_e32 v3, v26, v3, vcc
	v_cndmask_b32_e32 v0, v0, v2, vcc
	v_lshlrev_b32_e32 v2, 16, v50
	v_lshlrev_b32_e32 v0, 20, v0
	v_and_b32_e32 v2, 0x80000000, v2
	v_lshl_add_u32 v3, v3, 23, v62
	v_or3_b32 v0, v2, v3, v0
.LBB4_3467:                             ;   in Loop: Header=BB4_3228 Depth=2
	s_or_b64 exec, exec, s[90:91]
.LBB4_3468:                             ;   in Loop: Header=BB4_3228 Depth=2
	s_or_b64 exec, exec, s[18:19]
.LBB4_3469:                             ;   in Loop: Header=BB4_3228 Depth=2
	s_or_b64 exec, exec, s[20:21]
	v_cmp_ne_u16_e32 vcc, 0, v30
	s_and_saveexec_b64 s[18:19], vcc
	s_cbranch_execz .LBB4_3475
; %bb.3470:                             ;   in Loop: Header=BB4_3228 Depth=2
	v_cmp_ne_u16_e32 vcc, s49, v30
	v_bfrev_b32_e32 v1, 1
	s_and_saveexec_b64 s[20:21], vcc
	s_cbranch_execz .LBB4_3474
; %bb.3471:                             ;   in Loop: Header=BB4_3228 Depth=2
	v_and_b32_e32 v2, 0x7f, v30
	v_cmp_ne_u32_e32 vcc, s51, v2
	v_mov_b32_e32 v1, 0x7f800001
	s_and_saveexec_b64 s[90:91], vcc
	s_cbranch_execz .LBB4_3473
; %bb.3472:                             ;   in Loop: Header=BB4_3228 Depth=2
	v_and_b32_e32 v3, 7, v30
	v_ffbh_u32_e32 v1, v3
	v_min_u32_e32 v27, 32, v1
	v_subrev_u32_e32 v1, 28, v27
	v_lshrrev_b32_e32 v26, 3, v2
	v_cmp_gt_u32_e32 vcc, 8, v2
	v_lshlrev_b64 v[1:2], v1, v[30:31]
	v_sub_u32_e32 v2, 29, v27
	v_and_b32_e32 v1, 7, v1
	v_cndmask_b32_e32 v2, v26, v2, vcc
	v_cndmask_b32_e32 v1, v3, v1, vcc
	v_lshlrev_b32_e32 v3, 16, v57
	v_lshlrev_b32_e32 v1, 20, v1
	v_and_b32_e32 v3, 0x80000000, v3
	v_lshl_add_u32 v2, v2, 23, v62
	v_or3_b32 v1, v3, v2, v1
.LBB4_3473:                             ;   in Loop: Header=BB4_3228 Depth=2
	s_or_b64 exec, exec, s[90:91]
.LBB4_3474:                             ;   in Loop: Header=BB4_3228 Depth=2
	s_or_b64 exec, exec, s[20:21]
.LBB4_3475:                             ;   in Loop: Header=BB4_3228 Depth=2
	s_or_b64 exec, exec, s[18:19]
	v_max_f32_e32 v1, v1, v1
	v_max_f32_e32 v0, v0, v0
	v_min_f32_e32 v1, v0, v1
.LBB4_3476:                             ;   in Loop: Header=BB4_3228 Depth=2
	v_and_b32_e32 v50, 0x7f800000, v1
	v_cmp_ne_u64_e32 vcc, s[62:63], v[50:51]
                                        ; implicit-def: $vgpr60
	s_and_saveexec_b64 s[18:19], vcc
	s_xor_b64 s[20:21], exec, s[18:19]
	s_cbranch_execz .LBB4_3490
; %bb.3477:                             ;   in Loop: Header=BB4_3228 Depth=2
	v_and_b32_e32 v50, 0x7fffffff, v1
	v_cmp_gt_u64_e32 vcc, s[72:73], v[50:51]
	v_and_b32_sdwa v0, v1, s49 dst_sel:DWORD dst_unused:UNUSED_PAD src0_sel:BYTE_3 src1_sel:DWORD
                                        ; implicit-def: $vgpr60
	s_and_saveexec_b64 s[18:19], vcc
	s_xor_b64 s[90:91], exec, s[18:19]
	s_cbranch_execz .LBB4_3487
; %bb.3478:                             ;   in Loop: Header=BB4_3228 Depth=2
	v_mov_b32_e32 v60, 0
	v_cmp_ne_u32_e32 vcc, 0, v1
	s_and_saveexec_b64 s[92:93], vcc
	s_cbranch_execz .LBB4_3486
; %bb.3479:                             ;   in Loop: Header=BB4_3228 Depth=2
	v_and_b32_e32 v3, 0x7fffff, v1
	v_bfe_u32 v1, v1, 23, 8
	v_cmp_gt_u32_e64 s[18:19], s53, v1
	v_sub_u32_e32 v2, 0x79, v1
	v_cmp_eq_u32_e32 vcc, 0, v1
	v_cndmask_b32_e64 v2, 0, v2, s[18:19]
	v_mov_b32_e32 v27, 0x78
	v_or_b32_e32 v26, 0x800000, v3
	v_cndmask_b32_e32 v2, v2, v27, vcc
	v_cndmask_b32_e32 v50, v26, v3, vcc
	v_add_u32_e32 v3, 20, v2
	v_lshlrev_b64 v[26:27], v3, -1
	v_add_u32_e32 v3, 19, v2
	v_lshlrev_b64 v[29:30], v3, 1
	v_lshrrev_b64 v[57:58], v2, v[50:51]
	v_bfi_b32 v27, v27, 0, 0
	v_bfi_b32 v26, v26, 0, v50
	v_cmp_eq_u64_e64 s[18:19], v[26:27], v[29:30]
	v_mov_b32_e32 v59, v58
	v_mov_b32_e32 v58, v57
	s_and_saveexec_b64 s[94:95], s[18:19]
; %bb.3480:                             ;   in Loop: Header=BB4_3228 Depth=2
	v_bfe_u32 v3, v57, 20, 1
	v_add_co_u32_e64 v3, s[18:19], v57, v3
	v_add_co_u32_e64 v58, s[18:19], -1, v3
; %bb.3481:                             ;   in Loop: Header=BB4_3228 Depth=2
	s_or_b64 exec, exec, s[94:95]
	v_add_u32_e32 v1, 0xffffff81, v1
	v_cndmask_b32_e32 v1, v1, v49, vcc
	v_lshrrev_b32_e32 v3, 23, v57
	v_add3_u32 v3, v2, v1, v3
	v_add_u32_e32 v2, 6, v3
	v_and_b32_e32 v1, 0xfffff, v58
	v_add_u32_e32 v50, v1, v57
	v_cmp_ne_u32_e32 vcc, 0, v2
                                        ; implicit-def: $vgpr57_vgpr58
                                        ; implicit-def: $vgpr1
	s_and_saveexec_b64 s[18:19], vcc
	s_xor_b64 s[18:19], exec, s[18:19]
; %bb.3482:                             ;   in Loop: Header=BB4_3228 Depth=2
	v_cmp_lt_u64_e32 vcc, s[74:75], v[50:51]
	v_add_u32_e32 v1, 7, v3
	v_cndmask_b32_e32 v1, v2, v1, vcc
	v_cndmask_b32_e64 v2, 0, 1, vcc
	v_lshrrev_b64 v[57:58], v2, v[50:51]
; %bb.3483:                             ;   in Loop: Header=BB4_3228 Depth=2
	s_andn2_saveexec_b64 s[18:19], s[18:19]
; %bb.3484:                             ;   in Loop: Header=BB4_3228 Depth=2
	v_mov_b32_e32 v58, v51
	v_bfe_u32 v1, v50, 23, 1
	v_mov_b32_e32 v57, v50
; %bb.3485:                             ;   in Loop: Header=BB4_3228 Depth=2
	s_or_b64 exec, exec, s[18:19]
	v_lshrrev_b64 v[2:3], 20, v[57:58]
	v_cmp_gt_i32_e32 vcc, 16, v1
	v_cndmask_b32_e32 v3, 0, v3, vcc
	v_cndmask_b32_e32 v2, 7, v2, vcc
	v_cmp_eq_u32_e32 vcc, 0, v1
	v_min_i32_e32 v1, 15, v1
	v_cmp_eq_u64_e64 s[18:19], 0, v[2:3]
	v_lshlrev_b32_e32 v1, 3, v1
	v_and_b32_e32 v1, 0xf8, v1
	v_and_or_b32 v1, v2, 7, v1
	s_and_b64 s[18:19], vcc, s[18:19]
	v_cndmask_b32_e64 v1, v1, 0, s[18:19]
	v_or_b32_e32 v60, v1, v0
.LBB4_3486:                             ;   in Loop: Header=BB4_3228 Depth=2
	s_or_b64 exec, exec, s[92:93]
                                        ; implicit-def: $vgpr0
.LBB4_3487:                             ;   in Loop: Header=BB4_3228 Depth=2
	s_andn2_saveexec_b64 s[18:19], s[90:91]
; %bb.3488:                             ;   in Loop: Header=BB4_3228 Depth=2
	v_or_b32_e32 v60, 0x7e, v0
; %bb.3489:                             ;   in Loop: Header=BB4_3228 Depth=2
	s_or_b64 exec, exec, s[18:19]
                                        ; implicit-def: $vgpr1
.LBB4_3490:                             ;   in Loop: Header=BB4_3228 Depth=2
	s_andn2_saveexec_b64 s[18:19], s[20:21]
; %bb.3491:                             ;   in Loop: Header=BB4_3228 Depth=2
	v_or_b32_sdwa v60, v1, s51 dst_sel:DWORD dst_unused:UNUSED_PAD src0_sel:BYTE_3 src1_sel:DWORD
; %bb.3492:                             ;   in Loop: Header=BB4_3228 Depth=2
	s_or_b64 exec, exec, s[18:19]
	v_lshrrev_b32_e32 v50, 16, v23
	v_lshrrev_b32_e32 v30, 16, v19
	v_cmp_ne_u16_sdwa s[18:19], v50, v51 src0_sel:BYTE_0 src1_sel:DWORD
	s_mov_b64 s[20:21], -1
	s_and_b64 vcc, exec, s[26:27]
                                        ; implicit-def: $vgpr1
	s_cbranch_vccz .LBB4_3506
; %bb.3493:                             ;   in Loop: Header=BB4_3228 Depth=2
	v_mov_b32_e32 v1, 0
	v_mov_b32_e32 v0, 0
	s_and_saveexec_b64 s[20:21], s[18:19]
	s_cbranch_execz .LBB4_3499
; %bb.3494:                             ;   in Loop: Header=BB4_3228 Depth=2
	v_cmp_ne_u16_sdwa s[92:93], v50, s49 src0_sel:BYTE_0 src1_sel:DWORD
	v_bfrev_b32_e32 v0, 1
	s_and_saveexec_b64 s[90:91], s[92:93]
	s_cbranch_execz .LBB4_3498
; %bb.3495:                             ;   in Loop: Header=BB4_3228 Depth=2
	v_bfe_u32 v2, v23, 16, 7
	v_cmp_ne_u32_e32 vcc, s51, v2
	v_mov_b32_e32 v0, 0x7f800001
	s_and_saveexec_b64 s[92:93], vcc
	s_cbranch_execz .LBB4_3497
; %bb.3496:                             ;   in Loop: Header=BB4_3228 Depth=2
	v_and_b32_e32 v0, 7, v50
	v_lshrrev_b32_e32 v26, 3, v2
	v_cmp_gt_u32_e32 vcc, 8, v2
	v_ffbh_u32_e32 v2, v0
	v_min_u32_e32 v27, 32, v2
	v_subrev_u32_e32 v2, 28, v27
	v_lshlrev_b64 v[2:3], v2, v[50:51]
	v_sub_u32_e32 v3, 29, v27
	v_and_b32_e32 v2, 7, v2
	v_cndmask_b32_e32 v3, v26, v3, vcc
	v_cndmask_b32_e32 v0, v0, v2, vcc
	v_lshlrev_b32_e32 v2, 24, v50
	v_lshlrev_b32_e32 v0, 20, v0
	v_and_b32_e32 v2, 0x80000000, v2
	v_lshl_add_u32 v3, v3, 23, v62
	v_or3_b32 v0, v2, v3, v0
.LBB4_3497:                             ;   in Loop: Header=BB4_3228 Depth=2
	s_or_b64 exec, exec, s[92:93]
.LBB4_3498:                             ;   in Loop: Header=BB4_3228 Depth=2
	s_or_b64 exec, exec, s[90:91]
.LBB4_3499:                             ;   in Loop: Header=BB4_3228 Depth=2
	s_or_b64 exec, exec, s[20:21]
	v_cmp_ne_u16_sdwa s[90:91], v30, v51 src0_sel:BYTE_0 src1_sel:DWORD
	s_and_saveexec_b64 s[20:21], s[90:91]
	s_cbranch_execz .LBB4_3505
; %bb.3500:                             ;   in Loop: Header=BB4_3228 Depth=2
	v_cmp_ne_u16_sdwa s[92:93], v30, s49 src0_sel:BYTE_0 src1_sel:DWORD
	v_bfrev_b32_e32 v1, 1
	s_and_saveexec_b64 s[90:91], s[92:93]
	s_cbranch_execz .LBB4_3504
; %bb.3501:                             ;   in Loop: Header=BB4_3228 Depth=2
	v_bfe_u32 v2, v19, 16, 7
	v_cmp_ne_u32_e32 vcc, s51, v2
	v_mov_b32_e32 v1, 0x7f800001
	s_and_saveexec_b64 s[92:93], vcc
	s_cbranch_execz .LBB4_3503
; %bb.3502:                             ;   in Loop: Header=BB4_3228 Depth=2
	v_and_b32_e32 v3, 7, v30
	v_ffbh_u32_e32 v1, v3
	v_min_u32_e32 v27, 32, v1
	v_subrev_u32_e32 v1, 28, v27
	v_lshrrev_b32_e32 v26, 3, v2
	v_cmp_gt_u32_e32 vcc, 8, v2
	v_lshlrev_b64 v[1:2], v1, v[30:31]
	v_sub_u32_e32 v2, 29, v27
	v_and_b32_e32 v1, 7, v1
	v_cndmask_b32_e32 v2, v26, v2, vcc
	v_cndmask_b32_e32 v1, v3, v1, vcc
	v_lshlrev_b32_e32 v3, 24, v30
	v_lshlrev_b32_e32 v1, 20, v1
	v_and_b32_e32 v3, 0x80000000, v3
	v_lshl_add_u32 v2, v2, 23, v62
	v_or3_b32 v1, v3, v2, v1
.LBB4_3503:                             ;   in Loop: Header=BB4_3228 Depth=2
	s_or_b64 exec, exec, s[92:93]
.LBB4_3504:                             ;   in Loop: Header=BB4_3228 Depth=2
	s_or_b64 exec, exec, s[90:91]
.LBB4_3505:                             ;   in Loop: Header=BB4_3228 Depth=2
	s_or_b64 exec, exec, s[20:21]
	v_max_f32_e32 v1, v1, v1
	v_max_f32_e32 v0, v0, v0
	;; [unrolled: 1-line block ×3, first 2 shown]
	s_mov_b64 s[20:21], 0
.LBB4_3506:                             ;   in Loop: Header=BB4_3228 Depth=2
	s_and_b64 vcc, exec, s[20:21]
	s_cbranch_vccz .LBB4_3520
; %bb.3507:                             ;   in Loop: Header=BB4_3228 Depth=2
	v_mov_b32_e32 v1, 0
	v_mov_b32_e32 v0, 0
	s_and_saveexec_b64 s[20:21], s[18:19]
	s_cbranch_execz .LBB4_3513
; %bb.3508:                             ;   in Loop: Header=BB4_3228 Depth=2
	v_cmp_ne_u16_sdwa s[90:91], v50, s49 src0_sel:BYTE_0 src1_sel:DWORD
	v_bfrev_b32_e32 v0, 1
	s_and_saveexec_b64 s[18:19], s[90:91]
	s_cbranch_execz .LBB4_3512
; %bb.3509:                             ;   in Loop: Header=BB4_3228 Depth=2
	v_bfe_u32 v2, v23, 16, 7
	v_cmp_ne_u32_e32 vcc, s51, v2
	v_mov_b32_e32 v0, 0x7f800001
	s_and_saveexec_b64 s[90:91], vcc
	s_cbranch_execz .LBB4_3511
; %bb.3510:                             ;   in Loop: Header=BB4_3228 Depth=2
	v_and_b32_e32 v0, 7, v50
	v_lshrrev_b32_e32 v26, 3, v2
	v_cmp_gt_u32_e32 vcc, 8, v2
	v_ffbh_u32_e32 v2, v0
	v_min_u32_e32 v27, 32, v2
	v_subrev_u32_e32 v2, 28, v27
	v_lshlrev_b64 v[2:3], v2, v[50:51]
	v_sub_u32_e32 v3, 29, v27
	v_and_b32_e32 v2, 7, v2
	v_cndmask_b32_e32 v3, v26, v3, vcc
	v_cndmask_b32_e32 v0, v0, v2, vcc
	v_lshlrev_b32_e32 v2, 24, v50
	v_lshlrev_b32_e32 v0, 20, v0
	v_and_b32_e32 v2, 0x80000000, v2
	v_lshl_add_u32 v3, v3, 23, v62
	v_or3_b32 v0, v2, v3, v0
.LBB4_3511:                             ;   in Loop: Header=BB4_3228 Depth=2
	s_or_b64 exec, exec, s[90:91]
.LBB4_3512:                             ;   in Loop: Header=BB4_3228 Depth=2
	s_or_b64 exec, exec, s[18:19]
.LBB4_3513:                             ;   in Loop: Header=BB4_3228 Depth=2
	s_or_b64 exec, exec, s[20:21]
	v_cmp_ne_u16_sdwa s[20:21], v30, v51 src0_sel:BYTE_0 src1_sel:DWORD
	s_and_saveexec_b64 s[18:19], s[20:21]
	s_cbranch_execz .LBB4_3519
; %bb.3514:                             ;   in Loop: Header=BB4_3228 Depth=2
	v_cmp_ne_u16_sdwa s[90:91], v30, s49 src0_sel:BYTE_0 src1_sel:DWORD
	v_bfrev_b32_e32 v1, 1
	s_and_saveexec_b64 s[20:21], s[90:91]
	s_cbranch_execz .LBB4_3518
; %bb.3515:                             ;   in Loop: Header=BB4_3228 Depth=2
	v_bfe_u32 v2, v19, 16, 7
	v_cmp_ne_u32_e32 vcc, s51, v2
	v_mov_b32_e32 v1, 0x7f800001
	s_and_saveexec_b64 s[90:91], vcc
	s_cbranch_execz .LBB4_3517
; %bb.3516:                             ;   in Loop: Header=BB4_3228 Depth=2
	v_and_b32_e32 v3, 7, v30
	v_ffbh_u32_e32 v1, v3
	v_min_u32_e32 v27, 32, v1
	v_subrev_u32_e32 v1, 28, v27
	v_lshrrev_b32_e32 v26, 3, v2
	v_cmp_gt_u32_e32 vcc, 8, v2
	v_lshlrev_b64 v[1:2], v1, v[30:31]
	v_sub_u32_e32 v2, 29, v27
	v_and_b32_e32 v1, 7, v1
	v_cndmask_b32_e32 v2, v26, v2, vcc
	v_cndmask_b32_e32 v1, v3, v1, vcc
	v_lshlrev_b32_e32 v3, 24, v30
	v_lshlrev_b32_e32 v1, 20, v1
	v_and_b32_e32 v3, 0x80000000, v3
	v_lshl_add_u32 v2, v2, 23, v62
	v_or3_b32 v1, v3, v2, v1
.LBB4_3517:                             ;   in Loop: Header=BB4_3228 Depth=2
	s_or_b64 exec, exec, s[90:91]
.LBB4_3518:                             ;   in Loop: Header=BB4_3228 Depth=2
	s_or_b64 exec, exec, s[20:21]
.LBB4_3519:                             ;   in Loop: Header=BB4_3228 Depth=2
	s_or_b64 exec, exec, s[18:19]
	v_max_f32_e32 v1, v1, v1
	v_max_f32_e32 v0, v0, v0
	v_min_f32_e32 v1, v0, v1
.LBB4_3520:                             ;   in Loop: Header=BB4_3228 Depth=2
	v_and_b32_e32 v50, 0x7f800000, v1
	v_cmp_ne_u64_e32 vcc, s[62:63], v[50:51]
                                        ; implicit-def: $vgpr59
	s_and_saveexec_b64 s[18:19], vcc
	s_xor_b64 s[20:21], exec, s[18:19]
	s_cbranch_execz .LBB4_3534
; %bb.3521:                             ;   in Loop: Header=BB4_3228 Depth=2
	v_and_b32_e32 v50, 0x7fffffff, v1
	v_cmp_gt_u64_e32 vcc, s[72:73], v[50:51]
	v_and_b32_sdwa v0, v1, s49 dst_sel:DWORD dst_unused:UNUSED_PAD src0_sel:BYTE_3 src1_sel:DWORD
                                        ; implicit-def: $vgpr59
	s_and_saveexec_b64 s[18:19], vcc
	s_xor_b64 s[90:91], exec, s[18:19]
	s_cbranch_execz .LBB4_3531
; %bb.3522:                             ;   in Loop: Header=BB4_3228 Depth=2
	v_mov_b32_e32 v59, 0
	v_cmp_ne_u32_e32 vcc, 0, v1
	s_and_saveexec_b64 s[92:93], vcc
	s_cbranch_execz .LBB4_3530
; %bb.3523:                             ;   in Loop: Header=BB4_3228 Depth=2
	v_and_b32_e32 v3, 0x7fffff, v1
	v_bfe_u32 v1, v1, 23, 8
	v_cmp_gt_u32_e64 s[18:19], s53, v1
	v_sub_u32_e32 v2, 0x79, v1
	v_cmp_eq_u32_e32 vcc, 0, v1
	v_cndmask_b32_e64 v2, 0, v2, s[18:19]
	v_mov_b32_e32 v27, 0x78
	v_or_b32_e32 v26, 0x800000, v3
	v_cndmask_b32_e32 v2, v2, v27, vcc
	v_cndmask_b32_e32 v50, v26, v3, vcc
	v_add_u32_e32 v3, 20, v2
	v_lshlrev_b64 v[26:27], v3, -1
	v_add_u32_e32 v3, 19, v2
	v_lshlrev_b64 v[29:30], v3, 1
	v_lshrrev_b64 v[57:58], v2, v[50:51]
	v_bfi_b32 v27, v27, 0, 0
	v_bfi_b32 v26, v26, 0, v50
	v_cmp_eq_u64_e64 s[18:19], v[26:27], v[29:30]
	v_mov_b32_e32 v59, v58
	v_mov_b32_e32 v58, v57
	s_and_saveexec_b64 s[94:95], s[18:19]
; %bb.3524:                             ;   in Loop: Header=BB4_3228 Depth=2
	v_bfe_u32 v3, v57, 20, 1
	v_add_co_u32_e64 v3, s[18:19], v57, v3
	v_add_co_u32_e64 v58, s[18:19], -1, v3
; %bb.3525:                             ;   in Loop: Header=BB4_3228 Depth=2
	s_or_b64 exec, exec, s[94:95]
	v_add_u32_e32 v1, 0xffffff81, v1
	v_cndmask_b32_e32 v1, v1, v49, vcc
	v_lshrrev_b32_e32 v3, 23, v57
	v_add3_u32 v3, v2, v1, v3
	v_add_u32_e32 v2, 6, v3
	v_and_b32_e32 v1, 0xfffff, v58
	v_add_u32_e32 v50, v1, v57
	v_cmp_ne_u32_e32 vcc, 0, v2
                                        ; implicit-def: $vgpr57_vgpr58
                                        ; implicit-def: $vgpr1
	s_and_saveexec_b64 s[18:19], vcc
	s_xor_b64 s[18:19], exec, s[18:19]
; %bb.3526:                             ;   in Loop: Header=BB4_3228 Depth=2
	v_cmp_lt_u64_e32 vcc, s[74:75], v[50:51]
	v_add_u32_e32 v1, 7, v3
	v_cndmask_b32_e32 v1, v2, v1, vcc
	v_cndmask_b32_e64 v2, 0, 1, vcc
	v_lshrrev_b64 v[57:58], v2, v[50:51]
; %bb.3527:                             ;   in Loop: Header=BB4_3228 Depth=2
	s_andn2_saveexec_b64 s[18:19], s[18:19]
; %bb.3528:                             ;   in Loop: Header=BB4_3228 Depth=2
	v_mov_b32_e32 v58, v51
	v_bfe_u32 v1, v50, 23, 1
	v_mov_b32_e32 v57, v50
; %bb.3529:                             ;   in Loop: Header=BB4_3228 Depth=2
	s_or_b64 exec, exec, s[18:19]
	v_lshrrev_b64 v[2:3], 20, v[57:58]
	v_cmp_gt_i32_e32 vcc, 16, v1
	v_cndmask_b32_e32 v3, 0, v3, vcc
	v_cndmask_b32_e32 v2, 7, v2, vcc
	v_cmp_eq_u32_e32 vcc, 0, v1
	v_min_i32_e32 v1, 15, v1
	v_cmp_eq_u64_e64 s[18:19], 0, v[2:3]
	v_lshlrev_b32_e32 v1, 3, v1
	v_and_b32_e32 v1, 0xf8, v1
	v_and_or_b32 v1, v2, 7, v1
	s_and_b64 s[18:19], vcc, s[18:19]
	v_cndmask_b32_e64 v1, v1, 0, s[18:19]
	v_or_b32_e32 v59, v1, v0
.LBB4_3530:                             ;   in Loop: Header=BB4_3228 Depth=2
	s_or_b64 exec, exec, s[92:93]
                                        ; implicit-def: $vgpr0
.LBB4_3531:                             ;   in Loop: Header=BB4_3228 Depth=2
	s_andn2_saveexec_b64 s[18:19], s[90:91]
; %bb.3532:                             ;   in Loop: Header=BB4_3228 Depth=2
	v_or_b32_e32 v59, 0x7e, v0
; %bb.3533:                             ;   in Loop: Header=BB4_3228 Depth=2
	s_or_b64 exec, exec, s[18:19]
                                        ; implicit-def: $vgpr1
.LBB4_3534:                             ;   in Loop: Header=BB4_3228 Depth=2
	s_andn2_saveexec_b64 s[18:19], s[20:21]
; %bb.3535:                             ;   in Loop: Header=BB4_3228 Depth=2
	v_or_b32_sdwa v59, v1, s51 dst_sel:DWORD dst_unused:UNUSED_PAD src0_sel:BYTE_3 src1_sel:DWORD
; %bb.3536:                             ;   in Loop: Header=BB4_3228 Depth=2
	s_or_b64 exec, exec, s[18:19]
	v_cmp_lt_u64_e64 s[18:19], s[76:77], v[22:23]
	v_lshrrev_b32_e32 v50, 24, v23
	v_lshrrev_b32_e32 v30, 24, v19
	s_mov_b64 s[20:21], -1
	s_and_b64 vcc, exec, s[26:27]
                                        ; implicit-def: $vgpr1
	s_cbranch_vccz .LBB4_3550
; %bb.3537:                             ;   in Loop: Header=BB4_3228 Depth=2
	v_mov_b32_e32 v1, 0
	v_mov_b32_e32 v0, 0
	s_and_saveexec_b64 s[20:21], s[18:19]
	s_cbranch_execz .LBB4_3543
; %bb.3538:                             ;   in Loop: Header=BB4_3228 Depth=2
	v_cmp_ne_u32_e32 vcc, s49, v50
	v_bfrev_b32_e32 v0, 1
	s_and_saveexec_b64 s[90:91], vcc
	s_cbranch_execz .LBB4_3542
; %bb.3539:                             ;   in Loop: Header=BB4_3228 Depth=2
	v_bfe_u32 v2, v23, 24, 7
	v_cmp_ne_u32_e32 vcc, s51, v2
	v_mov_b32_e32 v0, 0x7f800001
	s_and_saveexec_b64 s[92:93], vcc
	s_cbranch_execz .LBB4_3541
; %bb.3540:                             ;   in Loop: Header=BB4_3228 Depth=2
	v_and_b32_e32 v0, 7, v50
	v_lshrrev_b32_e32 v22, 3, v2
	v_cmp_gt_u32_e32 vcc, 8, v2
	v_ffbh_u32_e32 v2, v0
	v_min_u32_e32 v26, 32, v2
	v_subrev_u32_e32 v2, 28, v26
	v_lshlrev_b64 v[2:3], v2, v[50:51]
	v_sub_u32_e32 v3, 29, v26
	v_and_b32_e32 v2, 7, v2
	v_cndmask_b32_e32 v3, v22, v3, vcc
	v_cndmask_b32_e32 v0, v0, v2, vcc
	v_lshlrev_b32_e32 v2, 24, v50
	v_lshlrev_b32_e32 v0, 20, v0
	v_and_b32_e32 v2, 0x80000000, v2
	v_lshl_add_u32 v3, v3, 23, v62
	v_or3_b32 v0, v2, v3, v0
.LBB4_3541:                             ;   in Loop: Header=BB4_3228 Depth=2
	s_or_b64 exec, exec, s[92:93]
.LBB4_3542:                             ;   in Loop: Header=BB4_3228 Depth=2
	s_or_b64 exec, exec, s[90:91]
.LBB4_3543:                             ;   in Loop: Header=BB4_3228 Depth=2
	s_or_b64 exec, exec, s[20:21]
	v_cmp_lt_u64_e32 vcc, s[76:77], v[18:19]
	s_and_saveexec_b64 s[20:21], vcc
	s_cbranch_execz .LBB4_3549
; %bb.3544:                             ;   in Loop: Header=BB4_3228 Depth=2
	v_cmp_ne_u32_e32 vcc, s49, v30
	v_bfrev_b32_e32 v1, 1
	s_and_saveexec_b64 s[90:91], vcc
	s_cbranch_execz .LBB4_3548
; %bb.3545:                             ;   in Loop: Header=BB4_3228 Depth=2
	v_bfe_u32 v2, v19, 24, 7
	v_cmp_ne_u32_e32 vcc, s51, v2
	v_mov_b32_e32 v1, 0x7f800001
	s_and_saveexec_b64 s[92:93], vcc
	s_cbranch_execz .LBB4_3547
; %bb.3546:                             ;   in Loop: Header=BB4_3228 Depth=2
	v_and_b32_e32 v3, 7, v30
	v_ffbh_u32_e32 v1, v3
	v_min_u32_e32 v26, 32, v1
	v_subrev_u32_e32 v1, 28, v26
	v_lshrrev_b32_e32 v22, 3, v2
	v_cmp_gt_u32_e32 vcc, 8, v2
	v_lshlrev_b64 v[1:2], v1, v[30:31]
	v_sub_u32_e32 v2, 29, v26
	v_and_b32_e32 v1, 7, v1
	v_cndmask_b32_e32 v2, v22, v2, vcc
	v_cndmask_b32_e32 v1, v3, v1, vcc
	v_lshlrev_b32_e32 v3, 24, v30
	v_lshlrev_b32_e32 v1, 20, v1
	v_and_b32_e32 v3, 0x80000000, v3
	v_lshl_add_u32 v2, v2, 23, v62
	v_or3_b32 v1, v3, v2, v1
.LBB4_3547:                             ;   in Loop: Header=BB4_3228 Depth=2
	s_or_b64 exec, exec, s[92:93]
.LBB4_3548:                             ;   in Loop: Header=BB4_3228 Depth=2
	s_or_b64 exec, exec, s[90:91]
.LBB4_3549:                             ;   in Loop: Header=BB4_3228 Depth=2
	s_or_b64 exec, exec, s[20:21]
	v_max_f32_e32 v1, v1, v1
	v_max_f32_e32 v0, v0, v0
	;; [unrolled: 1-line block ×3, first 2 shown]
	s_mov_b64 s[20:21], 0
.LBB4_3550:                             ;   in Loop: Header=BB4_3228 Depth=2
	s_and_b64 vcc, exec, s[20:21]
	s_cbranch_vccz .LBB4_3564
; %bb.3551:                             ;   in Loop: Header=BB4_3228 Depth=2
	v_mov_b32_e32 v1, 0
	v_mov_b32_e32 v0, 0
	s_and_saveexec_b64 s[20:21], s[18:19]
	s_cbranch_execz .LBB4_3557
; %bb.3552:                             ;   in Loop: Header=BB4_3228 Depth=2
	v_cmp_ne_u32_e32 vcc, s49, v50
	v_bfrev_b32_e32 v0, 1
	s_and_saveexec_b64 s[18:19], vcc
	s_cbranch_execz .LBB4_3556
; %bb.3553:                             ;   in Loop: Header=BB4_3228 Depth=2
	v_bfe_u32 v2, v23, 24, 7
	v_cmp_ne_u32_e32 vcc, s51, v2
	v_mov_b32_e32 v0, 0x7f800001
	s_and_saveexec_b64 s[90:91], vcc
	s_cbranch_execz .LBB4_3555
; %bb.3554:                             ;   in Loop: Header=BB4_3228 Depth=2
	v_and_b32_e32 v0, 7, v50
	v_lshrrev_b32_e32 v22, 3, v2
	v_cmp_gt_u32_e32 vcc, 8, v2
	v_ffbh_u32_e32 v2, v0
	v_min_u32_e32 v23, 32, v2
	v_subrev_u32_e32 v2, 28, v23
	v_lshlrev_b64 v[2:3], v2, v[50:51]
	v_sub_u32_e32 v3, 29, v23
	v_and_b32_e32 v2, 7, v2
	v_cndmask_b32_e32 v3, v22, v3, vcc
	v_cndmask_b32_e32 v0, v0, v2, vcc
	v_lshlrev_b32_e32 v2, 24, v50
	v_lshlrev_b32_e32 v0, 20, v0
	v_and_b32_e32 v2, 0x80000000, v2
	v_lshl_add_u32 v3, v3, 23, v62
	v_or3_b32 v0, v2, v3, v0
.LBB4_3555:                             ;   in Loop: Header=BB4_3228 Depth=2
	s_or_b64 exec, exec, s[90:91]
.LBB4_3556:                             ;   in Loop: Header=BB4_3228 Depth=2
	s_or_b64 exec, exec, s[18:19]
.LBB4_3557:                             ;   in Loop: Header=BB4_3228 Depth=2
	s_or_b64 exec, exec, s[20:21]
	v_cmp_lt_u64_e32 vcc, s[76:77], v[18:19]
	s_and_saveexec_b64 s[18:19], vcc
	s_cbranch_execz .LBB4_3563
; %bb.3558:                             ;   in Loop: Header=BB4_3228 Depth=2
	v_cmp_ne_u32_e32 vcc, s49, v30
	v_bfrev_b32_e32 v1, 1
	s_and_saveexec_b64 s[20:21], vcc
	s_cbranch_execz .LBB4_3562
; %bb.3559:                             ;   in Loop: Header=BB4_3228 Depth=2
	v_bfe_u32 v2, v19, 24, 7
	v_cmp_ne_u32_e32 vcc, s51, v2
	v_mov_b32_e32 v1, 0x7f800001
	s_and_saveexec_b64 s[90:91], vcc
	s_cbranch_execz .LBB4_3561
; %bb.3560:                             ;   in Loop: Header=BB4_3228 Depth=2
	v_and_b32_e32 v3, 7, v30
	v_ffbh_u32_e32 v1, v3
	v_min_u32_e32 v19, 32, v1
	v_subrev_u32_e32 v1, 28, v19
	v_lshrrev_b32_e32 v18, 3, v2
	v_cmp_gt_u32_e32 vcc, 8, v2
	v_lshlrev_b64 v[1:2], v1, v[30:31]
	v_sub_u32_e32 v2, 29, v19
	v_and_b32_e32 v1, 7, v1
	v_cndmask_b32_e32 v2, v18, v2, vcc
	v_cndmask_b32_e32 v1, v3, v1, vcc
	v_lshlrev_b32_e32 v3, 24, v30
	v_lshlrev_b32_e32 v1, 20, v1
	v_and_b32_e32 v3, 0x80000000, v3
	v_lshl_add_u32 v2, v2, 23, v62
	v_or3_b32 v1, v3, v2, v1
.LBB4_3561:                             ;   in Loop: Header=BB4_3228 Depth=2
	s_or_b64 exec, exec, s[90:91]
.LBB4_3562:                             ;   in Loop: Header=BB4_3228 Depth=2
	s_or_b64 exec, exec, s[20:21]
.LBB4_3563:                             ;   in Loop: Header=BB4_3228 Depth=2
	s_or_b64 exec, exec, s[18:19]
	v_max_f32_e32 v1, v1, v1
	v_max_f32_e32 v0, v0, v0
	v_min_f32_e32 v1, v0, v1
.LBB4_3564:                             ;   in Loop: Header=BB4_3228 Depth=2
	v_and_b32_e32 v50, 0x7f800000, v1
	v_cmp_ne_u64_e32 vcc, s[62:63], v[50:51]
                                        ; implicit-def: $vgpr30
	s_and_saveexec_b64 s[18:19], vcc
	s_xor_b64 s[20:21], exec, s[18:19]
	s_cbranch_execz .LBB4_3578
; %bb.3565:                             ;   in Loop: Header=BB4_3228 Depth=2
	v_and_b32_e32 v50, 0x7fffffff, v1
	v_cmp_gt_u64_e32 vcc, s[72:73], v[50:51]
	v_and_b32_sdwa v0, v1, s49 dst_sel:DWORD dst_unused:UNUSED_PAD src0_sel:BYTE_3 src1_sel:DWORD
                                        ; implicit-def: $vgpr30
	s_and_saveexec_b64 s[18:19], vcc
	s_xor_b64 s[90:91], exec, s[18:19]
	s_cbranch_execz .LBB4_3575
; %bb.3566:                             ;   in Loop: Header=BB4_3228 Depth=2
	v_mov_b32_e32 v30, 0
	v_cmp_ne_u32_e32 vcc, 0, v1
	s_and_saveexec_b64 s[92:93], vcc
	s_cbranch_execz .LBB4_3574
; %bb.3567:                             ;   in Loop: Header=BB4_3228 Depth=2
	v_and_b32_e32 v3, 0x7fffff, v1
	v_bfe_u32 v1, v1, 23, 8
	v_cmp_gt_u32_e64 s[18:19], s53, v1
	v_sub_u32_e32 v2, 0x79, v1
	v_cmp_eq_u32_e32 vcc, 0, v1
	v_cndmask_b32_e64 v2, 0, v2, s[18:19]
	v_mov_b32_e32 v19, 0x78
	v_or_b32_e32 v18, 0x800000, v3
	v_cndmask_b32_e32 v2, v2, v19, vcc
	v_cndmask_b32_e32 v50, v18, v3, vcc
	v_add_u32_e32 v3, 20, v2
	v_lshlrev_b64 v[18:19], v3, -1
	v_add_u32_e32 v3, 19, v2
	v_lshlrev_b64 v[22:23], v3, 1
	v_bfi_b32 v19, v19, 0, 0
	v_bfi_b32 v18, v18, 0, v50
	v_cmp_eq_u64_e64 s[18:19], v[18:19], v[22:23]
	v_lshrrev_b64 v[18:19], v2, v[50:51]
	v_mov_b32_e32 v23, v19
	v_mov_b32_e32 v22, v18
	s_and_saveexec_b64 s[94:95], s[18:19]
; %bb.3568:                             ;   in Loop: Header=BB4_3228 Depth=2
	v_bfe_u32 v3, v18, 20, 1
	v_add_co_u32_e64 v3, s[18:19], v18, v3
	v_add_co_u32_e64 v22, s[18:19], -1, v3
; %bb.3569:                             ;   in Loop: Header=BB4_3228 Depth=2
	s_or_b64 exec, exec, s[94:95]
	v_add_u32_e32 v1, 0xffffff81, v1
	v_cndmask_b32_e32 v1, v1, v49, vcc
	v_lshrrev_b32_e32 v3, 23, v18
	v_add3_u32 v3, v2, v1, v3
	v_add_u32_e32 v2, 6, v3
	v_and_b32_e32 v1, 0xfffff, v22
	v_add_u32_e32 v50, v1, v18
	v_cmp_ne_u32_e32 vcc, 0, v2
                                        ; implicit-def: $vgpr18_vgpr19
                                        ; implicit-def: $vgpr1
	s_and_saveexec_b64 s[18:19], vcc
	s_xor_b64 s[18:19], exec, s[18:19]
; %bb.3570:                             ;   in Loop: Header=BB4_3228 Depth=2
	v_cmp_lt_u64_e32 vcc, s[74:75], v[50:51]
	v_add_u32_e32 v1, 7, v3
	v_cndmask_b32_e32 v1, v2, v1, vcc
	v_cndmask_b32_e64 v2, 0, 1, vcc
	v_lshrrev_b64 v[18:19], v2, v[50:51]
; %bb.3571:                             ;   in Loop: Header=BB4_3228 Depth=2
	s_andn2_saveexec_b64 s[18:19], s[18:19]
; %bb.3572:                             ;   in Loop: Header=BB4_3228 Depth=2
	v_mov_b32_e32 v18, v50
	v_bfe_u32 v1, v50, 23, 1
	v_mov_b32_e32 v19, v51
; %bb.3573:                             ;   in Loop: Header=BB4_3228 Depth=2
	s_or_b64 exec, exec, s[18:19]
	v_lshrrev_b64 v[2:3], 20, v[18:19]
	v_cmp_gt_i32_e32 vcc, 16, v1
	v_cndmask_b32_e32 v3, 0, v3, vcc
	v_cndmask_b32_e32 v2, 7, v2, vcc
	v_cmp_eq_u32_e32 vcc, 0, v1
	v_min_i32_e32 v1, 15, v1
	v_cmp_eq_u64_e64 s[18:19], 0, v[2:3]
	v_lshlrev_b32_e32 v1, 3, v1
	v_and_b32_e32 v1, 0xf8, v1
	v_and_or_b32 v1, v2, 7, v1
	s_and_b64 s[18:19], vcc, s[18:19]
	v_cndmask_b32_e64 v1, v1, 0, s[18:19]
	v_or_b32_e32 v30, v1, v0
.LBB4_3574:                             ;   in Loop: Header=BB4_3228 Depth=2
	s_or_b64 exec, exec, s[92:93]
                                        ; implicit-def: $vgpr0
.LBB4_3575:                             ;   in Loop: Header=BB4_3228 Depth=2
	s_andn2_saveexec_b64 s[18:19], s[90:91]
; %bb.3576:                             ;   in Loop: Header=BB4_3228 Depth=2
	v_or_b32_e32 v30, 0x7e, v0
; %bb.3577:                             ;   in Loop: Header=BB4_3228 Depth=2
	s_or_b64 exec, exec, s[18:19]
                                        ; implicit-def: $vgpr1
.LBB4_3578:                             ;   in Loop: Header=BB4_3228 Depth=2
	s_andn2_saveexec_b64 s[18:19], s[20:21]
; %bb.3579:                             ;   in Loop: Header=BB4_3228 Depth=2
	v_or_b32_sdwa v30, v1, s51 dst_sel:DWORD dst_unused:UNUSED_PAD src0_sel:BYTE_3 src1_sel:DWORD
; %bb.3580:                             ;   in Loop: Header=BB4_3228 Depth=2
	s_or_b64 exec, exec, s[18:19]
	v_cmp_ne_u16_sdwa s[18:19], v24, v51 src0_sel:BYTE_0 src1_sel:DWORD
	s_mov_b64 s[20:21], -1
	s_and_b64 vcc, exec, s[26:27]
                                        ; implicit-def: $vgpr1
	s_cbranch_vccz .LBB4_3594
; %bb.3581:                             ;   in Loop: Header=BB4_3228 Depth=2
	v_mov_b32_e32 v1, 0
	v_mov_b32_e32 v0, 0
	s_and_saveexec_b64 s[20:21], s[18:19]
	s_cbranch_execz .LBB4_3587
; %bb.3582:                             ;   in Loop: Header=BB4_3228 Depth=2
	v_cmp_ne_u16_sdwa s[92:93], v24, s49 src0_sel:BYTE_0 src1_sel:DWORD
	v_bfrev_b32_e32 v0, 1
	s_and_saveexec_b64 s[90:91], s[92:93]
	s_cbranch_execz .LBB4_3586
; %bb.3583:                             ;   in Loop: Header=BB4_3228 Depth=2
	v_and_b32_e32 v2, 0x7f, v24
	v_cmp_ne_u32_e32 vcc, s51, v2
	v_mov_b32_e32 v0, 0x7f800001
	s_and_saveexec_b64 s[92:93], vcc
	s_cbranch_execz .LBB4_3585
; %bb.3584:                             ;   in Loop: Header=BB4_3228 Depth=2
	v_and_b32_e32 v0, 7, v24
	v_ffbh_u32_e32 v0, v0
	v_min_u32_e32 v0, 32, v0
	v_lshrrev_b32_e32 v3, 3, v2
	v_cmp_gt_u32_e32 vcc, 8, v2
	v_subrev_u32_e32 v2, 28, v0
	v_sub_u32_e32 v0, 29, v0
	v_cndmask_b32_e32 v2, 0, v2, vcc
	v_cndmask_b32_e32 v0, v3, v0, vcc
	v_lshlrev_b64 v[2:3], v2, v[24:25]
	v_lshlrev_b32_e32 v3, 24, v24
	v_lshlrev_b32_e32 v2, 20, v2
	v_and_b32_e32 v2, 0x700000, v2
	v_and_b32_e32 v3, 0x80000000, v3
	v_lshl_add_u32 v0, v0, 23, v62
	v_or3_b32 v0, v3, v0, v2
.LBB4_3585:                             ;   in Loop: Header=BB4_3228 Depth=2
	s_or_b64 exec, exec, s[92:93]
.LBB4_3586:                             ;   in Loop: Header=BB4_3228 Depth=2
	s_or_b64 exec, exec, s[90:91]
.LBB4_3587:                             ;   in Loop: Header=BB4_3228 Depth=2
	s_or_b64 exec, exec, s[20:21]
	v_cmp_ne_u16_sdwa s[90:91], v20, v51 src0_sel:BYTE_0 src1_sel:DWORD
	s_and_saveexec_b64 s[20:21], s[90:91]
	s_cbranch_execz .LBB4_3593
; %bb.3588:                             ;   in Loop: Header=BB4_3228 Depth=2
	v_cmp_ne_u16_sdwa s[92:93], v20, s49 src0_sel:BYTE_0 src1_sel:DWORD
	v_bfrev_b32_e32 v1, 1
	s_and_saveexec_b64 s[90:91], s[92:93]
	s_cbranch_execz .LBB4_3592
; %bb.3589:                             ;   in Loop: Header=BB4_3228 Depth=2
	v_and_b32_e32 v2, 0x7f, v20
	v_cmp_ne_u32_e32 vcc, s51, v2
	v_mov_b32_e32 v1, 0x7f800001
	s_and_saveexec_b64 s[92:93], vcc
	s_cbranch_execz .LBB4_3591
; %bb.3590:                             ;   in Loop: Header=BB4_3228 Depth=2
	v_and_b32_e32 v1, 7, v20
	v_ffbh_u32_e32 v1, v1
	v_min_u32_e32 v1, 32, v1
	v_lshrrev_b32_e32 v3, 3, v2
	v_cmp_gt_u32_e32 vcc, 8, v2
	v_subrev_u32_e32 v2, 28, v1
	v_sub_u32_e32 v1, 29, v1
	v_cndmask_b32_e32 v3, v3, v1, vcc
	v_cndmask_b32_e32 v1, 0, v2, vcc
	v_lshlrev_b64 v[1:2], v1, v[20:21]
	v_lshlrev_b32_e32 v2, 24, v20
	v_lshlrev_b32_e32 v1, 20, v1
	v_and_b32_e32 v1, 0x700000, v1
	v_and_b32_e32 v2, 0x80000000, v2
	v_lshl_add_u32 v3, v3, 23, v62
	v_or3_b32 v1, v2, v3, v1
.LBB4_3591:                             ;   in Loop: Header=BB4_3228 Depth=2
	s_or_b64 exec, exec, s[92:93]
.LBB4_3592:                             ;   in Loop: Header=BB4_3228 Depth=2
	s_or_b64 exec, exec, s[90:91]
.LBB4_3593:                             ;   in Loop: Header=BB4_3228 Depth=2
	s_or_b64 exec, exec, s[20:21]
	v_max_f32_e32 v1, v1, v1
	v_max_f32_e32 v0, v0, v0
	v_max_f32_e32 v1, v0, v1
	s_mov_b64 s[20:21], 0
.LBB4_3594:                             ;   in Loop: Header=BB4_3228 Depth=2
	s_and_b64 vcc, exec, s[20:21]
	s_cbranch_vccz .LBB4_3608
; %bb.3595:                             ;   in Loop: Header=BB4_3228 Depth=2
	v_mov_b32_e32 v1, 0
	v_mov_b32_e32 v0, 0
	s_and_saveexec_b64 s[20:21], s[18:19]
	s_cbranch_execz .LBB4_3601
; %bb.3596:                             ;   in Loop: Header=BB4_3228 Depth=2
	v_cmp_ne_u16_sdwa s[90:91], v24, s49 src0_sel:BYTE_0 src1_sel:DWORD
	v_bfrev_b32_e32 v0, 1
	s_and_saveexec_b64 s[18:19], s[90:91]
	s_cbranch_execz .LBB4_3600
; %bb.3597:                             ;   in Loop: Header=BB4_3228 Depth=2
	v_and_b32_e32 v2, 0x7f, v24
	v_cmp_ne_u32_e32 vcc, s51, v2
	v_mov_b32_e32 v0, 0x7f800001
	s_and_saveexec_b64 s[90:91], vcc
	s_cbranch_execz .LBB4_3599
; %bb.3598:                             ;   in Loop: Header=BB4_3228 Depth=2
	v_and_b32_e32 v0, 7, v24
	v_ffbh_u32_e32 v0, v0
	v_min_u32_e32 v0, 32, v0
	v_lshrrev_b32_e32 v3, 3, v2
	v_cmp_gt_u32_e32 vcc, 8, v2
	v_subrev_u32_e32 v2, 28, v0
	v_sub_u32_e32 v0, 29, v0
	v_cndmask_b32_e32 v2, 0, v2, vcc
	v_cndmask_b32_e32 v0, v3, v0, vcc
	v_lshlrev_b64 v[2:3], v2, v[24:25]
	v_lshlrev_b32_e32 v3, 24, v24
	v_lshlrev_b32_e32 v2, 20, v2
	v_and_b32_e32 v2, 0x700000, v2
	v_and_b32_e32 v3, 0x80000000, v3
	v_lshl_add_u32 v0, v0, 23, v62
	v_or3_b32 v0, v3, v0, v2
.LBB4_3599:                             ;   in Loop: Header=BB4_3228 Depth=2
	s_or_b64 exec, exec, s[90:91]
.LBB4_3600:                             ;   in Loop: Header=BB4_3228 Depth=2
	s_or_b64 exec, exec, s[18:19]
.LBB4_3601:                             ;   in Loop: Header=BB4_3228 Depth=2
	s_or_b64 exec, exec, s[20:21]
	v_cmp_ne_u16_sdwa s[20:21], v20, v51 src0_sel:BYTE_0 src1_sel:DWORD
	s_and_saveexec_b64 s[18:19], s[20:21]
	s_cbranch_execz .LBB4_3607
; %bb.3602:                             ;   in Loop: Header=BB4_3228 Depth=2
	v_cmp_ne_u16_sdwa s[90:91], v20, s49 src0_sel:BYTE_0 src1_sel:DWORD
	v_bfrev_b32_e32 v1, 1
	s_and_saveexec_b64 s[20:21], s[90:91]
	s_cbranch_execz .LBB4_3606
; %bb.3603:                             ;   in Loop: Header=BB4_3228 Depth=2
	v_and_b32_e32 v2, 0x7f, v20
	v_cmp_ne_u32_e32 vcc, s51, v2
	v_mov_b32_e32 v1, 0x7f800001
	s_and_saveexec_b64 s[90:91], vcc
	s_cbranch_execz .LBB4_3605
; %bb.3604:                             ;   in Loop: Header=BB4_3228 Depth=2
	v_and_b32_e32 v1, 7, v20
	v_ffbh_u32_e32 v1, v1
	v_min_u32_e32 v1, 32, v1
	v_lshrrev_b32_e32 v3, 3, v2
	v_cmp_gt_u32_e32 vcc, 8, v2
	v_subrev_u32_e32 v2, 28, v1
	v_sub_u32_e32 v1, 29, v1
	v_cndmask_b32_e32 v3, v3, v1, vcc
	v_cndmask_b32_e32 v1, 0, v2, vcc
	v_lshlrev_b64 v[1:2], v1, v[20:21]
	v_lshlrev_b32_e32 v2, 24, v20
	v_lshlrev_b32_e32 v1, 20, v1
	v_and_b32_e32 v1, 0x700000, v1
	v_and_b32_e32 v2, 0x80000000, v2
	v_lshl_add_u32 v3, v3, 23, v62
	v_or3_b32 v1, v2, v3, v1
.LBB4_3605:                             ;   in Loop: Header=BB4_3228 Depth=2
	s_or_b64 exec, exec, s[90:91]
.LBB4_3606:                             ;   in Loop: Header=BB4_3228 Depth=2
	s_or_b64 exec, exec, s[20:21]
.LBB4_3607:                             ;   in Loop: Header=BB4_3228 Depth=2
	s_or_b64 exec, exec, s[18:19]
	v_max_f32_e32 v1, v1, v1
	v_max_f32_e32 v0, v0, v0
	v_min_f32_e32 v1, v0, v1
.LBB4_3608:                             ;   in Loop: Header=BB4_3228 Depth=2
	v_and_b32_e32 v50, 0x7f800000, v1
	v_cmp_ne_u64_e32 vcc, s[62:63], v[50:51]
                                        ; implicit-def: $vgpr29
	s_and_saveexec_b64 s[18:19], vcc
	s_xor_b64 s[20:21], exec, s[18:19]
	s_cbranch_execz .LBB4_3622
; %bb.3609:                             ;   in Loop: Header=BB4_3228 Depth=2
	v_and_b32_e32 v50, 0x7fffffff, v1
	v_cmp_gt_u64_e32 vcc, s[72:73], v[50:51]
	v_and_b32_sdwa v0, v1, s49 dst_sel:DWORD dst_unused:UNUSED_PAD src0_sel:BYTE_3 src1_sel:DWORD
                                        ; implicit-def: $vgpr29
	s_and_saveexec_b64 s[18:19], vcc
	s_xor_b64 s[90:91], exec, s[18:19]
	s_cbranch_execz .LBB4_3619
; %bb.3610:                             ;   in Loop: Header=BB4_3228 Depth=2
	v_mov_b32_e32 v29, 0
	v_cmp_ne_u32_e32 vcc, 0, v1
	s_and_saveexec_b64 s[92:93], vcc
	s_cbranch_execz .LBB4_3618
; %bb.3611:                             ;   in Loop: Header=BB4_3228 Depth=2
	v_and_b32_e32 v3, 0x7fffff, v1
	v_bfe_u32 v1, v1, 23, 8
	v_cmp_gt_u32_e64 s[18:19], s53, v1
	v_sub_u32_e32 v2, 0x79, v1
	v_cmp_eq_u32_e32 vcc, 0, v1
	v_cndmask_b32_e64 v2, 0, v2, s[18:19]
	v_mov_b32_e32 v19, 0x78
	v_or_b32_e32 v18, 0x800000, v3
	v_cndmask_b32_e32 v2, v2, v19, vcc
	v_cndmask_b32_e32 v50, v18, v3, vcc
	v_add_u32_e32 v3, 20, v2
	v_lshlrev_b64 v[18:19], v3, -1
	v_add_u32_e32 v3, 19, v2
	v_lshlrev_b64 v[22:23], v3, 1
	v_bfi_b32 v19, v19, 0, 0
	v_bfi_b32 v18, v18, 0, v50
	v_cmp_eq_u64_e64 s[18:19], v[18:19], v[22:23]
	v_lshrrev_b64 v[18:19], v2, v[50:51]
	v_mov_b32_e32 v23, v19
	v_mov_b32_e32 v22, v18
	s_and_saveexec_b64 s[94:95], s[18:19]
; %bb.3612:                             ;   in Loop: Header=BB4_3228 Depth=2
	v_bfe_u32 v3, v18, 20, 1
	v_add_co_u32_e64 v3, s[18:19], v18, v3
	v_add_co_u32_e64 v22, s[18:19], -1, v3
; %bb.3613:                             ;   in Loop: Header=BB4_3228 Depth=2
	s_or_b64 exec, exec, s[94:95]
	v_add_u32_e32 v1, 0xffffff81, v1
	v_cndmask_b32_e32 v1, v1, v49, vcc
	v_lshrrev_b32_e32 v3, 23, v18
	v_add3_u32 v3, v2, v1, v3
	v_add_u32_e32 v2, 6, v3
	v_and_b32_e32 v1, 0xfffff, v22
	v_add_u32_e32 v50, v1, v18
	v_cmp_ne_u32_e32 vcc, 0, v2
                                        ; implicit-def: $vgpr18_vgpr19
                                        ; implicit-def: $vgpr1
	s_and_saveexec_b64 s[18:19], vcc
	s_xor_b64 s[18:19], exec, s[18:19]
; %bb.3614:                             ;   in Loop: Header=BB4_3228 Depth=2
	v_cmp_lt_u64_e32 vcc, s[74:75], v[50:51]
	v_add_u32_e32 v1, 7, v3
	v_cndmask_b32_e32 v1, v2, v1, vcc
	v_cndmask_b32_e64 v2, 0, 1, vcc
	v_lshrrev_b64 v[18:19], v2, v[50:51]
; %bb.3615:                             ;   in Loop: Header=BB4_3228 Depth=2
	s_andn2_saveexec_b64 s[18:19], s[18:19]
; %bb.3616:                             ;   in Loop: Header=BB4_3228 Depth=2
	v_mov_b32_e32 v18, v50
	v_bfe_u32 v1, v50, 23, 1
	v_mov_b32_e32 v19, v51
; %bb.3617:                             ;   in Loop: Header=BB4_3228 Depth=2
	s_or_b64 exec, exec, s[18:19]
	v_lshrrev_b64 v[2:3], 20, v[18:19]
	v_cmp_gt_i32_e32 vcc, 16, v1
	v_cndmask_b32_e32 v3, 0, v3, vcc
	v_cndmask_b32_e32 v2, 7, v2, vcc
	v_cmp_eq_u32_e32 vcc, 0, v1
	v_min_i32_e32 v1, 15, v1
	v_cmp_eq_u64_e64 s[18:19], 0, v[2:3]
	v_lshlrev_b32_e32 v1, 3, v1
	v_and_b32_e32 v1, 0xf8, v1
	v_and_or_b32 v1, v2, 7, v1
	s_and_b64 s[18:19], vcc, s[18:19]
	v_cndmask_b32_e64 v1, v1, 0, s[18:19]
	v_or_b32_e32 v29, v1, v0
.LBB4_3618:                             ;   in Loop: Header=BB4_3228 Depth=2
	s_or_b64 exec, exec, s[92:93]
                                        ; implicit-def: $vgpr0
.LBB4_3619:                             ;   in Loop: Header=BB4_3228 Depth=2
	s_andn2_saveexec_b64 s[18:19], s[90:91]
; %bb.3620:                             ;   in Loop: Header=BB4_3228 Depth=2
	v_or_b32_e32 v29, 0x7e, v0
; %bb.3621:                             ;   in Loop: Header=BB4_3228 Depth=2
	s_or_b64 exec, exec, s[18:19]
                                        ; implicit-def: $vgpr1
.LBB4_3622:                             ;   in Loop: Header=BB4_3228 Depth=2
	s_andn2_saveexec_b64 s[18:19], s[20:21]
; %bb.3623:                             ;   in Loop: Header=BB4_3228 Depth=2
	v_or_b32_sdwa v29, v1, s51 dst_sel:DWORD dst_unused:UNUSED_PAD src0_sel:BYTE_3 src1_sel:DWORD
; %bb.3624:                             ;   in Loop: Header=BB4_3228 Depth=2
	s_or_b64 exec, exec, s[18:19]
	v_lshrrev_b16_e32 v19, 8, v24
	v_lshrrev_b16_e32 v18, 8, v20
	v_cmp_ne_u16_e64 s[18:19], 0, v19
	s_mov_b64 s[20:21], -1
	s_and_b64 vcc, exec, s[26:27]
                                        ; implicit-def: $vgpr2
	s_cbranch_vccz .LBB4_3638
; %bb.3625:                             ;   in Loop: Header=BB4_3228 Depth=2
	v_mov_b32_e32 v1, 0
	v_mov_b32_e32 v0, 0
	s_and_saveexec_b64 s[20:21], s[18:19]
	s_cbranch_execz .LBB4_3631
; %bb.3626:                             ;   in Loop: Header=BB4_3228 Depth=2
	v_cmp_ne_u16_e32 vcc, s49, v19
	v_bfrev_b32_e32 v0, 1
	s_and_saveexec_b64 s[90:91], vcc
	s_cbranch_execz .LBB4_3630
; %bb.3627:                             ;   in Loop: Header=BB4_3228 Depth=2
	v_and_b32_e32 v2, 0x7f, v19
	v_cmp_ne_u32_e32 vcc, s51, v2
	v_mov_b32_e32 v0, 0x7f800001
	s_and_saveexec_b64 s[92:93], vcc
	s_cbranch_execz .LBB4_3629
; %bb.3628:                             ;   in Loop: Header=BB4_3228 Depth=2
	v_and_b32_e32 v0, 7, v19
	v_lshrrev_b32_e32 v22, 3, v2
	v_cmp_gt_u32_e32 vcc, 8, v2
	v_ffbh_u32_e32 v2, v0
	v_min_u32_e32 v23, 32, v2
	v_subrev_u32_e32 v2, 28, v23
	v_lshlrev_b64 v[2:3], v2, v[19:20]
	v_sub_u32_e32 v3, 29, v23
	v_and_b32_e32 v2, 7, v2
	v_cndmask_b32_e32 v3, v22, v3, vcc
	v_cndmask_b32_e32 v0, v0, v2, vcc
	v_lshlrev_b32_e32 v2, 16, v24
	v_lshlrev_b32_e32 v0, 20, v0
	v_and_b32_e32 v2, 0x80000000, v2
	v_lshl_add_u32 v3, v3, 23, v62
	v_or3_b32 v0, v2, v3, v0
.LBB4_3629:                             ;   in Loop: Header=BB4_3228 Depth=2
	s_or_b64 exec, exec, s[92:93]
.LBB4_3630:                             ;   in Loop: Header=BB4_3228 Depth=2
	s_or_b64 exec, exec, s[90:91]
.LBB4_3631:                             ;   in Loop: Header=BB4_3228 Depth=2
	s_or_b64 exec, exec, s[20:21]
	v_cmp_ne_u16_e32 vcc, 0, v18
	s_and_saveexec_b64 s[20:21], vcc
	s_cbranch_execz .LBB4_3637
; %bb.3632:                             ;   in Loop: Header=BB4_3228 Depth=2
	v_cmp_ne_u16_e32 vcc, s49, v18
	v_bfrev_b32_e32 v1, 1
	s_and_saveexec_b64 s[90:91], vcc
	s_cbranch_execz .LBB4_3636
; %bb.3633:                             ;   in Loop: Header=BB4_3228 Depth=2
	v_and_b32_e32 v2, 0x7f, v18
	v_cmp_ne_u32_e32 vcc, s51, v2
	v_mov_b32_e32 v1, 0x7f800001
	s_and_saveexec_b64 s[92:93], vcc
	s_cbranch_execz .LBB4_3635
; %bb.3634:                             ;   in Loop: Header=BB4_3228 Depth=2
	v_and_b32_e32 v3, 7, v18
	v_ffbh_u32_e32 v1, v3
	v_min_u32_e32 v23, 32, v1
	v_subrev_u32_e32 v1, 28, v23
	v_lshrrev_b32_e32 v22, 3, v2
	v_cmp_gt_u32_e32 vcc, 8, v2
	v_lshlrev_b64 v[1:2], v1, v[18:19]
	v_sub_u32_e32 v2, 29, v23
	v_and_b32_e32 v1, 7, v1
	v_cndmask_b32_e32 v2, v22, v2, vcc
	v_cndmask_b32_e32 v1, v3, v1, vcc
	v_lshlrev_b32_e32 v3, 16, v20
	v_lshlrev_b32_e32 v1, 20, v1
	v_and_b32_e32 v3, 0x80000000, v3
	v_lshl_add_u32 v2, v2, 23, v62
	v_or3_b32 v1, v3, v2, v1
.LBB4_3635:                             ;   in Loop: Header=BB4_3228 Depth=2
	s_or_b64 exec, exec, s[92:93]
.LBB4_3636:                             ;   in Loop: Header=BB4_3228 Depth=2
	s_or_b64 exec, exec, s[90:91]
.LBB4_3637:                             ;   in Loop: Header=BB4_3228 Depth=2
	s_or_b64 exec, exec, s[20:21]
	v_max_f32_e32 v1, v1, v1
	v_max_f32_e32 v0, v0, v0
	;; [unrolled: 1-line block ×3, first 2 shown]
	s_mov_b64 s[20:21], 0
.LBB4_3638:                             ;   in Loop: Header=BB4_3228 Depth=2
	s_and_b64 vcc, exec, s[20:21]
	s_cbranch_vccz .LBB4_3652
; %bb.3639:                             ;   in Loop: Header=BB4_3228 Depth=2
	v_mov_b32_e32 v1, 0
	v_mov_b32_e32 v0, 0
	s_and_saveexec_b64 s[20:21], s[18:19]
	s_cbranch_execz .LBB4_3645
; %bb.3640:                             ;   in Loop: Header=BB4_3228 Depth=2
	v_cmp_ne_u16_e32 vcc, s49, v19
	v_bfrev_b32_e32 v0, 1
	s_and_saveexec_b64 s[18:19], vcc
	s_cbranch_execz .LBB4_3644
; %bb.3641:                             ;   in Loop: Header=BB4_3228 Depth=2
	v_and_b32_e32 v2, 0x7f, v19
	v_cmp_ne_u32_e32 vcc, s51, v2
	v_mov_b32_e32 v0, 0x7f800001
	s_and_saveexec_b64 s[90:91], vcc
	s_cbranch_execz .LBB4_3643
; %bb.3642:                             ;   in Loop: Header=BB4_3228 Depth=2
	v_and_b32_e32 v0, 7, v19
	v_lshrrev_b32_e32 v22, 3, v2
	v_cmp_gt_u32_e32 vcc, 8, v2
	v_ffbh_u32_e32 v2, v0
	v_min_u32_e32 v23, 32, v2
	v_subrev_u32_e32 v2, 28, v23
	v_lshlrev_b64 v[2:3], v2, v[19:20]
	v_sub_u32_e32 v3, 29, v23
	v_and_b32_e32 v2, 7, v2
	v_cndmask_b32_e32 v3, v22, v3, vcc
	v_cndmask_b32_e32 v0, v0, v2, vcc
	v_lshlrev_b32_e32 v2, 16, v24
	v_lshlrev_b32_e32 v0, 20, v0
	v_and_b32_e32 v2, 0x80000000, v2
	v_lshl_add_u32 v3, v3, 23, v62
	v_or3_b32 v0, v2, v3, v0
.LBB4_3643:                             ;   in Loop: Header=BB4_3228 Depth=2
	s_or_b64 exec, exec, s[90:91]
.LBB4_3644:                             ;   in Loop: Header=BB4_3228 Depth=2
	s_or_b64 exec, exec, s[18:19]
.LBB4_3645:                             ;   in Loop: Header=BB4_3228 Depth=2
	s_or_b64 exec, exec, s[20:21]
	v_cmp_ne_u16_e32 vcc, 0, v18
	s_and_saveexec_b64 s[18:19], vcc
	s_cbranch_execz .LBB4_3651
; %bb.3646:                             ;   in Loop: Header=BB4_3228 Depth=2
	v_cmp_ne_u16_e32 vcc, s49, v18
	v_bfrev_b32_e32 v1, 1
	s_and_saveexec_b64 s[20:21], vcc
	s_cbranch_execz .LBB4_3650
; %bb.3647:                             ;   in Loop: Header=BB4_3228 Depth=2
	v_and_b32_e32 v2, 0x7f, v18
	v_cmp_ne_u32_e32 vcc, s51, v2
	v_mov_b32_e32 v1, 0x7f800001
	s_and_saveexec_b64 s[90:91], vcc
	s_cbranch_execz .LBB4_3649
; %bb.3648:                             ;   in Loop: Header=BB4_3228 Depth=2
	v_and_b32_e32 v3, 7, v18
	v_ffbh_u32_e32 v1, v3
	v_min_u32_e32 v22, 32, v1
	v_lshrrev_b32_e32 v19, 3, v2
	v_subrev_u32_e32 v1, 28, v22
	v_cmp_gt_u32_e32 vcc, 8, v2
	v_lshlrev_b64 v[1:2], v1, v[18:19]
	v_sub_u32_e32 v2, 29, v22
	v_and_b32_e32 v1, 7, v1
	v_cndmask_b32_e32 v2, v19, v2, vcc
	v_cndmask_b32_e32 v1, v3, v1, vcc
	v_lshlrev_b32_e32 v3, 16, v20
	v_lshlrev_b32_e32 v1, 20, v1
	v_and_b32_e32 v3, 0x80000000, v3
	v_lshl_add_u32 v2, v2, 23, v62
	v_or3_b32 v1, v3, v2, v1
.LBB4_3649:                             ;   in Loop: Header=BB4_3228 Depth=2
	s_or_b64 exec, exec, s[90:91]
.LBB4_3650:                             ;   in Loop: Header=BB4_3228 Depth=2
	s_or_b64 exec, exec, s[20:21]
.LBB4_3651:                             ;   in Loop: Header=BB4_3228 Depth=2
	s_or_b64 exec, exec, s[18:19]
	v_max_f32_e32 v1, v1, v1
	v_max_f32_e32 v0, v0, v0
	v_min_f32_e32 v2, v0, v1
.LBB4_3652:                             ;   in Loop: Header=BB4_3228 Depth=2
	v_and_b32_e32 v50, 0x7f800000, v2
	v_cmp_ne_u64_e32 vcc, s[62:63], v[50:51]
                                        ; implicit-def: $vgpr0
	s_and_saveexec_b64 s[18:19], vcc
	s_xor_b64 s[20:21], exec, s[18:19]
	s_cbranch_execz .LBB4_3666
; %bb.3653:                             ;   in Loop: Header=BB4_3228 Depth=2
	v_and_b32_e32 v50, 0x7fffffff, v2
	v_cmp_gt_u64_e32 vcc, s[72:73], v[50:51]
	v_and_b32_sdwa v1, v2, s49 dst_sel:DWORD dst_unused:UNUSED_PAD src0_sel:BYTE_3 src1_sel:DWORD
                                        ; implicit-def: $vgpr0
	s_and_saveexec_b64 s[18:19], vcc
	s_xor_b64 s[90:91], exec, s[18:19]
	s_cbranch_execz .LBB4_3663
; %bb.3654:                             ;   in Loop: Header=BB4_3228 Depth=2
	v_mov_b32_e32 v0, 0
	v_cmp_ne_u32_e32 vcc, 0, v2
	s_and_saveexec_b64 s[92:93], vcc
	s_cbranch_execz .LBB4_3662
; %bb.3655:                             ;   in Loop: Header=BB4_3228 Depth=2
	v_bfe_u32 v0, v2, 23, 8
	v_and_b32_e32 v3, 0x7fffff, v2
	v_cmp_gt_u32_e64 s[18:19], s53, v0
	v_sub_u32_e32 v2, 0x79, v0
	v_cmp_eq_u32_e32 vcc, 0, v0
	v_cndmask_b32_e64 v2, 0, v2, s[18:19]
	v_mov_b32_e32 v19, 0x78
	v_or_b32_e32 v18, 0x800000, v3
	v_cndmask_b32_e32 v2, v2, v19, vcc
	v_cndmask_b32_e32 v50, v18, v3, vcc
	v_add_u32_e32 v3, 20, v2
	v_lshlrev_b64 v[18:19], v3, -1
	v_add_u32_e32 v3, 19, v2
	v_lshlrev_b64 v[22:23], v3, 1
	v_bfi_b32 v19, v19, 0, 0
	v_bfi_b32 v18, v18, 0, v50
	v_cmp_eq_u64_e64 s[18:19], v[18:19], v[22:23]
	v_lshrrev_b64 v[18:19], v2, v[50:51]
	v_mov_b32_e32 v23, v19
	v_mov_b32_e32 v22, v18
	s_and_saveexec_b64 s[94:95], s[18:19]
; %bb.3656:                             ;   in Loop: Header=BB4_3228 Depth=2
	v_bfe_u32 v3, v18, 20, 1
	v_add_co_u32_e64 v3, s[18:19], v18, v3
	v_add_co_u32_e64 v22, s[18:19], -1, v3
; %bb.3657:                             ;   in Loop: Header=BB4_3228 Depth=2
	s_or_b64 exec, exec, s[94:95]
	v_add_u32_e32 v0, 0xffffff81, v0
	v_cndmask_b32_e32 v0, v0, v49, vcc
	v_lshrrev_b32_e32 v3, 23, v18
	v_add3_u32 v3, v2, v0, v3
	v_add_u32_e32 v2, 6, v3
	v_and_b32_e32 v0, 0xfffff, v22
	v_add_u32_e32 v50, v0, v18
	v_cmp_ne_u32_e32 vcc, 0, v2
                                        ; implicit-def: $vgpr18_vgpr19
                                        ; implicit-def: $vgpr0
	s_and_saveexec_b64 s[18:19], vcc
	s_xor_b64 s[18:19], exec, s[18:19]
; %bb.3658:                             ;   in Loop: Header=BB4_3228 Depth=2
	v_cmp_lt_u64_e32 vcc, s[74:75], v[50:51]
	v_add_u32_e32 v0, 7, v3
	v_cndmask_b32_e32 v0, v2, v0, vcc
	v_cndmask_b32_e64 v2, 0, 1, vcc
	v_lshrrev_b64 v[18:19], v2, v[50:51]
; %bb.3659:                             ;   in Loop: Header=BB4_3228 Depth=2
	s_andn2_saveexec_b64 s[18:19], s[18:19]
; %bb.3660:                             ;   in Loop: Header=BB4_3228 Depth=2
	v_mov_b32_e32 v18, v50
	v_bfe_u32 v0, v50, 23, 1
	v_mov_b32_e32 v19, v51
; %bb.3661:                             ;   in Loop: Header=BB4_3228 Depth=2
	s_or_b64 exec, exec, s[18:19]
	v_lshrrev_b64 v[2:3], 20, v[18:19]
	v_cmp_gt_i32_e32 vcc, 16, v0
	v_cndmask_b32_e32 v3, 0, v3, vcc
	v_cndmask_b32_e32 v2, 7, v2, vcc
	v_cmp_eq_u32_e32 vcc, 0, v0
	v_min_i32_e32 v0, 15, v0
	v_cmp_eq_u64_e64 s[18:19], 0, v[2:3]
	v_lshlrev_b32_e32 v0, 3, v0
	v_and_b32_e32 v0, 0xf8, v0
	v_and_or_b32 v0, v2, 7, v0
	s_and_b64 s[18:19], vcc, s[18:19]
	v_cndmask_b32_e64 v0, v0, 0, s[18:19]
	v_or_b32_e32 v0, v0, v1
.LBB4_3662:                             ;   in Loop: Header=BB4_3228 Depth=2
	s_or_b64 exec, exec, s[92:93]
                                        ; implicit-def: $vgpr1
.LBB4_3663:                             ;   in Loop: Header=BB4_3228 Depth=2
	s_andn2_saveexec_b64 s[18:19], s[90:91]
; %bb.3664:                             ;   in Loop: Header=BB4_3228 Depth=2
	v_or_b32_e32 v0, 0x7e, v1
; %bb.3665:                             ;   in Loop: Header=BB4_3228 Depth=2
	s_or_b64 exec, exec, s[18:19]
                                        ; implicit-def: $vgpr2
.LBB4_3666:                             ;   in Loop: Header=BB4_3228 Depth=2
	s_andn2_saveexec_b64 s[18:19], s[20:21]
; %bb.3667:                             ;   in Loop: Header=BB4_3228 Depth=2
	v_or_b32_sdwa v0, v2, s51 dst_sel:DWORD dst_unused:UNUSED_PAD src0_sel:BYTE_3 src1_sel:DWORD
; %bb.3668:                             ;   in Loop: Header=BB4_3228 Depth=2
	s_or_b64 exec, exec, s[18:19]
	v_lshrrev_b32_e32 v19, 16, v24
	v_lshrrev_b32_e32 v18, 16, v20
	v_cmp_ne_u16_sdwa s[18:19], v19, v51 src0_sel:BYTE_0 src1_sel:DWORD
	s_mov_b64 s[20:21], -1
	s_and_b64 vcc, exec, s[26:27]
                                        ; implicit-def: $vgpr2
	s_cbranch_vccz .LBB4_3682
; %bb.3669:                             ;   in Loop: Header=BB4_3228 Depth=2
	v_mov_b32_e32 v2, 0
	v_mov_b32_e32 v1, 0
	s_and_saveexec_b64 s[20:21], s[18:19]
	s_cbranch_execz .LBB4_3675
; %bb.3670:                             ;   in Loop: Header=BB4_3228 Depth=2
	v_cmp_ne_u16_sdwa s[92:93], v19, s49 src0_sel:BYTE_0 src1_sel:DWORD
	v_bfrev_b32_e32 v1, 1
	s_and_saveexec_b64 s[90:91], s[92:93]
	s_cbranch_execz .LBB4_3674
; %bb.3671:                             ;   in Loop: Header=BB4_3228 Depth=2
	v_bfe_u32 v3, v24, 16, 7
	v_cmp_ne_u32_e32 vcc, s51, v3
	v_mov_b32_e32 v1, 0x7f800001
	s_and_saveexec_b64 s[92:93], vcc
	s_cbranch_execz .LBB4_3673
; %bb.3672:                             ;   in Loop: Header=BB4_3228 Depth=2
	v_and_b32_e32 v1, 7, v19
	v_lshrrev_b32_e32 v26, 3, v3
	v_cmp_gt_u32_e32 vcc, 8, v3
	v_ffbh_u32_e32 v3, v1
	v_min_u32_e32 v3, 32, v3
	v_subrev_u32_e32 v22, 28, v3
	v_lshlrev_b64 v[22:23], v22, v[19:20]
	v_sub_u32_e32 v3, 29, v3
	v_and_b32_e32 v22, 7, v22
	v_cndmask_b32_e32 v3, v26, v3, vcc
	v_cndmask_b32_e32 v1, v1, v22, vcc
	v_lshlrev_b32_e32 v22, 24, v19
	v_lshlrev_b32_e32 v1, 20, v1
	v_and_b32_e32 v22, 0x80000000, v22
	v_lshl_add_u32 v3, v3, 23, v62
	v_or3_b32 v1, v22, v3, v1
.LBB4_3673:                             ;   in Loop: Header=BB4_3228 Depth=2
	s_or_b64 exec, exec, s[92:93]
.LBB4_3674:                             ;   in Loop: Header=BB4_3228 Depth=2
	s_or_b64 exec, exec, s[90:91]
.LBB4_3675:                             ;   in Loop: Header=BB4_3228 Depth=2
	s_or_b64 exec, exec, s[20:21]
	v_cmp_ne_u16_sdwa s[90:91], v18, v51 src0_sel:BYTE_0 src1_sel:DWORD
	s_and_saveexec_b64 s[20:21], s[90:91]
	s_cbranch_execz .LBB4_3681
; %bb.3676:                             ;   in Loop: Header=BB4_3228 Depth=2
	v_cmp_ne_u16_sdwa s[92:93], v18, s49 src0_sel:BYTE_0 src1_sel:DWORD
	v_bfrev_b32_e32 v2, 1
	s_and_saveexec_b64 s[90:91], s[92:93]
	s_cbranch_execz .LBB4_3680
; %bb.3677:                             ;   in Loop: Header=BB4_3228 Depth=2
	v_bfe_u32 v3, v20, 16, 7
	v_cmp_ne_u32_e32 vcc, s51, v3
	v_mov_b32_e32 v2, 0x7f800001
	s_and_saveexec_b64 s[92:93], vcc
	s_cbranch_execz .LBB4_3679
; %bb.3678:                             ;   in Loop: Header=BB4_3228 Depth=2
	v_and_b32_e32 v22, 7, v18
	v_ffbh_u32_e32 v2, v22
	v_min_u32_e32 v26, 32, v2
	v_subrev_u32_e32 v2, 28, v26
	v_lshrrev_b32_e32 v23, 3, v3
	v_cmp_gt_u32_e32 vcc, 8, v3
	v_lshlrev_b64 v[2:3], v2, v[18:19]
	v_sub_u32_e32 v3, 29, v26
	v_and_b32_e32 v2, 7, v2
	v_cndmask_b32_e32 v3, v23, v3, vcc
	v_cndmask_b32_e32 v2, v22, v2, vcc
	v_lshlrev_b32_e32 v22, 24, v18
	v_lshlrev_b32_e32 v2, 20, v2
	v_and_b32_e32 v22, 0x80000000, v22
	v_lshl_add_u32 v3, v3, 23, v62
	v_or3_b32 v2, v22, v3, v2
.LBB4_3679:                             ;   in Loop: Header=BB4_3228 Depth=2
	s_or_b64 exec, exec, s[92:93]
.LBB4_3680:                             ;   in Loop: Header=BB4_3228 Depth=2
	s_or_b64 exec, exec, s[90:91]
.LBB4_3681:                             ;   in Loop: Header=BB4_3228 Depth=2
	s_or_b64 exec, exec, s[20:21]
	v_max_f32_e32 v2, v2, v2
	v_max_f32_e32 v1, v1, v1
	;; [unrolled: 1-line block ×3, first 2 shown]
	s_mov_b64 s[20:21], 0
.LBB4_3682:                             ;   in Loop: Header=BB4_3228 Depth=2
	s_and_b64 vcc, exec, s[20:21]
	s_cbranch_vccz .LBB4_3696
; %bb.3683:                             ;   in Loop: Header=BB4_3228 Depth=2
	v_mov_b32_e32 v2, 0
	v_mov_b32_e32 v1, 0
	s_and_saveexec_b64 s[20:21], s[18:19]
	s_cbranch_execz .LBB4_3689
; %bb.3684:                             ;   in Loop: Header=BB4_3228 Depth=2
	v_cmp_ne_u16_sdwa s[90:91], v19, s49 src0_sel:BYTE_0 src1_sel:DWORD
	v_bfrev_b32_e32 v1, 1
	s_and_saveexec_b64 s[18:19], s[90:91]
	s_cbranch_execz .LBB4_3688
; %bb.3685:                             ;   in Loop: Header=BB4_3228 Depth=2
	v_bfe_u32 v3, v24, 16, 7
	v_cmp_ne_u32_e32 vcc, s51, v3
	v_mov_b32_e32 v1, 0x7f800001
	s_and_saveexec_b64 s[90:91], vcc
	s_cbranch_execz .LBB4_3687
; %bb.3686:                             ;   in Loop: Header=BB4_3228 Depth=2
	v_and_b32_e32 v1, 7, v19
	v_lshrrev_b32_e32 v26, 3, v3
	v_cmp_gt_u32_e32 vcc, 8, v3
	v_ffbh_u32_e32 v3, v1
	v_min_u32_e32 v3, 32, v3
	v_subrev_u32_e32 v22, 28, v3
	v_lshlrev_b64 v[22:23], v22, v[19:20]
	v_sub_u32_e32 v3, 29, v3
	v_and_b32_e32 v22, 7, v22
	v_cndmask_b32_e32 v3, v26, v3, vcc
	v_cndmask_b32_e32 v1, v1, v22, vcc
	v_lshlrev_b32_e32 v19, 24, v19
	v_lshlrev_b32_e32 v1, 20, v1
	v_and_b32_e32 v19, 0x80000000, v19
	v_lshl_add_u32 v3, v3, 23, v62
	v_or3_b32 v1, v19, v3, v1
.LBB4_3687:                             ;   in Loop: Header=BB4_3228 Depth=2
	s_or_b64 exec, exec, s[90:91]
.LBB4_3688:                             ;   in Loop: Header=BB4_3228 Depth=2
	s_or_b64 exec, exec, s[18:19]
.LBB4_3689:                             ;   in Loop: Header=BB4_3228 Depth=2
	s_or_b64 exec, exec, s[20:21]
	v_cmp_ne_u16_sdwa s[20:21], v18, v51 src0_sel:BYTE_0 src1_sel:DWORD
	s_and_saveexec_b64 s[18:19], s[20:21]
	s_cbranch_execz .LBB4_3695
; %bb.3690:                             ;   in Loop: Header=BB4_3228 Depth=2
	v_cmp_ne_u16_sdwa s[90:91], v18, s49 src0_sel:BYTE_0 src1_sel:DWORD
	v_bfrev_b32_e32 v2, 1
	s_and_saveexec_b64 s[20:21], s[90:91]
	s_cbranch_execz .LBB4_3694
; %bb.3691:                             ;   in Loop: Header=BB4_3228 Depth=2
	v_bfe_u32 v3, v20, 16, 7
	v_cmp_ne_u32_e32 vcc, s51, v3
	v_mov_b32_e32 v2, 0x7f800001
	s_and_saveexec_b64 s[90:91], vcc
	s_cbranch_execz .LBB4_3693
; %bb.3692:                             ;   in Loop: Header=BB4_3228 Depth=2
	v_and_b32_e32 v19, 7, v18
	v_ffbh_u32_e32 v2, v19
	v_min_u32_e32 v23, 32, v2
	v_subrev_u32_e32 v2, 28, v23
	v_lshrrev_b32_e32 v22, 3, v3
	v_cmp_gt_u32_e32 vcc, 8, v3
	v_lshlrev_b64 v[2:3], v2, v[18:19]
	v_sub_u32_e32 v3, 29, v23
	v_and_b32_e32 v2, 7, v2
	v_cndmask_b32_e32 v3, v22, v3, vcc
	v_cndmask_b32_e32 v2, v19, v2, vcc
	v_lshlrev_b32_e32 v18, 24, v18
	v_lshlrev_b32_e32 v2, 20, v2
	v_and_b32_e32 v18, 0x80000000, v18
	v_lshl_add_u32 v3, v3, 23, v62
	v_or3_b32 v2, v18, v3, v2
.LBB4_3693:                             ;   in Loop: Header=BB4_3228 Depth=2
	s_or_b64 exec, exec, s[90:91]
.LBB4_3694:                             ;   in Loop: Header=BB4_3228 Depth=2
	s_or_b64 exec, exec, s[20:21]
.LBB4_3695:                             ;   in Loop: Header=BB4_3228 Depth=2
	s_or_b64 exec, exec, s[18:19]
	v_max_f32_e32 v2, v2, v2
	v_max_f32_e32 v1, v1, v1
	v_min_f32_e32 v2, v1, v2
.LBB4_3696:                             ;   in Loop: Header=BB4_3228 Depth=2
	v_and_b32_e32 v50, 0x7f800000, v2
	v_cmp_ne_u64_e32 vcc, s[62:63], v[50:51]
                                        ; implicit-def: $vgpr36
	s_and_saveexec_b64 s[18:19], vcc
	s_xor_b64 s[20:21], exec, s[18:19]
	s_cbranch_execz .LBB4_3710
; %bb.3697:                             ;   in Loop: Header=BB4_3228 Depth=2
	v_and_b32_e32 v50, 0x7fffffff, v2
	v_cmp_gt_u64_e32 vcc, s[72:73], v[50:51]
	v_and_b32_sdwa v1, v2, s49 dst_sel:DWORD dst_unused:UNUSED_PAD src0_sel:BYTE_3 src1_sel:DWORD
                                        ; implicit-def: $vgpr36
	s_and_saveexec_b64 s[18:19], vcc
	s_xor_b64 s[90:91], exec, s[18:19]
	s_cbranch_execz .LBB4_3707
; %bb.3698:                             ;   in Loop: Header=BB4_3228 Depth=2
	v_mov_b32_e32 v36, 0
	v_cmp_ne_u32_e32 vcc, 0, v2
	s_and_saveexec_b64 s[92:93], vcc
	s_cbranch_execz .LBB4_3706
; %bb.3699:                             ;   in Loop: Header=BB4_3228 Depth=2
	v_and_b32_e32 v18, 0x7fffff, v2
	v_bfe_u32 v2, v2, 23, 8
	v_cmp_gt_u32_e64 s[18:19], s53, v2
	v_sub_u32_e32 v3, 0x79, v2
	v_cmp_eq_u32_e32 vcc, 0, v2
	v_cndmask_b32_e64 v3, 0, v3, s[18:19]
	v_mov_b32_e32 v22, 0x78
	v_or_b32_e32 v19, 0x800000, v18
	v_cndmask_b32_e32 v3, v3, v22, vcc
	v_cndmask_b32_e32 v50, v19, v18, vcc
	v_add_u32_e32 v18, 20, v3
	v_lshlrev_b64 v[18:19], v18, -1
	v_add_u32_e32 v22, 19, v3
	v_lshlrev_b64 v[22:23], v22, 1
	v_bfi_b32 v19, v19, 0, 0
	v_bfi_b32 v18, v18, 0, v50
	v_cmp_eq_u64_e64 s[18:19], v[18:19], v[22:23]
	v_lshrrev_b64 v[18:19], v3, v[50:51]
	v_mov_b32_e32 v23, v19
	v_mov_b32_e32 v22, v18
	s_and_saveexec_b64 s[94:95], s[18:19]
; %bb.3700:                             ;   in Loop: Header=BB4_3228 Depth=2
	v_bfe_u32 v19, v18, 20, 1
	v_add_co_u32_e64 v19, s[18:19], v18, v19
	v_add_co_u32_e64 v22, s[18:19], -1, v19
; %bb.3701:                             ;   in Loop: Header=BB4_3228 Depth=2
	s_or_b64 exec, exec, s[94:95]
	v_add_u32_e32 v2, 0xffffff81, v2
	v_cndmask_b32_e32 v2, v2, v49, vcc
	v_lshrrev_b32_e32 v19, 23, v18
	v_add3_u32 v23, v3, v2, v19
	v_add_u32_e32 v3, 6, v23
	v_and_b32_e32 v2, 0xfffff, v22
	v_add_u32_e32 v50, v2, v18
	v_cmp_ne_u32_e32 vcc, 0, v3
                                        ; implicit-def: $vgpr18_vgpr19
                                        ; implicit-def: $vgpr2
	s_and_saveexec_b64 s[18:19], vcc
	s_xor_b64 s[18:19], exec, s[18:19]
; %bb.3702:                             ;   in Loop: Header=BB4_3228 Depth=2
	v_cmp_lt_u64_e32 vcc, s[74:75], v[50:51]
	v_add_u32_e32 v2, 7, v23
	v_cndmask_b32_e32 v2, v3, v2, vcc
	v_cndmask_b32_e64 v3, 0, 1, vcc
	v_lshrrev_b64 v[18:19], v3, v[50:51]
; %bb.3703:                             ;   in Loop: Header=BB4_3228 Depth=2
	s_andn2_saveexec_b64 s[18:19], s[18:19]
; %bb.3704:                             ;   in Loop: Header=BB4_3228 Depth=2
	v_mov_b32_e32 v18, v50
	v_bfe_u32 v2, v50, 23, 1
	v_mov_b32_e32 v19, v51
; %bb.3705:                             ;   in Loop: Header=BB4_3228 Depth=2
	s_or_b64 exec, exec, s[18:19]
	v_lshrrev_b64 v[18:19], 20, v[18:19]
	v_cmp_gt_i32_e32 vcc, 16, v2
	v_cndmask_b32_e32 v19, 0, v19, vcc
	v_cndmask_b32_e32 v18, 7, v18, vcc
	v_cmp_eq_u32_e32 vcc, 0, v2
	v_min_i32_e32 v2, 15, v2
	v_cmp_eq_u64_e64 s[18:19], 0, v[18:19]
	v_lshlrev_b32_e32 v2, 3, v2
	v_and_b32_e32 v2, 0xf8, v2
	v_and_or_b32 v2, v18, 7, v2
	s_and_b64 s[18:19], vcc, s[18:19]
	v_cndmask_b32_e64 v2, v2, 0, s[18:19]
	v_or_b32_e32 v36, v2, v1
.LBB4_3706:                             ;   in Loop: Header=BB4_3228 Depth=2
	s_or_b64 exec, exec, s[92:93]
                                        ; implicit-def: $vgpr1
.LBB4_3707:                             ;   in Loop: Header=BB4_3228 Depth=2
	s_andn2_saveexec_b64 s[18:19], s[90:91]
; %bb.3708:                             ;   in Loop: Header=BB4_3228 Depth=2
	v_or_b32_e32 v36, 0x7e, v1
; %bb.3709:                             ;   in Loop: Header=BB4_3228 Depth=2
	s_or_b64 exec, exec, s[18:19]
                                        ; implicit-def: $vgpr2
.LBB4_3710:                             ;   in Loop: Header=BB4_3228 Depth=2
	s_andn2_saveexec_b64 s[18:19], s[20:21]
; %bb.3711:                             ;   in Loop: Header=BB4_3228 Depth=2
	v_or_b32_sdwa v36, v2, s51 dst_sel:DWORD dst_unused:UNUSED_PAD src0_sel:BYTE_3 src1_sel:DWORD
; %bb.3712:                             ;   in Loop: Header=BB4_3228 Depth=2
	s_or_b64 exec, exec, s[18:19]
	v_lshrrev_b32_e32 v19, 24, v24
	v_lshrrev_b32_e32 v18, 24, v20
	v_cmp_lt_u32_e64 s[18:19], s77, v24
	s_mov_b64 s[20:21], -1
	s_and_b64 vcc, exec, s[26:27]
                                        ; implicit-def: $vgpr2
	s_cbranch_vccz .LBB4_3726
; %bb.3713:                             ;   in Loop: Header=BB4_3228 Depth=2
	v_mov_b32_e32 v2, 0
	v_mov_b32_e32 v1, 0
	s_and_saveexec_b64 s[20:21], s[18:19]
	s_cbranch_execz .LBB4_3719
; %bb.3714:                             ;   in Loop: Header=BB4_3228 Depth=2
	v_cmp_ne_u32_e32 vcc, s49, v19
	v_bfrev_b32_e32 v1, 1
	s_and_saveexec_b64 s[90:91], vcc
	s_cbranch_execz .LBB4_3718
; %bb.3715:                             ;   in Loop: Header=BB4_3228 Depth=2
	v_bfe_u32 v3, v24, 24, 7
	v_cmp_ne_u32_e32 vcc, s51, v3
	v_mov_b32_e32 v1, 0x7f800001
	s_and_saveexec_b64 s[92:93], vcc
	s_cbranch_execz .LBB4_3717
; %bb.3716:                             ;   in Loop: Header=BB4_3228 Depth=2
	v_and_b32_e32 v1, 7, v19
	v_lshrrev_b32_e32 v26, 3, v3
	v_cmp_gt_u32_e32 vcc, 8, v3
	v_ffbh_u32_e32 v3, v1
	v_min_u32_e32 v3, 32, v3
	v_subrev_u32_e32 v22, 28, v3
	v_lshlrev_b64 v[22:23], v22, v[19:20]
	v_sub_u32_e32 v3, 29, v3
	v_and_b32_e32 v22, 7, v22
	v_cndmask_b32_e32 v3, v26, v3, vcc
	v_cndmask_b32_e32 v1, v1, v22, vcc
	v_lshlrev_b32_e32 v22, 24, v19
	v_lshlrev_b32_e32 v1, 20, v1
	v_and_b32_e32 v22, 0x80000000, v22
	v_lshl_add_u32 v3, v3, 23, v62
	v_or3_b32 v1, v22, v3, v1
.LBB4_3717:                             ;   in Loop: Header=BB4_3228 Depth=2
	s_or_b64 exec, exec, s[92:93]
.LBB4_3718:                             ;   in Loop: Header=BB4_3228 Depth=2
	s_or_b64 exec, exec, s[90:91]
.LBB4_3719:                             ;   in Loop: Header=BB4_3228 Depth=2
	s_or_b64 exec, exec, s[20:21]
	v_cmp_lt_u32_e32 vcc, s77, v20
	s_and_saveexec_b64 s[20:21], vcc
	s_cbranch_execz .LBB4_3725
; %bb.3720:                             ;   in Loop: Header=BB4_3228 Depth=2
	v_cmp_ne_u32_e32 vcc, s49, v18
	v_bfrev_b32_e32 v2, 1
	s_and_saveexec_b64 s[90:91], vcc
	s_cbranch_execz .LBB4_3724
; %bb.3721:                             ;   in Loop: Header=BB4_3228 Depth=2
	v_bfe_u32 v3, v20, 24, 7
	v_cmp_ne_u32_e32 vcc, s51, v3
	v_mov_b32_e32 v2, 0x7f800001
	s_and_saveexec_b64 s[92:93], vcc
	s_cbranch_execz .LBB4_3723
; %bb.3722:                             ;   in Loop: Header=BB4_3228 Depth=2
	v_and_b32_e32 v22, 7, v18
	v_ffbh_u32_e32 v2, v22
	v_min_u32_e32 v26, 32, v2
	v_subrev_u32_e32 v2, 28, v26
	v_lshrrev_b32_e32 v23, 3, v3
	v_cmp_gt_u32_e32 vcc, 8, v3
	v_lshlrev_b64 v[2:3], v2, v[18:19]
	v_sub_u32_e32 v3, 29, v26
	v_and_b32_e32 v2, 7, v2
	v_cndmask_b32_e32 v3, v23, v3, vcc
	v_cndmask_b32_e32 v2, v22, v2, vcc
	v_lshlrev_b32_e32 v22, 24, v18
	v_lshlrev_b32_e32 v2, 20, v2
	v_and_b32_e32 v22, 0x80000000, v22
	v_lshl_add_u32 v3, v3, 23, v62
	v_or3_b32 v2, v22, v3, v2
.LBB4_3723:                             ;   in Loop: Header=BB4_3228 Depth=2
	s_or_b64 exec, exec, s[92:93]
.LBB4_3724:                             ;   in Loop: Header=BB4_3228 Depth=2
	s_or_b64 exec, exec, s[90:91]
.LBB4_3725:                             ;   in Loop: Header=BB4_3228 Depth=2
	s_or_b64 exec, exec, s[20:21]
	v_max_f32_e32 v2, v2, v2
	v_max_f32_e32 v1, v1, v1
	;; [unrolled: 1-line block ×3, first 2 shown]
	s_mov_b64 s[20:21], 0
.LBB4_3726:                             ;   in Loop: Header=BB4_3228 Depth=2
	s_and_b64 vcc, exec, s[20:21]
	s_cbranch_vccz .LBB4_3740
; %bb.3727:                             ;   in Loop: Header=BB4_3228 Depth=2
	v_mov_b32_e32 v2, 0
	v_mov_b32_e32 v1, 0
	s_and_saveexec_b64 s[20:21], s[18:19]
	s_cbranch_execz .LBB4_3733
; %bb.3728:                             ;   in Loop: Header=BB4_3228 Depth=2
	v_cmp_ne_u32_e32 vcc, s49, v19
	v_bfrev_b32_e32 v1, 1
	s_and_saveexec_b64 s[18:19], vcc
	s_cbranch_execz .LBB4_3732
; %bb.3729:                             ;   in Loop: Header=BB4_3228 Depth=2
	v_bfe_u32 v3, v24, 24, 7
	v_cmp_ne_u32_e32 vcc, s51, v3
	v_mov_b32_e32 v1, 0x7f800001
	s_and_saveexec_b64 s[90:91], vcc
	s_cbranch_execz .LBB4_3731
; %bb.3730:                             ;   in Loop: Header=BB4_3228 Depth=2
	v_and_b32_e32 v1, 7, v19
	v_lshrrev_b32_e32 v26, 3, v3
	v_cmp_gt_u32_e32 vcc, 8, v3
	v_ffbh_u32_e32 v3, v1
	v_min_u32_e32 v3, 32, v3
	v_subrev_u32_e32 v22, 28, v3
	v_lshlrev_b64 v[22:23], v22, v[19:20]
	v_sub_u32_e32 v3, 29, v3
	v_and_b32_e32 v22, 7, v22
	v_cndmask_b32_e32 v3, v26, v3, vcc
	v_cndmask_b32_e32 v1, v1, v22, vcc
	v_lshlrev_b32_e32 v19, 24, v19
	v_lshlrev_b32_e32 v1, 20, v1
	v_and_b32_e32 v19, 0x80000000, v19
	v_lshl_add_u32 v3, v3, 23, v62
	v_or3_b32 v1, v19, v3, v1
.LBB4_3731:                             ;   in Loop: Header=BB4_3228 Depth=2
	s_or_b64 exec, exec, s[90:91]
.LBB4_3732:                             ;   in Loop: Header=BB4_3228 Depth=2
	s_or_b64 exec, exec, s[18:19]
.LBB4_3733:                             ;   in Loop: Header=BB4_3228 Depth=2
	s_or_b64 exec, exec, s[20:21]
	v_cmp_lt_u32_e32 vcc, s77, v20
	s_and_saveexec_b64 s[18:19], vcc
	s_cbranch_execz .LBB4_3739
; %bb.3734:                             ;   in Loop: Header=BB4_3228 Depth=2
	v_cmp_ne_u32_e32 vcc, s49, v18
	v_bfrev_b32_e32 v2, 1
	s_and_saveexec_b64 s[20:21], vcc
	s_cbranch_execz .LBB4_3738
; %bb.3735:                             ;   in Loop: Header=BB4_3228 Depth=2
	v_bfe_u32 v3, v20, 24, 7
	v_cmp_ne_u32_e32 vcc, s51, v3
	v_mov_b32_e32 v2, 0x7f800001
	s_and_saveexec_b64 s[90:91], vcc
	s_cbranch_execz .LBB4_3737
; %bb.3736:                             ;   in Loop: Header=BB4_3228 Depth=2
	v_and_b32_e32 v19, 7, v18
	v_ffbh_u32_e32 v2, v19
	v_min_u32_e32 v23, 32, v2
	v_subrev_u32_e32 v2, 28, v23
	v_lshrrev_b32_e32 v22, 3, v3
	v_cmp_gt_u32_e32 vcc, 8, v3
	v_lshlrev_b64 v[2:3], v2, v[18:19]
	v_sub_u32_e32 v3, 29, v23
	v_and_b32_e32 v2, 7, v2
	v_cndmask_b32_e32 v3, v22, v3, vcc
	v_cndmask_b32_e32 v2, v19, v2, vcc
	v_lshlrev_b32_e32 v18, 24, v18
	v_lshlrev_b32_e32 v2, 20, v2
	v_and_b32_e32 v18, 0x80000000, v18
	v_lshl_add_u32 v3, v3, 23, v62
	v_or3_b32 v2, v18, v3, v2
.LBB4_3737:                             ;   in Loop: Header=BB4_3228 Depth=2
	s_or_b64 exec, exec, s[90:91]
.LBB4_3738:                             ;   in Loop: Header=BB4_3228 Depth=2
	s_or_b64 exec, exec, s[20:21]
.LBB4_3739:                             ;   in Loop: Header=BB4_3228 Depth=2
	s_or_b64 exec, exec, s[18:19]
	v_max_f32_e32 v2, v2, v2
	v_max_f32_e32 v1, v1, v1
	v_min_f32_e32 v2, v1, v2
.LBB4_3740:                             ;   in Loop: Header=BB4_3228 Depth=2
	v_and_b32_e32 v50, 0x7f800000, v2
	v_cmp_ne_u64_e32 vcc, s[62:63], v[50:51]
                                        ; implicit-def: $vgpr37
	s_and_saveexec_b64 s[18:19], vcc
	s_xor_b64 s[20:21], exec, s[18:19]
	s_cbranch_execz .LBB4_3754
; %bb.3741:                             ;   in Loop: Header=BB4_3228 Depth=2
	v_and_b32_e32 v50, 0x7fffffff, v2
	v_cmp_gt_u64_e32 vcc, s[72:73], v[50:51]
	v_and_b32_sdwa v1, v2, s49 dst_sel:DWORD dst_unused:UNUSED_PAD src0_sel:BYTE_3 src1_sel:DWORD
                                        ; implicit-def: $vgpr37
	s_and_saveexec_b64 s[18:19], vcc
	s_xor_b64 s[90:91], exec, s[18:19]
	s_cbranch_execz .LBB4_3751
; %bb.3742:                             ;   in Loop: Header=BB4_3228 Depth=2
	v_mov_b32_e32 v37, 0
	v_cmp_ne_u32_e32 vcc, 0, v2
	s_and_saveexec_b64 s[92:93], vcc
	s_cbranch_execz .LBB4_3750
; %bb.3743:                             ;   in Loop: Header=BB4_3228 Depth=2
	v_and_b32_e32 v18, 0x7fffff, v2
	v_bfe_u32 v2, v2, 23, 8
	v_cmp_gt_u32_e64 s[18:19], s53, v2
	v_sub_u32_e32 v3, 0x79, v2
	v_cmp_eq_u32_e32 vcc, 0, v2
	v_cndmask_b32_e64 v3, 0, v3, s[18:19]
	v_mov_b32_e32 v22, 0x78
	v_or_b32_e32 v19, 0x800000, v18
	v_cndmask_b32_e32 v3, v3, v22, vcc
	v_cndmask_b32_e32 v50, v19, v18, vcc
	v_add_u32_e32 v18, 20, v3
	v_lshlrev_b64 v[18:19], v18, -1
	v_add_u32_e32 v22, 19, v3
	v_lshlrev_b64 v[22:23], v22, 1
	v_bfi_b32 v19, v19, 0, 0
	v_bfi_b32 v18, v18, 0, v50
	v_cmp_eq_u64_e64 s[18:19], v[18:19], v[22:23]
	v_lshrrev_b64 v[18:19], v3, v[50:51]
	v_mov_b32_e32 v23, v19
	v_mov_b32_e32 v22, v18
	s_and_saveexec_b64 s[94:95], s[18:19]
; %bb.3744:                             ;   in Loop: Header=BB4_3228 Depth=2
	v_bfe_u32 v19, v18, 20, 1
	v_add_co_u32_e64 v19, s[18:19], v18, v19
	v_add_co_u32_e64 v22, s[18:19], -1, v19
; %bb.3745:                             ;   in Loop: Header=BB4_3228 Depth=2
	s_or_b64 exec, exec, s[94:95]
	v_add_u32_e32 v2, 0xffffff81, v2
	v_cndmask_b32_e32 v2, v2, v49, vcc
	v_lshrrev_b32_e32 v19, 23, v18
	v_add3_u32 v23, v3, v2, v19
	v_add_u32_e32 v3, 6, v23
	v_and_b32_e32 v2, 0xfffff, v22
	v_add_u32_e32 v50, v2, v18
	v_cmp_ne_u32_e32 vcc, 0, v3
                                        ; implicit-def: $vgpr18_vgpr19
                                        ; implicit-def: $vgpr2
	s_and_saveexec_b64 s[18:19], vcc
	s_xor_b64 s[18:19], exec, s[18:19]
; %bb.3746:                             ;   in Loop: Header=BB4_3228 Depth=2
	v_cmp_lt_u64_e32 vcc, s[74:75], v[50:51]
	v_add_u32_e32 v2, 7, v23
	v_cndmask_b32_e32 v2, v3, v2, vcc
	v_cndmask_b32_e64 v3, 0, 1, vcc
	v_lshrrev_b64 v[18:19], v3, v[50:51]
; %bb.3747:                             ;   in Loop: Header=BB4_3228 Depth=2
	s_andn2_saveexec_b64 s[18:19], s[18:19]
; %bb.3748:                             ;   in Loop: Header=BB4_3228 Depth=2
	v_mov_b32_e32 v18, v50
	v_bfe_u32 v2, v50, 23, 1
	v_mov_b32_e32 v19, v51
; %bb.3749:                             ;   in Loop: Header=BB4_3228 Depth=2
	s_or_b64 exec, exec, s[18:19]
	v_lshrrev_b64 v[18:19], 20, v[18:19]
	v_cmp_gt_i32_e32 vcc, 16, v2
	v_cndmask_b32_e32 v19, 0, v19, vcc
	v_cndmask_b32_e32 v18, 7, v18, vcc
	v_cmp_eq_u32_e32 vcc, 0, v2
	v_min_i32_e32 v2, 15, v2
	v_cmp_eq_u64_e64 s[18:19], 0, v[18:19]
	v_lshlrev_b32_e32 v2, 3, v2
	v_and_b32_e32 v2, 0xf8, v2
	v_and_or_b32 v2, v18, 7, v2
	s_and_b64 s[18:19], vcc, s[18:19]
	v_cndmask_b32_e64 v2, v2, 0, s[18:19]
	v_or_b32_e32 v37, v2, v1
.LBB4_3750:                             ;   in Loop: Header=BB4_3228 Depth=2
	s_or_b64 exec, exec, s[92:93]
                                        ; implicit-def: $vgpr1
.LBB4_3751:                             ;   in Loop: Header=BB4_3228 Depth=2
	s_andn2_saveexec_b64 s[18:19], s[90:91]
; %bb.3752:                             ;   in Loop: Header=BB4_3228 Depth=2
	v_or_b32_e32 v37, 0x7e, v1
; %bb.3753:                             ;   in Loop: Header=BB4_3228 Depth=2
	s_or_b64 exec, exec, s[18:19]
                                        ; implicit-def: $vgpr2
.LBB4_3754:                             ;   in Loop: Header=BB4_3228 Depth=2
	s_andn2_saveexec_b64 s[18:19], s[20:21]
; %bb.3755:                             ;   in Loop: Header=BB4_3228 Depth=2
	v_or_b32_sdwa v37, v2, s51 dst_sel:DWORD dst_unused:UNUSED_PAD src0_sel:BYTE_3 src1_sel:DWORD
; %bb.3756:                             ;   in Loop: Header=BB4_3228 Depth=2
	s_or_b64 exec, exec, s[18:19]
	v_mov_b32_e32 v50, v25
	v_mov_b32_e32 v18, v21
	;; [unrolled: 1-line block ×3, first 2 shown]
	v_cmp_ne_u16_sdwa s[18:19], v25, v51 src0_sel:BYTE_0 src1_sel:DWORD
	s_mov_b64 s[20:21], -1
	s_and_b64 vcc, exec, s[26:27]
                                        ; implicit-def: $vgpr2
	s_cbranch_vccz .LBB4_3770
; %bb.3757:                             ;   in Loop: Header=BB4_3228 Depth=2
	v_mov_b32_e32 v2, 0
	v_mov_b32_e32 v1, 0
	s_and_saveexec_b64 s[20:21], s[18:19]
	s_cbranch_execz .LBB4_3763
; %bb.3758:                             ;   in Loop: Header=BB4_3228 Depth=2
	v_cmp_ne_u16_sdwa s[92:93], v25, s49 src0_sel:BYTE_0 src1_sel:DWORD
	v_bfrev_b32_e32 v1, 1
	s_and_saveexec_b64 s[90:91], s[92:93]
	s_cbranch_execz .LBB4_3762
; %bb.3759:                             ;   in Loop: Header=BB4_3228 Depth=2
	v_and_b32_e32 v3, 0x7f, v25
	v_cmp_ne_u32_e32 vcc, s51, v3
	v_mov_b32_e32 v1, 0x7f800001
	s_and_saveexec_b64 s[92:93], vcc
	s_cbranch_execz .LBB4_3761
; %bb.3760:                             ;   in Loop: Header=BB4_3228 Depth=2
	v_and_b32_e32 v1, 7, v25
	v_ffbh_u32_e32 v1, v1
	v_min_u32_e32 v1, 32, v1
	v_lshrrev_b32_e32 v22, 3, v3
	v_cmp_gt_u32_e32 vcc, 8, v3
	v_subrev_u32_e32 v3, 28, v1
	v_sub_u32_e32 v1, 29, v1
	v_cndmask_b32_e32 v3, 0, v3, vcc
	v_cndmask_b32_e32 v1, v22, v1, vcc
	v_lshlrev_b64 v[22:23], v3, v[50:51]
	v_lshl_add_u32 v1, v1, 23, v62
	v_lshlrev_b32_e32 v3, 20, v22
	v_lshlrev_b32_e32 v22, 24, v50
	v_and_b32_e32 v3, 0x700000, v3
	v_and_b32_e32 v22, 0x80000000, v22
	v_or3_b32 v1, v22, v1, v3
.LBB4_3761:                             ;   in Loop: Header=BB4_3228 Depth=2
	s_or_b64 exec, exec, s[92:93]
.LBB4_3762:                             ;   in Loop: Header=BB4_3228 Depth=2
	s_or_b64 exec, exec, s[90:91]
.LBB4_3763:                             ;   in Loop: Header=BB4_3228 Depth=2
	s_or_b64 exec, exec, s[20:21]
	v_cmp_ne_u16_sdwa s[90:91], v21, v51 src0_sel:BYTE_0 src1_sel:DWORD
	s_and_saveexec_b64 s[20:21], s[90:91]
	s_cbranch_execz .LBB4_3769
; %bb.3764:                             ;   in Loop: Header=BB4_3228 Depth=2
	v_cmp_ne_u16_sdwa s[92:93], v21, s49 src0_sel:BYTE_0 src1_sel:DWORD
	v_bfrev_b32_e32 v2, 1
	s_and_saveexec_b64 s[90:91], s[92:93]
	s_cbranch_execz .LBB4_3768
; %bb.3765:                             ;   in Loop: Header=BB4_3228 Depth=2
	v_and_b32_e32 v3, 0x7f, v21
	v_cmp_ne_u32_e32 vcc, s51, v3
	v_mov_b32_e32 v2, 0x7f800001
	s_and_saveexec_b64 s[92:93], vcc
	s_cbranch_execz .LBB4_3767
; %bb.3766:                             ;   in Loop: Header=BB4_3228 Depth=2
	v_and_b32_e32 v2, 7, v21
	v_ffbh_u32_e32 v2, v2
	v_min_u32_e32 v2, 32, v2
	v_lshrrev_b32_e32 v22, 3, v3
	v_cmp_gt_u32_e32 vcc, 8, v3
	v_subrev_u32_e32 v3, 28, v2
	v_sub_u32_e32 v2, 29, v2
	v_cndmask_b32_e32 v22, v22, v2, vcc
	v_cndmask_b32_e32 v2, 0, v3, vcc
	v_lshlrev_b64 v[2:3], v2, v[18:19]
	v_lshlrev_b32_e32 v3, 24, v18
	v_lshlrev_b32_e32 v2, 20, v2
	v_and_b32_e32 v2, 0x700000, v2
	v_and_b32_e32 v3, 0x80000000, v3
	v_lshl_add_u32 v22, v22, 23, v62
	v_or3_b32 v2, v3, v22, v2
.LBB4_3767:                             ;   in Loop: Header=BB4_3228 Depth=2
	s_or_b64 exec, exec, s[92:93]
.LBB4_3768:                             ;   in Loop: Header=BB4_3228 Depth=2
	s_or_b64 exec, exec, s[90:91]
.LBB4_3769:                             ;   in Loop: Header=BB4_3228 Depth=2
	s_or_b64 exec, exec, s[20:21]
	v_max_f32_e32 v2, v2, v2
	v_max_f32_e32 v1, v1, v1
	;; [unrolled: 1-line block ×3, first 2 shown]
	s_mov_b64 s[20:21], 0
.LBB4_3770:                             ;   in Loop: Header=BB4_3228 Depth=2
	s_and_b64 vcc, exec, s[20:21]
	s_cbranch_vccz .LBB4_3784
; %bb.3771:                             ;   in Loop: Header=BB4_3228 Depth=2
	v_mov_b32_e32 v2, 0
	v_mov_b32_e32 v1, 0
	s_and_saveexec_b64 s[20:21], s[18:19]
	s_cbranch_execz .LBB4_3777
; %bb.3772:                             ;   in Loop: Header=BB4_3228 Depth=2
	v_cmp_ne_u16_sdwa s[90:91], v25, s49 src0_sel:BYTE_0 src1_sel:DWORD
	v_bfrev_b32_e32 v1, 1
	s_and_saveexec_b64 s[18:19], s[90:91]
	s_cbranch_execz .LBB4_3776
; %bb.3773:                             ;   in Loop: Header=BB4_3228 Depth=2
	v_and_b32_e32 v3, 0x7f, v25
	v_cmp_ne_u32_e32 vcc, s51, v3
	v_mov_b32_e32 v1, 0x7f800001
	s_and_saveexec_b64 s[90:91], vcc
	s_cbranch_execz .LBB4_3775
; %bb.3774:                             ;   in Loop: Header=BB4_3228 Depth=2
	v_and_b32_e32 v1, 7, v25
	v_ffbh_u32_e32 v1, v1
	v_min_u32_e32 v1, 32, v1
	v_lshrrev_b32_e32 v22, 3, v3
	v_cmp_gt_u32_e32 vcc, 8, v3
	v_subrev_u32_e32 v3, 28, v1
	v_sub_u32_e32 v1, 29, v1
	v_cndmask_b32_e32 v3, 0, v3, vcc
	v_cndmask_b32_e32 v1, v22, v1, vcc
	v_lshlrev_b64 v[22:23], v3, v[50:51]
	v_lshl_add_u32 v1, v1, 23, v62
	v_lshlrev_b32_e32 v3, 20, v22
	v_lshlrev_b32_e32 v22, 24, v50
	v_and_b32_e32 v3, 0x700000, v3
	v_and_b32_e32 v22, 0x80000000, v22
	v_or3_b32 v1, v22, v1, v3
.LBB4_3775:                             ;   in Loop: Header=BB4_3228 Depth=2
	s_or_b64 exec, exec, s[90:91]
.LBB4_3776:                             ;   in Loop: Header=BB4_3228 Depth=2
	s_or_b64 exec, exec, s[18:19]
.LBB4_3777:                             ;   in Loop: Header=BB4_3228 Depth=2
	s_or_b64 exec, exec, s[20:21]
	v_cmp_ne_u16_sdwa s[20:21], v21, v51 src0_sel:BYTE_0 src1_sel:DWORD
	s_and_saveexec_b64 s[18:19], s[20:21]
	s_cbranch_execz .LBB4_3783
; %bb.3778:                             ;   in Loop: Header=BB4_3228 Depth=2
	v_cmp_ne_u16_sdwa s[90:91], v21, s49 src0_sel:BYTE_0 src1_sel:DWORD
	v_bfrev_b32_e32 v2, 1
	s_and_saveexec_b64 s[20:21], s[90:91]
	s_cbranch_execz .LBB4_3782
; %bb.3779:                             ;   in Loop: Header=BB4_3228 Depth=2
	v_and_b32_e32 v3, 0x7f, v21
	v_cmp_ne_u32_e32 vcc, s51, v3
	v_mov_b32_e32 v2, 0x7f800001
	s_and_saveexec_b64 s[90:91], vcc
	s_cbranch_execz .LBB4_3781
; %bb.3780:                             ;   in Loop: Header=BB4_3228 Depth=2
	v_and_b32_e32 v2, 7, v21
	v_ffbh_u32_e32 v2, v2
	v_min_u32_e32 v2, 32, v2
	v_lshrrev_b32_e32 v22, 3, v3
	v_cmp_gt_u32_e32 vcc, 8, v3
	v_subrev_u32_e32 v3, 28, v2
	v_sub_u32_e32 v2, 29, v2
	v_cndmask_b32_e32 v22, v22, v2, vcc
	v_cndmask_b32_e32 v2, 0, v3, vcc
	v_lshlrev_b64 v[2:3], v2, v[18:19]
	v_lshlrev_b32_e32 v3, 24, v18
	v_lshlrev_b32_e32 v2, 20, v2
	v_and_b32_e32 v2, 0x700000, v2
	v_and_b32_e32 v3, 0x80000000, v3
	v_lshl_add_u32 v19, v22, 23, v62
	v_or3_b32 v2, v3, v19, v2
.LBB4_3781:                             ;   in Loop: Header=BB4_3228 Depth=2
	s_or_b64 exec, exec, s[90:91]
.LBB4_3782:                             ;   in Loop: Header=BB4_3228 Depth=2
	s_or_b64 exec, exec, s[20:21]
.LBB4_3783:                             ;   in Loop: Header=BB4_3228 Depth=2
	s_or_b64 exec, exec, s[18:19]
	v_max_f32_e32 v2, v2, v2
	v_max_f32_e32 v1, v1, v1
	v_min_f32_e32 v2, v1, v2
.LBB4_3784:                             ;   in Loop: Header=BB4_3228 Depth=2
	v_and_b32_e32 v22, 0x7f800000, v2
	v_mov_b32_e32 v23, v51
	v_cmp_ne_u64_e32 vcc, s[62:63], v[22:23]
                                        ; implicit-def: $vgpr57
	s_and_saveexec_b64 s[18:19], vcc
	s_xor_b64 s[20:21], exec, s[18:19]
	s_cbranch_execz .LBB4_3798
; %bb.3785:                             ;   in Loop: Header=BB4_3228 Depth=2
	v_and_b32_e32 v22, 0x7fffffff, v2
	v_mov_b32_e32 v23, v51
	v_cmp_gt_u64_e32 vcc, s[72:73], v[22:23]
	v_and_b32_sdwa v1, v2, s49 dst_sel:DWORD dst_unused:UNUSED_PAD src0_sel:BYTE_3 src1_sel:DWORD
                                        ; implicit-def: $vgpr57
	s_and_saveexec_b64 s[18:19], vcc
	s_xor_b64 s[90:91], exec, s[18:19]
	s_cbranch_execz .LBB4_3795
; %bb.3786:                             ;   in Loop: Header=BB4_3228 Depth=2
	v_mov_b32_e32 v57, 0
	v_cmp_ne_u32_e32 vcc, 0, v2
	s_and_saveexec_b64 s[92:93], vcc
	s_cbranch_execz .LBB4_3794
; %bb.3787:                             ;   in Loop: Header=BB4_3228 Depth=2
	v_and_b32_e32 v19, 0x7fffff, v2
	v_bfe_u32 v2, v2, 23, 8
	v_cmp_gt_u32_e64 s[18:19], s53, v2
	v_sub_u32_e32 v3, 0x79, v2
	v_cmp_eq_u32_e32 vcc, 0, v2
	v_cndmask_b32_e64 v3, 0, v3, s[18:19]
	v_mov_b32_e32 v23, 0x78
	v_or_b32_e32 v22, 0x800000, v19
	v_cndmask_b32_e32 v3, v3, v23, vcc
	v_cndmask_b32_e32 v22, v22, v19, vcc
	v_add_u32_e32 v19, 20, v3
	v_lshlrev_b64 v[26:27], v19, -1
	v_mov_b32_e32 v23, v51
	v_add_u32_e32 v19, 19, v3
	v_bfi_b32 v26, v26, 0, v22
	v_lshlrev_b64 v[34:35], v19, 1
	v_lshrrev_b64 v[22:23], v3, v[22:23]
	v_bfi_b32 v27, v27, 0, 0
	v_cmp_eq_u64_e64 s[18:19], v[26:27], v[34:35]
	v_mov_b32_e32 v58, v23
	v_mov_b32_e32 v57, v22
	s_and_saveexec_b64 s[94:95], s[18:19]
; %bb.3788:                             ;   in Loop: Header=BB4_3228 Depth=2
	v_bfe_u32 v19, v22, 20, 1
	v_add_co_u32_e64 v19, s[18:19], v22, v19
	v_add_co_u32_e64 v57, s[18:19], -1, v19
; %bb.3789:                             ;   in Loop: Header=BB4_3228 Depth=2
	s_or_b64 exec, exec, s[94:95]
	v_add_u32_e32 v2, 0xffffff81, v2
	v_cndmask_b32_e32 v2, v2, v49, vcc
	v_lshrrev_b32_e32 v19, 23, v22
	v_add3_u32 v19, v3, v2, v19
	v_add_u32_e32 v3, 6, v19
	v_and_b32_e32 v2, 0xfffff, v57
	v_add_u32_e32 v22, v2, v22
	v_mov_b32_e32 v23, v51
	v_cmp_ne_u32_e32 vcc, 0, v3
                                        ; implicit-def: $vgpr2
	s_and_saveexec_b64 s[18:19], vcc
	s_xor_b64 s[18:19], exec, s[18:19]
; %bb.3790:                             ;   in Loop: Header=BB4_3228 Depth=2
	v_cmp_lt_u64_e32 vcc, s[74:75], v[22:23]
	v_add_u32_e32 v2, 7, v19
	v_cndmask_b32_e32 v2, v3, v2, vcc
	v_cndmask_b32_e64 v3, 0, 1, vcc
	v_lshrrev_b64 v[22:23], v3, v[22:23]
; %bb.3791:                             ;   in Loop: Header=BB4_3228 Depth=2
	s_andn2_saveexec_b64 s[18:19], s[18:19]
; %bb.3792:                             ;   in Loop: Header=BB4_3228 Depth=2
	v_bfe_u32 v2, v22, 23, 1
; %bb.3793:                             ;   in Loop: Header=BB4_3228 Depth=2
	s_or_b64 exec, exec, s[18:19]
	v_lshrrev_b64 v[22:23], 20, v[22:23]
	v_cmp_gt_i32_e32 vcc, 16, v2
	v_cndmask_b32_e32 v23, 0, v23, vcc
	v_cndmask_b32_e32 v22, 7, v22, vcc
	v_cmp_eq_u32_e32 vcc, 0, v2
	v_min_i32_e32 v2, 15, v2
	v_cmp_eq_u64_e64 s[18:19], 0, v[22:23]
	v_lshlrev_b32_e32 v2, 3, v2
	v_and_b32_e32 v2, 0xf8, v2
	v_and_or_b32 v2, v22, 7, v2
	s_and_b64 s[18:19], vcc, s[18:19]
	v_cndmask_b32_e64 v2, v2, 0, s[18:19]
	v_or_b32_e32 v57, v2, v1
.LBB4_3794:                             ;   in Loop: Header=BB4_3228 Depth=2
	s_or_b64 exec, exec, s[92:93]
                                        ; implicit-def: $vgpr1
.LBB4_3795:                             ;   in Loop: Header=BB4_3228 Depth=2
	s_andn2_saveexec_b64 s[18:19], s[90:91]
; %bb.3796:                             ;   in Loop: Header=BB4_3228 Depth=2
	v_or_b32_e32 v57, 0x7e, v1
; %bb.3797:                             ;   in Loop: Header=BB4_3228 Depth=2
	s_or_b64 exec, exec, s[18:19]
                                        ; implicit-def: $vgpr2
.LBB4_3798:                             ;   in Loop: Header=BB4_3228 Depth=2
	s_andn2_saveexec_b64 s[18:19], s[20:21]
; %bb.3799:                             ;   in Loop: Header=BB4_3228 Depth=2
	v_or_b32_sdwa v57, v2, s51 dst_sel:DWORD dst_unused:UNUSED_PAD src0_sel:BYTE_3 src1_sel:DWORD
; %bb.3800:                             ;   in Loop: Header=BB4_3228 Depth=2
	s_or_b64 exec, exec, s[18:19]
	v_lshrrev_b16_e32 v22, 8, v50
	v_lshrrev_b16_e32 v19, 8, v18
	v_cmp_ne_u16_e64 s[18:19], 0, v22
	s_mov_b64 s[20:21], -1
	s_and_b64 vcc, exec, s[26:27]
                                        ; implicit-def: $vgpr2
	s_cbranch_vccz .LBB4_3814
; %bb.3801:                             ;   in Loop: Header=BB4_3228 Depth=2
	v_mov_b32_e32 v2, 0
	v_mov_b32_e32 v1, 0
	s_and_saveexec_b64 s[20:21], s[18:19]
	s_cbranch_execz .LBB4_3807
; %bb.3802:                             ;   in Loop: Header=BB4_3228 Depth=2
	v_cmp_ne_u16_e32 vcc, s49, v22
	v_bfrev_b32_e32 v1, 1
	s_and_saveexec_b64 s[90:91], vcc
	s_cbranch_execz .LBB4_3806
; %bb.3803:                             ;   in Loop: Header=BB4_3228 Depth=2
	v_and_b32_e32 v3, 0x7f, v22
	v_cmp_ne_u32_e32 vcc, s51, v3
	v_mov_b32_e32 v1, 0x7f800001
	s_and_saveexec_b64 s[92:93], vcc
	s_cbranch_execz .LBB4_3805
; %bb.3804:                             ;   in Loop: Header=BB4_3228 Depth=2
	v_and_b32_e32 v1, 7, v22
	v_lshrrev_b32_e32 v23, 3, v3
	v_cmp_gt_u32_e32 vcc, 8, v3
	v_ffbh_u32_e32 v3, v1
	v_min_u32_e32 v3, 32, v3
	v_subrev_u32_e32 v26, 28, v3
	v_lshlrev_b64 v[26:27], v26, v[22:23]
	v_sub_u32_e32 v3, 29, v3
	v_and_b32_e32 v26, 7, v26
	v_cndmask_b32_e32 v3, v23, v3, vcc
	v_cndmask_b32_e32 v1, v1, v26, vcc
	v_lshlrev_b32_e32 v23, 16, v50
	v_lshlrev_b32_e32 v1, 20, v1
	v_and_b32_e32 v23, 0x80000000, v23
	v_lshl_add_u32 v3, v3, 23, v62
	v_or3_b32 v1, v23, v3, v1
.LBB4_3805:                             ;   in Loop: Header=BB4_3228 Depth=2
	s_or_b64 exec, exec, s[92:93]
.LBB4_3806:                             ;   in Loop: Header=BB4_3228 Depth=2
	s_or_b64 exec, exec, s[90:91]
.LBB4_3807:                             ;   in Loop: Header=BB4_3228 Depth=2
	s_or_b64 exec, exec, s[20:21]
	v_cmp_ne_u16_e32 vcc, 0, v19
	s_and_saveexec_b64 s[20:21], vcc
	s_cbranch_execz .LBB4_3813
; %bb.3808:                             ;   in Loop: Header=BB4_3228 Depth=2
	v_cmp_ne_u16_e32 vcc, s49, v19
	v_bfrev_b32_e32 v2, 1
	s_and_saveexec_b64 s[90:91], vcc
	s_cbranch_execz .LBB4_3812
; %bb.3809:                             ;   in Loop: Header=BB4_3228 Depth=2
	v_and_b32_e32 v3, 0x7f, v19
	v_cmp_ne_u32_e32 vcc, s51, v3
	v_mov_b32_e32 v2, 0x7f800001
	s_and_saveexec_b64 s[92:93], vcc
	s_cbranch_execz .LBB4_3811
; %bb.3810:                             ;   in Loop: Header=BB4_3228 Depth=2
	v_and_b32_e32 v23, 7, v19
	v_ffbh_u32_e32 v2, v23
	v_min_u32_e32 v27, 32, v2
	v_subrev_u32_e32 v2, 28, v27
	v_lshrrev_b32_e32 v26, 3, v3
	v_cmp_gt_u32_e32 vcc, 8, v3
	v_lshlrev_b64 v[2:3], v2, v[19:20]
	v_sub_u32_e32 v3, 29, v27
	v_and_b32_e32 v2, 7, v2
	v_cndmask_b32_e32 v3, v26, v3, vcc
	v_cndmask_b32_e32 v2, v23, v2, vcc
	v_lshlrev_b32_e32 v23, 16, v18
	v_lshlrev_b32_e32 v2, 20, v2
	v_and_b32_e32 v23, 0x80000000, v23
	v_lshl_add_u32 v3, v3, 23, v62
	v_or3_b32 v2, v23, v3, v2
.LBB4_3811:                             ;   in Loop: Header=BB4_3228 Depth=2
	s_or_b64 exec, exec, s[92:93]
.LBB4_3812:                             ;   in Loop: Header=BB4_3228 Depth=2
	s_or_b64 exec, exec, s[90:91]
.LBB4_3813:                             ;   in Loop: Header=BB4_3228 Depth=2
	s_or_b64 exec, exec, s[20:21]
	v_max_f32_e32 v2, v2, v2
	v_max_f32_e32 v1, v1, v1
	;; [unrolled: 1-line block ×3, first 2 shown]
	s_mov_b64 s[20:21], 0
.LBB4_3814:                             ;   in Loop: Header=BB4_3228 Depth=2
	s_and_b64 vcc, exec, s[20:21]
	s_cbranch_vccz .LBB4_3828
; %bb.3815:                             ;   in Loop: Header=BB4_3228 Depth=2
	v_mov_b32_e32 v2, 0
	v_mov_b32_e32 v1, 0
	s_and_saveexec_b64 s[20:21], s[18:19]
	s_cbranch_execz .LBB4_3821
; %bb.3816:                             ;   in Loop: Header=BB4_3228 Depth=2
	v_cmp_ne_u16_e32 vcc, s49, v22
	v_bfrev_b32_e32 v1, 1
	s_and_saveexec_b64 s[18:19], vcc
	s_cbranch_execz .LBB4_3820
; %bb.3817:                             ;   in Loop: Header=BB4_3228 Depth=2
	v_and_b32_e32 v3, 0x7f, v22
	v_cmp_ne_u32_e32 vcc, s51, v3
	v_mov_b32_e32 v1, 0x7f800001
	s_and_saveexec_b64 s[90:91], vcc
	s_cbranch_execz .LBB4_3819
; %bb.3818:                             ;   in Loop: Header=BB4_3228 Depth=2
	v_and_b32_e32 v1, 7, v22
	v_lshrrev_b32_e32 v26, 3, v3
	v_cmp_gt_u32_e32 vcc, 8, v3
	v_ffbh_u32_e32 v3, v1
	v_min_u32_e32 v3, 32, v3
	v_subrev_u32_e32 v23, 28, v3
	v_lshlrev_b64 v[22:23], v23, v[22:23]
	v_sub_u32_e32 v3, 29, v3
	v_and_b32_e32 v22, 7, v22
	v_cndmask_b32_e32 v3, v26, v3, vcc
	v_cndmask_b32_e32 v1, v1, v22, vcc
	v_lshlrev_b32_e32 v22, 16, v50
	v_lshlrev_b32_e32 v1, 20, v1
	v_and_b32_e32 v22, 0x80000000, v22
	v_lshl_add_u32 v3, v3, 23, v62
	v_or3_b32 v1, v22, v3, v1
.LBB4_3819:                             ;   in Loop: Header=BB4_3228 Depth=2
	s_or_b64 exec, exec, s[90:91]
.LBB4_3820:                             ;   in Loop: Header=BB4_3228 Depth=2
	s_or_b64 exec, exec, s[18:19]
.LBB4_3821:                             ;   in Loop: Header=BB4_3228 Depth=2
	s_or_b64 exec, exec, s[20:21]
	v_cmp_ne_u16_e32 vcc, 0, v19
	s_and_saveexec_b64 s[18:19], vcc
	s_cbranch_execz .LBB4_3827
; %bb.3822:                             ;   in Loop: Header=BB4_3228 Depth=2
	v_cmp_ne_u16_e32 vcc, s49, v19
	v_bfrev_b32_e32 v2, 1
	s_and_saveexec_b64 s[20:21], vcc
	s_cbranch_execz .LBB4_3826
; %bb.3823:                             ;   in Loop: Header=BB4_3228 Depth=2
	v_and_b32_e32 v3, 0x7f, v19
	v_cmp_ne_u32_e32 vcc, s51, v3
	v_mov_b32_e32 v2, 0x7f800001
	s_and_saveexec_b64 s[90:91], vcc
	s_cbranch_execz .LBB4_3825
; %bb.3824:                             ;   in Loop: Header=BB4_3228 Depth=2
	v_and_b32_e32 v22, 7, v19
	v_ffbh_u32_e32 v2, v22
	v_min_u32_e32 v26, 32, v2
	v_subrev_u32_e32 v2, 28, v26
	v_lshrrev_b32_e32 v23, 3, v3
	v_cmp_gt_u32_e32 vcc, 8, v3
	v_lshlrev_b64 v[2:3], v2, v[19:20]
	v_sub_u32_e32 v3, 29, v26
	v_and_b32_e32 v2, 7, v2
	v_cndmask_b32_e32 v3, v23, v3, vcc
	v_cndmask_b32_e32 v2, v22, v2, vcc
	v_lshlrev_b32_e32 v18, 16, v18
	v_lshlrev_b32_e32 v2, 20, v2
	v_and_b32_e32 v18, 0x80000000, v18
	v_lshl_add_u32 v3, v3, 23, v62
	v_or3_b32 v2, v18, v3, v2
.LBB4_3825:                             ;   in Loop: Header=BB4_3228 Depth=2
	s_or_b64 exec, exec, s[90:91]
.LBB4_3826:                             ;   in Loop: Header=BB4_3228 Depth=2
	s_or_b64 exec, exec, s[20:21]
.LBB4_3827:                             ;   in Loop: Header=BB4_3228 Depth=2
	s_or_b64 exec, exec, s[18:19]
	v_max_f32_e32 v2, v2, v2
	v_max_f32_e32 v1, v1, v1
	v_min_f32_e32 v2, v1, v2
.LBB4_3828:                             ;   in Loop: Header=BB4_3228 Depth=2
	v_and_b32_e32 v50, 0x7f800000, v2
	v_cmp_ne_u64_e32 vcc, s[62:63], v[50:51]
                                        ; implicit-def: $vgpr58
	s_and_saveexec_b64 s[18:19], vcc
	s_xor_b64 s[20:21], exec, s[18:19]
	s_cbranch_execz .LBB4_3842
; %bb.3829:                             ;   in Loop: Header=BB4_3228 Depth=2
	v_and_b32_e32 v50, 0x7fffffff, v2
	v_cmp_gt_u64_e32 vcc, s[72:73], v[50:51]
	v_and_b32_sdwa v1, v2, s49 dst_sel:DWORD dst_unused:UNUSED_PAD src0_sel:BYTE_3 src1_sel:DWORD
                                        ; implicit-def: $vgpr58
	s_and_saveexec_b64 s[18:19], vcc
	s_xor_b64 s[90:91], exec, s[18:19]
	s_cbranch_execz .LBB4_3839
; %bb.3830:                             ;   in Loop: Header=BB4_3228 Depth=2
	v_mov_b32_e32 v58, 0
	v_cmp_ne_u32_e32 vcc, 0, v2
	s_and_saveexec_b64 s[92:93], vcc
	s_cbranch_execz .LBB4_3838
; %bb.3831:                             ;   in Loop: Header=BB4_3228 Depth=2
	v_and_b32_e32 v18, 0x7fffff, v2
	v_bfe_u32 v2, v2, 23, 8
	v_cmp_gt_u32_e64 s[18:19], s53, v2
	v_sub_u32_e32 v3, 0x79, v2
	v_cmp_eq_u32_e32 vcc, 0, v2
	v_cndmask_b32_e64 v3, 0, v3, s[18:19]
	v_mov_b32_e32 v22, 0x78
	v_or_b32_e32 v19, 0x800000, v18
	v_cndmask_b32_e32 v3, v3, v22, vcc
	v_cndmask_b32_e32 v50, v19, v18, vcc
	v_add_u32_e32 v18, 20, v3
	v_lshlrev_b64 v[18:19], v18, -1
	v_add_u32_e32 v22, 19, v3
	v_lshlrev_b64 v[22:23], v22, 1
	v_bfi_b32 v19, v19, 0, 0
	v_bfi_b32 v18, v18, 0, v50
	v_cmp_eq_u64_e64 s[18:19], v[18:19], v[22:23]
	v_lshrrev_b64 v[18:19], v3, v[50:51]
	v_mov_b32_e32 v23, v19
	v_mov_b32_e32 v22, v18
	s_and_saveexec_b64 s[94:95], s[18:19]
; %bb.3832:                             ;   in Loop: Header=BB4_3228 Depth=2
	v_bfe_u32 v19, v18, 20, 1
	v_add_co_u32_e64 v19, s[18:19], v18, v19
	v_add_co_u32_e64 v22, s[18:19], -1, v19
; %bb.3833:                             ;   in Loop: Header=BB4_3228 Depth=2
	s_or_b64 exec, exec, s[94:95]
	v_add_u32_e32 v2, 0xffffff81, v2
	v_cndmask_b32_e32 v2, v2, v49, vcc
	v_lshrrev_b32_e32 v19, 23, v18
	v_add3_u32 v23, v3, v2, v19
	v_add_u32_e32 v3, 6, v23
	v_and_b32_e32 v2, 0xfffff, v22
	v_add_u32_e32 v50, v2, v18
	v_cmp_ne_u32_e32 vcc, 0, v3
                                        ; implicit-def: $vgpr18_vgpr19
                                        ; implicit-def: $vgpr2
	s_and_saveexec_b64 s[18:19], vcc
	s_xor_b64 s[18:19], exec, s[18:19]
; %bb.3834:                             ;   in Loop: Header=BB4_3228 Depth=2
	v_cmp_lt_u64_e32 vcc, s[74:75], v[50:51]
	v_add_u32_e32 v2, 7, v23
	v_cndmask_b32_e32 v2, v3, v2, vcc
	v_cndmask_b32_e64 v3, 0, 1, vcc
	v_lshrrev_b64 v[18:19], v3, v[50:51]
; %bb.3835:                             ;   in Loop: Header=BB4_3228 Depth=2
	s_andn2_saveexec_b64 s[18:19], s[18:19]
; %bb.3836:                             ;   in Loop: Header=BB4_3228 Depth=2
	v_mov_b32_e32 v18, v50
	v_bfe_u32 v2, v50, 23, 1
	v_mov_b32_e32 v19, v51
; %bb.3837:                             ;   in Loop: Header=BB4_3228 Depth=2
	s_or_b64 exec, exec, s[18:19]
	v_lshrrev_b64 v[18:19], 20, v[18:19]
	v_cmp_gt_i32_e32 vcc, 16, v2
	v_cndmask_b32_e32 v19, 0, v19, vcc
	v_cndmask_b32_e32 v18, 7, v18, vcc
	v_cmp_eq_u32_e32 vcc, 0, v2
	v_min_i32_e32 v2, 15, v2
	v_cmp_eq_u64_e64 s[18:19], 0, v[18:19]
	v_lshlrev_b32_e32 v2, 3, v2
	v_and_b32_e32 v2, 0xf8, v2
	v_and_or_b32 v2, v18, 7, v2
	s_and_b64 s[18:19], vcc, s[18:19]
	v_cndmask_b32_e64 v2, v2, 0, s[18:19]
	v_or_b32_e32 v58, v2, v1
.LBB4_3838:                             ;   in Loop: Header=BB4_3228 Depth=2
	s_or_b64 exec, exec, s[92:93]
                                        ; implicit-def: $vgpr1
.LBB4_3839:                             ;   in Loop: Header=BB4_3228 Depth=2
	s_andn2_saveexec_b64 s[18:19], s[90:91]
; %bb.3840:                             ;   in Loop: Header=BB4_3228 Depth=2
	v_or_b32_e32 v58, 0x7e, v1
; %bb.3841:                             ;   in Loop: Header=BB4_3228 Depth=2
	s_or_b64 exec, exec, s[18:19]
                                        ; implicit-def: $vgpr2
.LBB4_3842:                             ;   in Loop: Header=BB4_3228 Depth=2
	s_andn2_saveexec_b64 s[18:19], s[20:21]
; %bb.3843:                             ;   in Loop: Header=BB4_3228 Depth=2
	v_or_b32_sdwa v58, v2, s51 dst_sel:DWORD dst_unused:UNUSED_PAD src0_sel:BYTE_3 src1_sel:DWORD
; %bb.3844:                             ;   in Loop: Header=BB4_3228 Depth=2
	s_or_b64 exec, exec, s[18:19]
	v_lshrrev_b32_e32 v19, 16, v25
	v_lshrrev_b32_e32 v18, 16, v21
	v_cmp_ne_u16_sdwa s[18:19], v19, v51 src0_sel:BYTE_0 src1_sel:DWORD
	s_mov_b64 s[20:21], -1
	s_and_b64 vcc, exec, s[26:27]
                                        ; implicit-def: $vgpr2
	s_cbranch_vccz .LBB4_3858
; %bb.3845:                             ;   in Loop: Header=BB4_3228 Depth=2
	v_mov_b32_e32 v2, 0
	v_mov_b32_e32 v1, 0
	s_and_saveexec_b64 s[20:21], s[18:19]
	s_cbranch_execz .LBB4_3851
; %bb.3846:                             ;   in Loop: Header=BB4_3228 Depth=2
	v_cmp_ne_u16_sdwa s[92:93], v19, s49 src0_sel:BYTE_0 src1_sel:DWORD
	v_bfrev_b32_e32 v1, 1
	s_and_saveexec_b64 s[90:91], s[92:93]
	s_cbranch_execz .LBB4_3850
; %bb.3847:                             ;   in Loop: Header=BB4_3228 Depth=2
	v_bfe_u32 v3, v25, 16, 7
	v_cmp_ne_u32_e32 vcc, s51, v3
	v_mov_b32_e32 v1, 0x7f800001
	s_and_saveexec_b64 s[92:93], vcc
	s_cbranch_execz .LBB4_3849
; %bb.3848:                             ;   in Loop: Header=BB4_3228 Depth=2
	v_and_b32_e32 v1, 7, v19
	v_lshrrev_b32_e32 v26, 3, v3
	v_cmp_gt_u32_e32 vcc, 8, v3
	v_ffbh_u32_e32 v3, v1
	v_min_u32_e32 v3, 32, v3
	v_subrev_u32_e32 v22, 28, v3
	v_lshlrev_b64 v[22:23], v22, v[19:20]
	v_sub_u32_e32 v3, 29, v3
	v_and_b32_e32 v22, 7, v22
	v_cndmask_b32_e32 v3, v26, v3, vcc
	v_cndmask_b32_e32 v1, v1, v22, vcc
	v_lshlrev_b32_e32 v22, 24, v19
	v_lshlrev_b32_e32 v1, 20, v1
	v_and_b32_e32 v22, 0x80000000, v22
	v_lshl_add_u32 v3, v3, 23, v62
	v_or3_b32 v1, v22, v3, v1
.LBB4_3849:                             ;   in Loop: Header=BB4_3228 Depth=2
	s_or_b64 exec, exec, s[92:93]
.LBB4_3850:                             ;   in Loop: Header=BB4_3228 Depth=2
	s_or_b64 exec, exec, s[90:91]
.LBB4_3851:                             ;   in Loop: Header=BB4_3228 Depth=2
	s_or_b64 exec, exec, s[20:21]
	v_cmp_ne_u16_sdwa s[90:91], v18, v51 src0_sel:BYTE_0 src1_sel:DWORD
	s_and_saveexec_b64 s[20:21], s[90:91]
	s_cbranch_execz .LBB4_3857
; %bb.3852:                             ;   in Loop: Header=BB4_3228 Depth=2
	v_cmp_ne_u16_sdwa s[92:93], v18, s49 src0_sel:BYTE_0 src1_sel:DWORD
	v_bfrev_b32_e32 v2, 1
	s_and_saveexec_b64 s[90:91], s[92:93]
	s_cbranch_execz .LBB4_3856
; %bb.3853:                             ;   in Loop: Header=BB4_3228 Depth=2
	v_bfe_u32 v3, v21, 16, 7
	v_cmp_ne_u32_e32 vcc, s51, v3
	v_mov_b32_e32 v2, 0x7f800001
	s_and_saveexec_b64 s[92:93], vcc
	s_cbranch_execz .LBB4_3855
; %bb.3854:                             ;   in Loop: Header=BB4_3228 Depth=2
	v_and_b32_e32 v22, 7, v18
	v_ffbh_u32_e32 v2, v22
	v_min_u32_e32 v26, 32, v2
	v_subrev_u32_e32 v2, 28, v26
	v_lshrrev_b32_e32 v23, 3, v3
	v_cmp_gt_u32_e32 vcc, 8, v3
	v_lshlrev_b64 v[2:3], v2, v[18:19]
	v_sub_u32_e32 v3, 29, v26
	v_and_b32_e32 v2, 7, v2
	v_cndmask_b32_e32 v3, v23, v3, vcc
	v_cndmask_b32_e32 v2, v22, v2, vcc
	v_lshlrev_b32_e32 v22, 24, v18
	v_lshlrev_b32_e32 v2, 20, v2
	v_and_b32_e32 v22, 0x80000000, v22
	v_lshl_add_u32 v3, v3, 23, v62
	v_or3_b32 v2, v22, v3, v2
.LBB4_3855:                             ;   in Loop: Header=BB4_3228 Depth=2
	s_or_b64 exec, exec, s[92:93]
.LBB4_3856:                             ;   in Loop: Header=BB4_3228 Depth=2
	s_or_b64 exec, exec, s[90:91]
.LBB4_3857:                             ;   in Loop: Header=BB4_3228 Depth=2
	s_or_b64 exec, exec, s[20:21]
	v_max_f32_e32 v2, v2, v2
	v_max_f32_e32 v1, v1, v1
	;; [unrolled: 1-line block ×3, first 2 shown]
	s_mov_b64 s[20:21], 0
.LBB4_3858:                             ;   in Loop: Header=BB4_3228 Depth=2
	s_and_b64 vcc, exec, s[20:21]
	s_cbranch_vccz .LBB4_3872
; %bb.3859:                             ;   in Loop: Header=BB4_3228 Depth=2
	v_mov_b32_e32 v2, 0
	v_mov_b32_e32 v1, 0
	s_and_saveexec_b64 s[20:21], s[18:19]
	s_cbranch_execz .LBB4_3865
; %bb.3860:                             ;   in Loop: Header=BB4_3228 Depth=2
	v_cmp_ne_u16_sdwa s[90:91], v19, s49 src0_sel:BYTE_0 src1_sel:DWORD
	v_bfrev_b32_e32 v1, 1
	s_and_saveexec_b64 s[18:19], s[90:91]
	s_cbranch_execz .LBB4_3864
; %bb.3861:                             ;   in Loop: Header=BB4_3228 Depth=2
	v_bfe_u32 v3, v25, 16, 7
	v_cmp_ne_u32_e32 vcc, s51, v3
	v_mov_b32_e32 v1, 0x7f800001
	s_and_saveexec_b64 s[90:91], vcc
	s_cbranch_execz .LBB4_3863
; %bb.3862:                             ;   in Loop: Header=BB4_3228 Depth=2
	v_and_b32_e32 v1, 7, v19
	v_lshrrev_b32_e32 v26, 3, v3
	v_cmp_gt_u32_e32 vcc, 8, v3
	v_ffbh_u32_e32 v3, v1
	v_min_u32_e32 v3, 32, v3
	v_subrev_u32_e32 v22, 28, v3
	v_lshlrev_b64 v[22:23], v22, v[19:20]
	v_sub_u32_e32 v3, 29, v3
	v_and_b32_e32 v22, 7, v22
	v_cndmask_b32_e32 v3, v26, v3, vcc
	v_cndmask_b32_e32 v1, v1, v22, vcc
	v_lshlrev_b32_e32 v19, 24, v19
	v_lshlrev_b32_e32 v1, 20, v1
	v_and_b32_e32 v19, 0x80000000, v19
	v_lshl_add_u32 v3, v3, 23, v62
	v_or3_b32 v1, v19, v3, v1
.LBB4_3863:                             ;   in Loop: Header=BB4_3228 Depth=2
	s_or_b64 exec, exec, s[90:91]
.LBB4_3864:                             ;   in Loop: Header=BB4_3228 Depth=2
	s_or_b64 exec, exec, s[18:19]
.LBB4_3865:                             ;   in Loop: Header=BB4_3228 Depth=2
	s_or_b64 exec, exec, s[20:21]
	v_cmp_ne_u16_sdwa s[20:21], v18, v51 src0_sel:BYTE_0 src1_sel:DWORD
	s_and_saveexec_b64 s[18:19], s[20:21]
	s_cbranch_execz .LBB4_3871
; %bb.3866:                             ;   in Loop: Header=BB4_3228 Depth=2
	v_cmp_ne_u16_sdwa s[90:91], v18, s49 src0_sel:BYTE_0 src1_sel:DWORD
	v_bfrev_b32_e32 v2, 1
	s_and_saveexec_b64 s[20:21], s[90:91]
	s_cbranch_execz .LBB4_3870
; %bb.3867:                             ;   in Loop: Header=BB4_3228 Depth=2
	v_bfe_u32 v3, v21, 16, 7
	v_cmp_ne_u32_e32 vcc, s51, v3
	v_mov_b32_e32 v2, 0x7f800001
	s_and_saveexec_b64 s[90:91], vcc
	s_cbranch_execz .LBB4_3869
; %bb.3868:                             ;   in Loop: Header=BB4_3228 Depth=2
	v_and_b32_e32 v19, 7, v18
	v_ffbh_u32_e32 v2, v19
	v_min_u32_e32 v23, 32, v2
	v_subrev_u32_e32 v2, 28, v23
	v_lshrrev_b32_e32 v22, 3, v3
	v_cmp_gt_u32_e32 vcc, 8, v3
	v_lshlrev_b64 v[2:3], v2, v[18:19]
	v_sub_u32_e32 v3, 29, v23
	v_and_b32_e32 v2, 7, v2
	v_cndmask_b32_e32 v3, v22, v3, vcc
	v_cndmask_b32_e32 v2, v19, v2, vcc
	v_lshlrev_b32_e32 v18, 24, v18
	v_lshlrev_b32_e32 v2, 20, v2
	v_and_b32_e32 v18, 0x80000000, v18
	v_lshl_add_u32 v3, v3, 23, v62
	v_or3_b32 v2, v18, v3, v2
.LBB4_3869:                             ;   in Loop: Header=BB4_3228 Depth=2
	s_or_b64 exec, exec, s[90:91]
.LBB4_3870:                             ;   in Loop: Header=BB4_3228 Depth=2
	s_or_b64 exec, exec, s[20:21]
.LBB4_3871:                             ;   in Loop: Header=BB4_3228 Depth=2
	s_or_b64 exec, exec, s[18:19]
	v_max_f32_e32 v2, v2, v2
	v_max_f32_e32 v1, v1, v1
	v_min_f32_e32 v2, v1, v2
.LBB4_3872:                             ;   in Loop: Header=BB4_3228 Depth=2
	v_and_b32_e32 v50, 0x7f800000, v2
	v_cmp_ne_u64_e32 vcc, s[62:63], v[50:51]
                                        ; implicit-def: $vgpr22
	s_and_saveexec_b64 s[18:19], vcc
	s_xor_b64 s[20:21], exec, s[18:19]
	s_cbranch_execz .LBB4_3886
; %bb.3873:                             ;   in Loop: Header=BB4_3228 Depth=2
	v_and_b32_e32 v50, 0x7fffffff, v2
	v_cmp_gt_u64_e32 vcc, s[72:73], v[50:51]
	v_and_b32_sdwa v1, v2, s49 dst_sel:DWORD dst_unused:UNUSED_PAD src0_sel:BYTE_3 src1_sel:DWORD
                                        ; implicit-def: $vgpr22
	s_and_saveexec_b64 s[18:19], vcc
	s_xor_b64 s[90:91], exec, s[18:19]
	s_cbranch_execz .LBB4_3883
; %bb.3874:                             ;   in Loop: Header=BB4_3228 Depth=2
	v_mov_b32_e32 v22, 0
	v_cmp_ne_u32_e32 vcc, 0, v2
	s_and_saveexec_b64 s[92:93], vcc
	s_cbranch_execz .LBB4_3882
; %bb.3875:                             ;   in Loop: Header=BB4_3228 Depth=2
	v_and_b32_e32 v18, 0x7fffff, v2
	v_bfe_u32 v2, v2, 23, 8
	v_cmp_gt_u32_e64 s[18:19], s53, v2
	v_sub_u32_e32 v3, 0x79, v2
	v_cmp_eq_u32_e32 vcc, 0, v2
	v_cndmask_b32_e64 v3, 0, v3, s[18:19]
	v_mov_b32_e32 v22, 0x78
	v_or_b32_e32 v19, 0x800000, v18
	v_cndmask_b32_e32 v3, v3, v22, vcc
	v_cndmask_b32_e32 v50, v19, v18, vcc
	v_add_u32_e32 v18, 20, v3
	v_lshlrev_b64 v[18:19], v18, -1
	v_add_u32_e32 v22, 19, v3
	v_lshlrev_b64 v[22:23], v22, 1
	v_bfi_b32 v19, v19, 0, 0
	v_bfi_b32 v18, v18, 0, v50
	v_cmp_eq_u64_e64 s[18:19], v[18:19], v[22:23]
	v_lshrrev_b64 v[18:19], v3, v[50:51]
	v_mov_b32_e32 v23, v19
	v_mov_b32_e32 v22, v18
	s_and_saveexec_b64 s[94:95], s[18:19]
; %bb.3876:                             ;   in Loop: Header=BB4_3228 Depth=2
	v_bfe_u32 v19, v18, 20, 1
	v_add_co_u32_e64 v19, s[18:19], v18, v19
	v_add_co_u32_e64 v22, s[18:19], -1, v19
; %bb.3877:                             ;   in Loop: Header=BB4_3228 Depth=2
	s_or_b64 exec, exec, s[94:95]
	v_add_u32_e32 v2, 0xffffff81, v2
	v_cndmask_b32_e32 v2, v2, v49, vcc
	v_lshrrev_b32_e32 v19, 23, v18
	v_add3_u32 v23, v3, v2, v19
	v_add_u32_e32 v3, 6, v23
	v_and_b32_e32 v2, 0xfffff, v22
	v_add_u32_e32 v50, v2, v18
	v_cmp_ne_u32_e32 vcc, 0, v3
                                        ; implicit-def: $vgpr18_vgpr19
                                        ; implicit-def: $vgpr2
	s_and_saveexec_b64 s[18:19], vcc
	s_xor_b64 s[18:19], exec, s[18:19]
; %bb.3878:                             ;   in Loop: Header=BB4_3228 Depth=2
	v_cmp_lt_u64_e32 vcc, s[74:75], v[50:51]
	v_add_u32_e32 v2, 7, v23
	v_cndmask_b32_e32 v2, v3, v2, vcc
	v_cndmask_b32_e64 v3, 0, 1, vcc
	v_lshrrev_b64 v[18:19], v3, v[50:51]
; %bb.3879:                             ;   in Loop: Header=BB4_3228 Depth=2
	s_andn2_saveexec_b64 s[18:19], s[18:19]
; %bb.3880:                             ;   in Loop: Header=BB4_3228 Depth=2
	v_mov_b32_e32 v18, v50
	v_bfe_u32 v2, v50, 23, 1
	v_mov_b32_e32 v19, v51
; %bb.3881:                             ;   in Loop: Header=BB4_3228 Depth=2
	s_or_b64 exec, exec, s[18:19]
	v_lshrrev_b64 v[18:19], 20, v[18:19]
	v_cmp_gt_i32_e32 vcc, 16, v2
	v_cndmask_b32_e32 v19, 0, v19, vcc
	v_cndmask_b32_e32 v18, 7, v18, vcc
	v_cmp_eq_u32_e32 vcc, 0, v2
	v_min_i32_e32 v2, 15, v2
	v_cmp_eq_u64_e64 s[18:19], 0, v[18:19]
	v_lshlrev_b32_e32 v2, 3, v2
	v_and_b32_e32 v2, 0xf8, v2
	v_and_or_b32 v2, v18, 7, v2
	s_and_b64 s[18:19], vcc, s[18:19]
	v_cndmask_b32_e64 v2, v2, 0, s[18:19]
	v_or_b32_e32 v22, v2, v1
.LBB4_3882:                             ;   in Loop: Header=BB4_3228 Depth=2
	s_or_b64 exec, exec, s[92:93]
                                        ; implicit-def: $vgpr1
.LBB4_3883:                             ;   in Loop: Header=BB4_3228 Depth=2
	s_andn2_saveexec_b64 s[18:19], s[90:91]
; %bb.3884:                             ;   in Loop: Header=BB4_3228 Depth=2
	v_or_b32_e32 v22, 0x7e, v1
; %bb.3885:                             ;   in Loop: Header=BB4_3228 Depth=2
	s_or_b64 exec, exec, s[18:19]
                                        ; implicit-def: $vgpr2
.LBB4_3886:                             ;   in Loop: Header=BB4_3228 Depth=2
	s_andn2_saveexec_b64 s[18:19], s[20:21]
; %bb.3887:                             ;   in Loop: Header=BB4_3228 Depth=2
	v_or_b32_sdwa v22, v2, s51 dst_sel:DWORD dst_unused:UNUSED_PAD src0_sel:BYTE_3 src1_sel:DWORD
; %bb.3888:                             ;   in Loop: Header=BB4_3228 Depth=2
	s_or_b64 exec, exec, s[18:19]
	v_cmp_lt_u64_e64 s[18:19], s[76:77], v[24:25]
	v_lshrrev_b32_e32 v19, 24, v25
	v_lshrrev_b32_e32 v18, 24, v21
	s_mov_b64 s[20:21], -1
	s_and_b64 vcc, exec, s[26:27]
                                        ; implicit-def: $vgpr2
	s_cbranch_vccz .LBB4_3902
; %bb.3889:                             ;   in Loop: Header=BB4_3228 Depth=2
	v_mov_b32_e32 v2, 0
	v_mov_b32_e32 v1, 0
	s_and_saveexec_b64 s[20:21], s[18:19]
	s_cbranch_execz .LBB4_3895
; %bb.3890:                             ;   in Loop: Header=BB4_3228 Depth=2
	v_cmp_ne_u32_e32 vcc, s49, v19
	v_bfrev_b32_e32 v1, 1
	s_and_saveexec_b64 s[90:91], vcc
	s_cbranch_execz .LBB4_3894
; %bb.3891:                             ;   in Loop: Header=BB4_3228 Depth=2
	v_bfe_u32 v3, v25, 24, 7
	v_cmp_ne_u32_e32 vcc, s51, v3
	v_mov_b32_e32 v1, 0x7f800001
	s_and_saveexec_b64 s[92:93], vcc
	s_cbranch_execz .LBB4_3893
; %bb.3892:                             ;   in Loop: Header=BB4_3228 Depth=2
	v_and_b32_e32 v1, 7, v19
	v_lshrrev_b32_e32 v26, 3, v3
	v_cmp_gt_u32_e32 vcc, 8, v3
	v_ffbh_u32_e32 v3, v1
	v_min_u32_e32 v3, 32, v3
	v_subrev_u32_e32 v23, 28, v3
	v_lshlrev_b64 v[23:24], v23, v[19:20]
	v_sub_u32_e32 v3, 29, v3
	v_and_b32_e32 v23, 7, v23
	v_cndmask_b32_e32 v3, v26, v3, vcc
	v_cndmask_b32_e32 v1, v1, v23, vcc
	v_lshlrev_b32_e32 v23, 24, v19
	v_lshlrev_b32_e32 v1, 20, v1
	v_and_b32_e32 v23, 0x80000000, v23
	v_lshl_add_u32 v3, v3, 23, v62
	v_or3_b32 v1, v23, v3, v1
.LBB4_3893:                             ;   in Loop: Header=BB4_3228 Depth=2
	s_or_b64 exec, exec, s[92:93]
.LBB4_3894:                             ;   in Loop: Header=BB4_3228 Depth=2
	s_or_b64 exec, exec, s[90:91]
.LBB4_3895:                             ;   in Loop: Header=BB4_3228 Depth=2
	s_or_b64 exec, exec, s[20:21]
	v_cmp_lt_u64_e32 vcc, s[76:77], v[20:21]
	s_and_saveexec_b64 s[20:21], vcc
	s_cbranch_execz .LBB4_3901
; %bb.3896:                             ;   in Loop: Header=BB4_3228 Depth=2
	v_cmp_ne_u32_e32 vcc, s49, v18
	v_bfrev_b32_e32 v2, 1
	s_and_saveexec_b64 s[90:91], vcc
	s_cbranch_execz .LBB4_3900
; %bb.3897:                             ;   in Loop: Header=BB4_3228 Depth=2
	v_bfe_u32 v3, v21, 24, 7
	v_cmp_ne_u32_e32 vcc, s51, v3
	v_mov_b32_e32 v2, 0x7f800001
	s_and_saveexec_b64 s[92:93], vcc
	s_cbranch_execz .LBB4_3899
; %bb.3898:                             ;   in Loop: Header=BB4_3228 Depth=2
	v_and_b32_e32 v23, 7, v18
	v_ffbh_u32_e32 v2, v23
	v_min_u32_e32 v26, 32, v2
	v_subrev_u32_e32 v2, 28, v26
	v_lshrrev_b32_e32 v24, 3, v3
	v_cmp_gt_u32_e32 vcc, 8, v3
	v_lshlrev_b64 v[2:3], v2, v[18:19]
	v_sub_u32_e32 v3, 29, v26
	v_and_b32_e32 v2, 7, v2
	v_cndmask_b32_e32 v3, v24, v3, vcc
	v_cndmask_b32_e32 v2, v23, v2, vcc
	v_lshlrev_b32_e32 v23, 24, v18
	v_lshlrev_b32_e32 v2, 20, v2
	v_and_b32_e32 v23, 0x80000000, v23
	v_lshl_add_u32 v3, v3, 23, v62
	v_or3_b32 v2, v23, v3, v2
.LBB4_3899:                             ;   in Loop: Header=BB4_3228 Depth=2
	s_or_b64 exec, exec, s[92:93]
.LBB4_3900:                             ;   in Loop: Header=BB4_3228 Depth=2
	s_or_b64 exec, exec, s[90:91]
.LBB4_3901:                             ;   in Loop: Header=BB4_3228 Depth=2
	s_or_b64 exec, exec, s[20:21]
	v_max_f32_e32 v2, v2, v2
	v_max_f32_e32 v1, v1, v1
	;; [unrolled: 1-line block ×3, first 2 shown]
	s_mov_b64 s[20:21], 0
.LBB4_3902:                             ;   in Loop: Header=BB4_3228 Depth=2
	s_and_b64 vcc, exec, s[20:21]
	s_cbranch_vccz .LBB4_3916
; %bb.3903:                             ;   in Loop: Header=BB4_3228 Depth=2
	v_mov_b32_e32 v2, 0
	v_mov_b32_e32 v1, 0
	s_and_saveexec_b64 s[20:21], s[18:19]
	s_cbranch_execz .LBB4_3909
; %bb.3904:                             ;   in Loop: Header=BB4_3228 Depth=2
	v_cmp_ne_u32_e32 vcc, s49, v19
	v_bfrev_b32_e32 v1, 1
	s_and_saveexec_b64 s[18:19], vcc
	s_cbranch_execz .LBB4_3908
; %bb.3905:                             ;   in Loop: Header=BB4_3228 Depth=2
	v_bfe_u32 v3, v25, 24, 7
	v_cmp_ne_u32_e32 vcc, s51, v3
	v_mov_b32_e32 v1, 0x7f800001
	s_and_saveexec_b64 s[90:91], vcc
	s_cbranch_execz .LBB4_3907
; %bb.3906:                             ;   in Loop: Header=BB4_3228 Depth=2
	v_and_b32_e32 v1, 7, v19
	v_lshrrev_b32_e32 v25, 3, v3
	v_cmp_gt_u32_e32 vcc, 8, v3
	v_ffbh_u32_e32 v3, v1
	v_min_u32_e32 v3, 32, v3
	v_subrev_u32_e32 v23, 28, v3
	v_lshlrev_b64 v[23:24], v23, v[19:20]
	v_sub_u32_e32 v3, 29, v3
	v_and_b32_e32 v23, 7, v23
	v_cndmask_b32_e32 v3, v25, v3, vcc
	v_cndmask_b32_e32 v1, v1, v23, vcc
	v_lshlrev_b32_e32 v19, 24, v19
	v_lshlrev_b32_e32 v1, 20, v1
	v_and_b32_e32 v19, 0x80000000, v19
	v_lshl_add_u32 v3, v3, 23, v62
	v_or3_b32 v1, v19, v3, v1
.LBB4_3907:                             ;   in Loop: Header=BB4_3228 Depth=2
	s_or_b64 exec, exec, s[90:91]
.LBB4_3908:                             ;   in Loop: Header=BB4_3228 Depth=2
	s_or_b64 exec, exec, s[18:19]
.LBB4_3909:                             ;   in Loop: Header=BB4_3228 Depth=2
	s_or_b64 exec, exec, s[20:21]
	v_cmp_lt_u64_e32 vcc, s[76:77], v[20:21]
	s_and_saveexec_b64 s[18:19], vcc
	s_cbranch_execz .LBB4_3915
; %bb.3910:                             ;   in Loop: Header=BB4_3228 Depth=2
	v_cmp_ne_u32_e32 vcc, s49, v18
	v_bfrev_b32_e32 v2, 1
	s_and_saveexec_b64 s[20:21], vcc
	s_cbranch_execz .LBB4_3914
; %bb.3911:                             ;   in Loop: Header=BB4_3228 Depth=2
	v_bfe_u32 v3, v21, 24, 7
	v_cmp_ne_u32_e32 vcc, s51, v3
	v_mov_b32_e32 v2, 0x7f800001
	s_and_saveexec_b64 s[90:91], vcc
	s_cbranch_execz .LBB4_3913
; %bb.3912:                             ;   in Loop: Header=BB4_3228 Depth=2
	v_and_b32_e32 v19, 7, v18
	v_ffbh_u32_e32 v2, v19
	v_min_u32_e32 v21, 32, v2
	v_subrev_u32_e32 v2, 28, v21
	v_lshrrev_b32_e32 v20, 3, v3
	v_cmp_gt_u32_e32 vcc, 8, v3
	v_lshlrev_b64 v[2:3], v2, v[18:19]
	v_sub_u32_e32 v3, 29, v21
	v_and_b32_e32 v2, 7, v2
	v_cndmask_b32_e32 v3, v20, v3, vcc
	v_cndmask_b32_e32 v2, v19, v2, vcc
	v_lshlrev_b32_e32 v18, 24, v18
	v_lshlrev_b32_e32 v2, 20, v2
	v_and_b32_e32 v18, 0x80000000, v18
	v_lshl_add_u32 v3, v3, 23, v62
	v_or3_b32 v2, v18, v3, v2
.LBB4_3913:                             ;   in Loop: Header=BB4_3228 Depth=2
	s_or_b64 exec, exec, s[90:91]
.LBB4_3914:                             ;   in Loop: Header=BB4_3228 Depth=2
	s_or_b64 exec, exec, s[20:21]
.LBB4_3915:                             ;   in Loop: Header=BB4_3228 Depth=2
	s_or_b64 exec, exec, s[18:19]
	v_max_f32_e32 v2, v2, v2
	v_max_f32_e32 v1, v1, v1
	v_min_f32_e32 v2, v1, v2
.LBB4_3916:                             ;   in Loop: Header=BB4_3228 Depth=2
	v_and_b32_e32 v50, 0x7f800000, v2
	v_cmp_ne_u64_e32 vcc, s[62:63], v[50:51]
                                        ; implicit-def: $vgpr23
	s_and_saveexec_b64 s[18:19], vcc
	s_xor_b64 s[20:21], exec, s[18:19]
	s_cbranch_execz .LBB4_3930
; %bb.3917:                             ;   in Loop: Header=BB4_3228 Depth=2
	v_and_b32_e32 v50, 0x7fffffff, v2
	v_cmp_gt_u64_e32 vcc, s[72:73], v[50:51]
	v_and_b32_sdwa v1, v2, s49 dst_sel:DWORD dst_unused:UNUSED_PAD src0_sel:BYTE_3 src1_sel:DWORD
                                        ; implicit-def: $vgpr23
	s_and_saveexec_b64 s[18:19], vcc
	s_xor_b64 s[90:91], exec, s[18:19]
	s_cbranch_execz .LBB4_3927
; %bb.3918:                             ;   in Loop: Header=BB4_3228 Depth=2
	v_mov_b32_e32 v23, 0
	v_cmp_ne_u32_e32 vcc, 0, v2
	s_and_saveexec_b64 s[92:93], vcc
	s_cbranch_execz .LBB4_3926
; %bb.3919:                             ;   in Loop: Header=BB4_3228 Depth=2
	v_and_b32_e32 v18, 0x7fffff, v2
	v_bfe_u32 v2, v2, 23, 8
	v_cmp_gt_u32_e64 s[18:19], s53, v2
	v_sub_u32_e32 v3, 0x79, v2
	v_cmp_eq_u32_e32 vcc, 0, v2
	v_cndmask_b32_e64 v3, 0, v3, s[18:19]
	v_mov_b32_e32 v20, 0x78
	v_or_b32_e32 v19, 0x800000, v18
	v_cndmask_b32_e32 v3, v3, v20, vcc
	v_cndmask_b32_e32 v50, v19, v18, vcc
	v_add_u32_e32 v18, 20, v3
	v_lshlrev_b64 v[18:19], v18, -1
	v_add_u32_e32 v20, 19, v3
	v_lshlrev_b64 v[20:21], v20, 1
	v_bfi_b32 v19, v19, 0, 0
	v_bfi_b32 v18, v18, 0, v50
	v_cmp_eq_u64_e64 s[18:19], v[18:19], v[20:21]
	v_lshrrev_b64 v[18:19], v3, v[50:51]
	v_mov_b32_e32 v20, v19
	v_mov_b32_e32 v19, v18
	s_and_saveexec_b64 s[94:95], s[18:19]
; %bb.3920:                             ;   in Loop: Header=BB4_3228 Depth=2
	v_bfe_u32 v19, v18, 20, 1
	v_add_co_u32_e64 v19, s[18:19], v18, v19
	v_add_co_u32_e64 v19, s[18:19], -1, v19
; %bb.3921:                             ;   in Loop: Header=BB4_3228 Depth=2
	s_or_b64 exec, exec, s[94:95]
	v_add_u32_e32 v2, 0xffffff81, v2
	v_cndmask_b32_e32 v2, v2, v49, vcc
	v_lshrrev_b32_e32 v20, 23, v18
	v_add3_u32 v20, v3, v2, v20
	v_add_u32_e32 v3, 6, v20
	v_and_b32_e32 v2, 0xfffff, v19
	v_add_u32_e32 v50, v2, v18
	v_cmp_ne_u32_e32 vcc, 0, v3
                                        ; implicit-def: $vgpr18_vgpr19
                                        ; implicit-def: $vgpr2
	s_and_saveexec_b64 s[18:19], vcc
	s_xor_b64 s[18:19], exec, s[18:19]
; %bb.3922:                             ;   in Loop: Header=BB4_3228 Depth=2
	v_cmp_lt_u64_e32 vcc, s[74:75], v[50:51]
	v_add_u32_e32 v2, 7, v20
	v_cndmask_b32_e32 v2, v3, v2, vcc
	v_cndmask_b32_e64 v3, 0, 1, vcc
	v_lshrrev_b64 v[18:19], v3, v[50:51]
; %bb.3923:                             ;   in Loop: Header=BB4_3228 Depth=2
	s_andn2_saveexec_b64 s[18:19], s[18:19]
; %bb.3924:                             ;   in Loop: Header=BB4_3228 Depth=2
	v_mov_b32_e32 v18, v50
	v_bfe_u32 v2, v50, 23, 1
	v_mov_b32_e32 v19, v51
; %bb.3925:                             ;   in Loop: Header=BB4_3228 Depth=2
	s_or_b64 exec, exec, s[18:19]
	v_lshrrev_b64 v[18:19], 20, v[18:19]
	v_cmp_gt_i32_e32 vcc, 16, v2
	v_cndmask_b32_e32 v19, 0, v19, vcc
	v_cndmask_b32_e32 v18, 7, v18, vcc
	v_cmp_eq_u32_e32 vcc, 0, v2
	v_min_i32_e32 v2, 15, v2
	v_cmp_eq_u64_e64 s[18:19], 0, v[18:19]
	v_lshlrev_b32_e32 v2, 3, v2
	v_and_b32_e32 v2, 0xf8, v2
	v_and_or_b32 v2, v18, 7, v2
	s_and_b64 s[18:19], vcc, s[18:19]
	v_cndmask_b32_e64 v2, v2, 0, s[18:19]
	v_or_b32_e32 v23, v2, v1
.LBB4_3926:                             ;   in Loop: Header=BB4_3228 Depth=2
	s_or_b64 exec, exec, s[92:93]
                                        ; implicit-def: $vgpr1
.LBB4_3927:                             ;   in Loop: Header=BB4_3228 Depth=2
	s_andn2_saveexec_b64 s[18:19], s[90:91]
; %bb.3928:                             ;   in Loop: Header=BB4_3228 Depth=2
	v_or_b32_e32 v23, 0x7e, v1
; %bb.3929:                             ;   in Loop: Header=BB4_3228 Depth=2
	s_or_b64 exec, exec, s[18:19]
                                        ; implicit-def: $vgpr2
.LBB4_3930:                             ;   in Loop: Header=BB4_3228 Depth=2
	s_andn2_saveexec_b64 s[18:19], s[20:21]
; %bb.3931:                             ;   in Loop: Header=BB4_3228 Depth=2
	v_or_b32_sdwa v23, v2, s51 dst_sel:DWORD dst_unused:UNUSED_PAD src0_sel:BYTE_3 src1_sel:DWORD
; %bb.3932:                             ;   in Loop: Header=BB4_3228 Depth=2
	s_or_b64 exec, exec, s[18:19]
	v_cndmask_b32_e64 v1, 0, 1, s[26:27]
	v_cmp_ne_u16_sdwa s[20:21], v14, v51 src0_sel:BYTE_0 src1_sel:DWORD
	v_cmp_ne_u32_e64 s[18:19], 1, v1
	s_andn2_b64 vcc, exec, s[26:27]
	s_mov_b64 s[90:91], -1
                                        ; implicit-def: $vgpr2
	s_cbranch_vccnz .LBB4_3946
; %bb.3933:                             ;   in Loop: Header=BB4_3228 Depth=2
	v_mov_b32_e32 v2, 0
	v_mov_b32_e32 v1, 0
	s_and_saveexec_b64 s[90:91], s[20:21]
	s_cbranch_execz .LBB4_3939
; %bb.3934:                             ;   in Loop: Header=BB4_3228 Depth=2
	v_cmp_ne_u16_sdwa s[94:95], v14, s49 src0_sel:BYTE_0 src1_sel:DWORD
	v_bfrev_b32_e32 v1, 1
	s_and_saveexec_b64 s[92:93], s[94:95]
	s_cbranch_execz .LBB4_3938
; %bb.3935:                             ;   in Loop: Header=BB4_3228 Depth=2
	v_and_b32_e32 v3, 0x7f, v14
	v_cmp_ne_u32_e32 vcc, s51, v3
	v_mov_b32_e32 v1, 0x7f800001
	s_and_saveexec_b64 s[94:95], vcc
	s_cbranch_execz .LBB4_3937
; %bb.3936:                             ;   in Loop: Header=BB4_3228 Depth=2
	v_and_b32_e32 v1, 7, v14
	v_ffbh_u32_e32 v1, v1
	v_min_u32_e32 v1, 32, v1
	v_lshrrev_b32_e32 v18, 3, v3
	v_cmp_gt_u32_e32 vcc, 8, v3
	v_subrev_u32_e32 v3, 28, v1
	v_sub_u32_e32 v1, 29, v1
	v_cndmask_b32_e32 v3, 0, v3, vcc
	v_cndmask_b32_e32 v1, v18, v1, vcc
	v_lshlrev_b64 v[18:19], v3, v[14:15]
	v_lshl_add_u32 v1, v1, 23, v62
	v_lshlrev_b32_e32 v3, 20, v18
	v_lshlrev_b32_e32 v18, 24, v14
	v_and_b32_e32 v3, 0x700000, v3
	v_and_b32_e32 v18, 0x80000000, v18
	v_or3_b32 v1, v18, v1, v3
.LBB4_3937:                             ;   in Loop: Header=BB4_3228 Depth=2
	s_or_b64 exec, exec, s[94:95]
.LBB4_3938:                             ;   in Loop: Header=BB4_3228 Depth=2
	s_or_b64 exec, exec, s[92:93]
.LBB4_3939:                             ;   in Loop: Header=BB4_3228 Depth=2
	s_or_b64 exec, exec, s[90:91]
	s_waitcnt vmcnt(1)
	v_cmp_ne_u16_sdwa s[92:93], v10, v51 src0_sel:BYTE_0 src1_sel:DWORD
	s_and_saveexec_b64 s[90:91], s[92:93]
	s_cbranch_execz .LBB4_3945
; %bb.3940:                             ;   in Loop: Header=BB4_3228 Depth=2
	v_cmp_ne_u16_sdwa s[94:95], v10, s49 src0_sel:BYTE_0 src1_sel:DWORD
	v_bfrev_b32_e32 v2, 1
	s_and_saveexec_b64 s[92:93], s[94:95]
	s_cbranch_execz .LBB4_3944
; %bb.3941:                             ;   in Loop: Header=BB4_3228 Depth=2
	v_and_b32_e32 v3, 0x7f, v10
	v_cmp_ne_u32_e32 vcc, s51, v3
	v_mov_b32_e32 v2, 0x7f800001
	s_and_saveexec_b64 s[94:95], vcc
	s_cbranch_execz .LBB4_3943
; %bb.3942:                             ;   in Loop: Header=BB4_3228 Depth=2
	v_and_b32_e32 v2, 7, v10
	v_ffbh_u32_e32 v2, v2
	v_min_u32_e32 v2, 32, v2
	v_lshrrev_b32_e32 v18, 3, v3
	v_cmp_gt_u32_e32 vcc, 8, v3
	v_subrev_u32_e32 v3, 28, v2
	v_sub_u32_e32 v2, 29, v2
	v_cndmask_b32_e32 v18, v18, v2, vcc
	v_cndmask_b32_e32 v2, 0, v3, vcc
	v_lshlrev_b64 v[2:3], v2, v[10:11]
	v_lshlrev_b32_e32 v3, 24, v10
	v_lshlrev_b32_e32 v2, 20, v2
	v_and_b32_e32 v2, 0x700000, v2
	v_and_b32_e32 v3, 0x80000000, v3
	v_lshl_add_u32 v18, v18, 23, v62
	v_or3_b32 v2, v3, v18, v2
.LBB4_3943:                             ;   in Loop: Header=BB4_3228 Depth=2
	s_or_b64 exec, exec, s[94:95]
.LBB4_3944:                             ;   in Loop: Header=BB4_3228 Depth=2
	s_or_b64 exec, exec, s[92:93]
.LBB4_3945:                             ;   in Loop: Header=BB4_3228 Depth=2
	s_or_b64 exec, exec, s[90:91]
	v_max_f32_e32 v2, v2, v2
	v_max_f32_e32 v1, v1, v1
	;; [unrolled: 1-line block ×3, first 2 shown]
	s_mov_b64 s[90:91], 0
.LBB4_3946:                             ;   in Loop: Header=BB4_3228 Depth=2
	s_and_b64 vcc, exec, s[90:91]
	s_cbranch_vccz .LBB4_3960
; %bb.3947:                             ;   in Loop: Header=BB4_3228 Depth=2
	v_mov_b32_e32 v2, 0
	v_mov_b32_e32 v1, 0
	s_and_saveexec_b64 s[90:91], s[20:21]
	s_cbranch_execz .LBB4_3953
; %bb.3948:                             ;   in Loop: Header=BB4_3228 Depth=2
	v_cmp_ne_u16_sdwa s[92:93], v14, s49 src0_sel:BYTE_0 src1_sel:DWORD
	v_bfrev_b32_e32 v1, 1
	s_and_saveexec_b64 s[20:21], s[92:93]
	s_cbranch_execz .LBB4_3952
; %bb.3949:                             ;   in Loop: Header=BB4_3228 Depth=2
	v_and_b32_e32 v3, 0x7f, v14
	v_cmp_ne_u32_e32 vcc, s51, v3
	v_mov_b32_e32 v1, 0x7f800001
	s_and_saveexec_b64 s[92:93], vcc
	s_cbranch_execz .LBB4_3951
; %bb.3950:                             ;   in Loop: Header=BB4_3228 Depth=2
	v_and_b32_e32 v1, 7, v14
	v_ffbh_u32_e32 v1, v1
	v_min_u32_e32 v1, 32, v1
	v_lshrrev_b32_e32 v18, 3, v3
	v_cmp_gt_u32_e32 vcc, 8, v3
	v_subrev_u32_e32 v3, 28, v1
	v_sub_u32_e32 v1, 29, v1
	v_cndmask_b32_e32 v3, 0, v3, vcc
	v_cndmask_b32_e32 v1, v18, v1, vcc
	v_lshlrev_b64 v[18:19], v3, v[14:15]
	v_lshl_add_u32 v1, v1, 23, v62
	v_lshlrev_b32_e32 v3, 20, v18
	v_lshlrev_b32_e32 v18, 24, v14
	v_and_b32_e32 v3, 0x700000, v3
	v_and_b32_e32 v18, 0x80000000, v18
	v_or3_b32 v1, v18, v1, v3
.LBB4_3951:                             ;   in Loop: Header=BB4_3228 Depth=2
	s_or_b64 exec, exec, s[92:93]
.LBB4_3952:                             ;   in Loop: Header=BB4_3228 Depth=2
	s_or_b64 exec, exec, s[20:21]
.LBB4_3953:                             ;   in Loop: Header=BB4_3228 Depth=2
	s_or_b64 exec, exec, s[90:91]
	s_waitcnt vmcnt(1)
	v_cmp_ne_u16_sdwa s[90:91], v10, v51 src0_sel:BYTE_0 src1_sel:DWORD
	s_and_saveexec_b64 s[20:21], s[90:91]
	s_cbranch_execz .LBB4_3959
; %bb.3954:                             ;   in Loop: Header=BB4_3228 Depth=2
	v_cmp_ne_u16_sdwa s[92:93], v10, s49 src0_sel:BYTE_0 src1_sel:DWORD
	v_bfrev_b32_e32 v2, 1
	s_and_saveexec_b64 s[90:91], s[92:93]
	s_cbranch_execz .LBB4_3958
; %bb.3955:                             ;   in Loop: Header=BB4_3228 Depth=2
	v_and_b32_e32 v3, 0x7f, v10
	v_cmp_ne_u32_e32 vcc, s51, v3
	v_mov_b32_e32 v2, 0x7f800001
	s_and_saveexec_b64 s[92:93], vcc
	s_cbranch_execz .LBB4_3957
; %bb.3956:                             ;   in Loop: Header=BB4_3228 Depth=2
	v_and_b32_e32 v2, 7, v10
	v_ffbh_u32_e32 v2, v2
	v_min_u32_e32 v2, 32, v2
	v_lshrrev_b32_e32 v18, 3, v3
	v_cmp_gt_u32_e32 vcc, 8, v3
	v_subrev_u32_e32 v3, 28, v2
	v_sub_u32_e32 v2, 29, v2
	v_cndmask_b32_e32 v18, v18, v2, vcc
	v_cndmask_b32_e32 v2, 0, v3, vcc
	v_lshlrev_b64 v[2:3], v2, v[10:11]
	v_lshlrev_b32_e32 v3, 24, v10
	v_lshlrev_b32_e32 v2, 20, v2
	v_and_b32_e32 v2, 0x700000, v2
	v_and_b32_e32 v3, 0x80000000, v3
	v_lshl_add_u32 v18, v18, 23, v62
	v_or3_b32 v2, v3, v18, v2
.LBB4_3957:                             ;   in Loop: Header=BB4_3228 Depth=2
	s_or_b64 exec, exec, s[92:93]
.LBB4_3958:                             ;   in Loop: Header=BB4_3228 Depth=2
	s_or_b64 exec, exec, s[90:91]
.LBB4_3959:                             ;   in Loop: Header=BB4_3228 Depth=2
	s_or_b64 exec, exec, s[20:21]
	v_max_f32_e32 v2, v2, v2
	v_max_f32_e32 v1, v1, v1
	v_min_f32_e32 v2, v1, v2
.LBB4_3960:                             ;   in Loop: Header=BB4_3228 Depth=2
	v_and_b32_e32 v50, 0x7f800000, v2
	v_cmp_ne_u64_e32 vcc, s[62:63], v[50:51]
                                        ; implicit-def: $vgpr24
	s_and_saveexec_b64 s[20:21], vcc
	s_xor_b64 s[90:91], exec, s[20:21]
	s_cbranch_execz .LBB4_3974
; %bb.3961:                             ;   in Loop: Header=BB4_3228 Depth=2
	v_and_b32_e32 v50, 0x7fffffff, v2
	v_cmp_gt_u64_e32 vcc, s[72:73], v[50:51]
	v_and_b32_sdwa v1, v2, s49 dst_sel:DWORD dst_unused:UNUSED_PAD src0_sel:BYTE_3 src1_sel:DWORD
                                        ; implicit-def: $vgpr24
	s_and_saveexec_b64 s[20:21], vcc
	s_xor_b64 s[92:93], exec, s[20:21]
	s_cbranch_execz .LBB4_3971
; %bb.3962:                             ;   in Loop: Header=BB4_3228 Depth=2
	v_mov_b32_e32 v24, 0
	v_cmp_ne_u32_e32 vcc, 0, v2
	s_and_saveexec_b64 s[94:95], vcc
	s_cbranch_execz .LBB4_3970
; %bb.3963:                             ;   in Loop: Header=BB4_3228 Depth=2
	v_and_b32_e32 v18, 0x7fffff, v2
	v_bfe_u32 v2, v2, 23, 8
	v_cmp_gt_u32_e64 s[20:21], s53, v2
	v_sub_u32_e32 v3, 0x79, v2
	v_cmp_eq_u32_e32 vcc, 0, v2
	v_cndmask_b32_e64 v3, 0, v3, s[20:21]
	v_mov_b32_e32 v20, 0x78
	v_or_b32_e32 v19, 0x800000, v18
	v_cndmask_b32_e32 v3, v3, v20, vcc
	v_cndmask_b32_e32 v50, v19, v18, vcc
	v_add_u32_e32 v18, 20, v3
	v_lshlrev_b64 v[18:19], v18, -1
	v_add_u32_e32 v20, 19, v3
	v_lshlrev_b64 v[20:21], v20, 1
	v_bfi_b32 v19, v19, 0, 0
	v_bfi_b32 v18, v18, 0, v50
	v_cmp_eq_u64_e64 s[20:21], v[18:19], v[20:21]
	v_lshrrev_b64 v[18:19], v3, v[50:51]
	v_mov_b32_e32 v20, v19
	v_mov_b32_e32 v19, v18
	s_and_saveexec_b64 s[30:31], s[20:21]
; %bb.3964:                             ;   in Loop: Header=BB4_3228 Depth=2
	v_bfe_u32 v19, v18, 20, 1
	v_add_co_u32_e64 v19, s[20:21], v18, v19
	v_add_co_u32_e64 v19, s[20:21], -1, v19
; %bb.3965:                             ;   in Loop: Header=BB4_3228 Depth=2
	s_or_b64 exec, exec, s[30:31]
	v_add_u32_e32 v2, 0xffffff81, v2
	v_cndmask_b32_e32 v2, v2, v49, vcc
	v_lshrrev_b32_e32 v20, 23, v18
	v_add3_u32 v20, v3, v2, v20
	v_add_u32_e32 v3, 6, v20
	v_and_b32_e32 v2, 0xfffff, v19
	v_add_u32_e32 v50, v2, v18
	v_cmp_ne_u32_e32 vcc, 0, v3
                                        ; implicit-def: $vgpr18_vgpr19
                                        ; implicit-def: $vgpr2
	s_and_saveexec_b64 s[20:21], vcc
	s_xor_b64 s[20:21], exec, s[20:21]
; %bb.3966:                             ;   in Loop: Header=BB4_3228 Depth=2
	v_cmp_lt_u64_e32 vcc, s[74:75], v[50:51]
	v_add_u32_e32 v2, 7, v20
	v_cndmask_b32_e32 v2, v3, v2, vcc
	v_cndmask_b32_e64 v3, 0, 1, vcc
	v_lshrrev_b64 v[18:19], v3, v[50:51]
; %bb.3967:                             ;   in Loop: Header=BB4_3228 Depth=2
	s_andn2_saveexec_b64 s[20:21], s[20:21]
; %bb.3968:                             ;   in Loop: Header=BB4_3228 Depth=2
	v_mov_b32_e32 v18, v50
	v_bfe_u32 v2, v50, 23, 1
	v_mov_b32_e32 v19, v51
; %bb.3969:                             ;   in Loop: Header=BB4_3228 Depth=2
	s_or_b64 exec, exec, s[20:21]
	v_lshrrev_b64 v[18:19], 20, v[18:19]
	v_cmp_gt_i32_e32 vcc, 16, v2
	v_cndmask_b32_e32 v19, 0, v19, vcc
	v_cndmask_b32_e32 v18, 7, v18, vcc
	v_cmp_eq_u32_e32 vcc, 0, v2
	v_min_i32_e32 v2, 15, v2
	v_cmp_eq_u64_e64 s[20:21], 0, v[18:19]
	v_lshlrev_b32_e32 v2, 3, v2
	v_and_b32_e32 v2, 0xf8, v2
	v_and_or_b32 v2, v18, 7, v2
	s_and_b64 s[20:21], vcc, s[20:21]
	v_cndmask_b32_e64 v2, v2, 0, s[20:21]
	v_or_b32_e32 v24, v2, v1
.LBB4_3970:                             ;   in Loop: Header=BB4_3228 Depth=2
	s_or_b64 exec, exec, s[94:95]
                                        ; implicit-def: $vgpr1
.LBB4_3971:                             ;   in Loop: Header=BB4_3228 Depth=2
	s_andn2_saveexec_b64 s[20:21], s[92:93]
; %bb.3972:                             ;   in Loop: Header=BB4_3228 Depth=2
	v_or_b32_e32 v24, 0x7e, v1
; %bb.3973:                             ;   in Loop: Header=BB4_3228 Depth=2
	s_or_b64 exec, exec, s[20:21]
                                        ; implicit-def: $vgpr2
.LBB4_3974:                             ;   in Loop: Header=BB4_3228 Depth=2
	s_andn2_saveexec_b64 s[20:21], s[90:91]
; %bb.3975:                             ;   in Loop: Header=BB4_3228 Depth=2
	v_or_b32_sdwa v24, v2, s51 dst_sel:DWORD dst_unused:UNUSED_PAD src0_sel:BYTE_3 src1_sel:DWORD
; %bb.3976:                             ;   in Loop: Header=BB4_3228 Depth=2
	s_or_b64 exec, exec, s[20:21]
	v_lshrrev_b16_e32 v19, 8, v14
	s_waitcnt vmcnt(1)
	v_lshrrev_b16_e32 v18, 8, v10
	v_cmp_ne_u16_e64 s[20:21], 0, v19
	s_and_b64 vcc, exec, s[18:19]
	s_mov_b64 s[90:91], -1
                                        ; implicit-def: $vgpr2
	s_cbranch_vccnz .LBB4_3990
; %bb.3977:                             ;   in Loop: Header=BB4_3228 Depth=2
	v_mov_b32_e32 v2, 0
	v_mov_b32_e32 v1, 0
	s_and_saveexec_b64 s[90:91], s[20:21]
	s_cbranch_execz .LBB4_3983
; %bb.3978:                             ;   in Loop: Header=BB4_3228 Depth=2
	v_cmp_ne_u16_e32 vcc, s49, v19
	v_bfrev_b32_e32 v1, 1
	s_and_saveexec_b64 s[92:93], vcc
	s_cbranch_execz .LBB4_3982
; %bb.3979:                             ;   in Loop: Header=BB4_3228 Depth=2
	v_and_b32_e32 v3, 0x7f, v19
	v_cmp_ne_u32_e32 vcc, s51, v3
	v_mov_b32_e32 v1, 0x7f800001
	s_and_saveexec_b64 s[94:95], vcc
	s_cbranch_execz .LBB4_3981
; %bb.3980:                             ;   in Loop: Header=BB4_3228 Depth=2
	v_and_b32_e32 v1, 7, v19
	v_lshrrev_b32_e32 v25, 3, v3
	v_cmp_gt_u32_e32 vcc, 8, v3
	v_ffbh_u32_e32 v3, v1
	v_min_u32_e32 v3, 32, v3
	v_subrev_u32_e32 v20, 28, v3
	v_lshlrev_b64 v[20:21], v20, v[19:20]
	v_sub_u32_e32 v3, 29, v3
	v_and_b32_e32 v20, 7, v20
	v_cndmask_b32_e32 v3, v25, v3, vcc
	v_cndmask_b32_e32 v1, v1, v20, vcc
	v_lshlrev_b32_e32 v20, 16, v14
	v_lshlrev_b32_e32 v1, 20, v1
	v_and_b32_e32 v20, 0x80000000, v20
	v_lshl_add_u32 v3, v3, 23, v62
	v_or3_b32 v1, v20, v3, v1
.LBB4_3981:                             ;   in Loop: Header=BB4_3228 Depth=2
	s_or_b64 exec, exec, s[94:95]
.LBB4_3982:                             ;   in Loop: Header=BB4_3228 Depth=2
	s_or_b64 exec, exec, s[92:93]
.LBB4_3983:                             ;   in Loop: Header=BB4_3228 Depth=2
	s_or_b64 exec, exec, s[90:91]
	v_cmp_ne_u16_e32 vcc, 0, v18
	s_and_saveexec_b64 s[90:91], vcc
	s_cbranch_execz .LBB4_3989
; %bb.3984:                             ;   in Loop: Header=BB4_3228 Depth=2
	v_cmp_ne_u16_e32 vcc, s49, v18
	v_bfrev_b32_e32 v2, 1
	s_and_saveexec_b64 s[92:93], vcc
	s_cbranch_execz .LBB4_3988
; %bb.3985:                             ;   in Loop: Header=BB4_3228 Depth=2
	v_and_b32_e32 v3, 0x7f, v18
	v_cmp_ne_u32_e32 vcc, s51, v3
	v_mov_b32_e32 v2, 0x7f800001
	s_and_saveexec_b64 s[94:95], vcc
	s_cbranch_execz .LBB4_3987
; %bb.3986:                             ;   in Loop: Header=BB4_3228 Depth=2
	v_and_b32_e32 v20, 7, v18
	v_ffbh_u32_e32 v2, v20
	v_min_u32_e32 v25, 32, v2
	v_subrev_u32_e32 v2, 28, v25
	v_lshrrev_b32_e32 v21, 3, v3
	v_cmp_gt_u32_e32 vcc, 8, v3
	v_lshlrev_b64 v[2:3], v2, v[18:19]
	v_sub_u32_e32 v3, 29, v25
	v_and_b32_e32 v2, 7, v2
	v_cndmask_b32_e32 v3, v21, v3, vcc
	v_cndmask_b32_e32 v2, v20, v2, vcc
	v_lshlrev_b32_e32 v20, 16, v10
	v_lshlrev_b32_e32 v2, 20, v2
	v_and_b32_e32 v20, 0x80000000, v20
	v_lshl_add_u32 v3, v3, 23, v62
	v_or3_b32 v2, v20, v3, v2
.LBB4_3987:                             ;   in Loop: Header=BB4_3228 Depth=2
	s_or_b64 exec, exec, s[94:95]
.LBB4_3988:                             ;   in Loop: Header=BB4_3228 Depth=2
	s_or_b64 exec, exec, s[92:93]
.LBB4_3989:                             ;   in Loop: Header=BB4_3228 Depth=2
	s_or_b64 exec, exec, s[90:91]
	v_max_f32_e32 v2, v2, v2
	v_max_f32_e32 v1, v1, v1
	v_max_f32_e32 v2, v1, v2
	s_mov_b64 s[90:91], 0
.LBB4_3990:                             ;   in Loop: Header=BB4_3228 Depth=2
	s_and_b64 vcc, exec, s[90:91]
	s_cbranch_vccz .LBB4_4004
; %bb.3991:                             ;   in Loop: Header=BB4_3228 Depth=2
	v_mov_b32_e32 v2, 0
	v_mov_b32_e32 v1, 0
	s_and_saveexec_b64 s[90:91], s[20:21]
	s_cbranch_execz .LBB4_3997
; %bb.3992:                             ;   in Loop: Header=BB4_3228 Depth=2
	v_cmp_ne_u16_e32 vcc, s49, v19
	v_bfrev_b32_e32 v1, 1
	s_and_saveexec_b64 s[20:21], vcc
	s_cbranch_execz .LBB4_3996
; %bb.3993:                             ;   in Loop: Header=BB4_3228 Depth=2
	v_and_b32_e32 v3, 0x7f, v19
	v_cmp_ne_u32_e32 vcc, s51, v3
	v_mov_b32_e32 v1, 0x7f800001
	s_and_saveexec_b64 s[92:93], vcc
	s_cbranch_execz .LBB4_3995
; %bb.3994:                             ;   in Loop: Header=BB4_3228 Depth=2
	v_and_b32_e32 v1, 7, v19
	v_lshrrev_b32_e32 v21, 3, v3
	v_cmp_gt_u32_e32 vcc, 8, v3
	v_ffbh_u32_e32 v3, v1
	v_min_u32_e32 v3, 32, v3
	v_subrev_u32_e32 v20, 28, v3
	v_lshlrev_b64 v[19:20], v20, v[19:20]
	v_sub_u32_e32 v3, 29, v3
	v_and_b32_e32 v19, 7, v19
	v_cndmask_b32_e32 v3, v21, v3, vcc
	v_cndmask_b32_e32 v1, v1, v19, vcc
	v_lshlrev_b32_e32 v19, 16, v14
	v_lshlrev_b32_e32 v1, 20, v1
	v_and_b32_e32 v19, 0x80000000, v19
	v_lshl_add_u32 v3, v3, 23, v62
	v_or3_b32 v1, v19, v3, v1
.LBB4_3995:                             ;   in Loop: Header=BB4_3228 Depth=2
	s_or_b64 exec, exec, s[92:93]
.LBB4_3996:                             ;   in Loop: Header=BB4_3228 Depth=2
	s_or_b64 exec, exec, s[20:21]
.LBB4_3997:                             ;   in Loop: Header=BB4_3228 Depth=2
	s_or_b64 exec, exec, s[90:91]
	v_cmp_ne_u16_e32 vcc, 0, v18
	s_and_saveexec_b64 s[20:21], vcc
	s_cbranch_execz .LBB4_4003
; %bb.3998:                             ;   in Loop: Header=BB4_3228 Depth=2
	v_cmp_ne_u16_e32 vcc, s49, v18
	v_bfrev_b32_e32 v2, 1
	s_and_saveexec_b64 s[90:91], vcc
	s_cbranch_execz .LBB4_4002
; %bb.3999:                             ;   in Loop: Header=BB4_3228 Depth=2
	v_and_b32_e32 v3, 0x7f, v18
	v_cmp_ne_u32_e32 vcc, s51, v3
	v_mov_b32_e32 v2, 0x7f800001
	s_and_saveexec_b64 s[92:93], vcc
	s_cbranch_execz .LBB4_4001
; %bb.4000:                             ;   in Loop: Header=BB4_3228 Depth=2
	v_and_b32_e32 v19, 7, v18
	v_ffbh_u32_e32 v2, v19
	v_min_u32_e32 v21, 32, v2
	v_subrev_u32_e32 v2, 28, v21
	v_lshrrev_b32_e32 v20, 3, v3
	v_cmp_gt_u32_e32 vcc, 8, v3
	v_lshlrev_b64 v[2:3], v2, v[18:19]
	v_sub_u32_e32 v3, 29, v21
	v_and_b32_e32 v2, 7, v2
	v_cndmask_b32_e32 v3, v20, v3, vcc
	v_cndmask_b32_e32 v2, v19, v2, vcc
	v_lshlrev_b32_e32 v18, 16, v10
	v_lshlrev_b32_e32 v2, 20, v2
	v_and_b32_e32 v18, 0x80000000, v18
	v_lshl_add_u32 v3, v3, 23, v62
	v_or3_b32 v2, v18, v3, v2
.LBB4_4001:                             ;   in Loop: Header=BB4_3228 Depth=2
	s_or_b64 exec, exec, s[92:93]
.LBB4_4002:                             ;   in Loop: Header=BB4_3228 Depth=2
	s_or_b64 exec, exec, s[90:91]
.LBB4_4003:                             ;   in Loop: Header=BB4_3228 Depth=2
	s_or_b64 exec, exec, s[20:21]
	v_max_f32_e32 v2, v2, v2
	v_max_f32_e32 v1, v1, v1
	v_min_f32_e32 v2, v1, v2
.LBB4_4004:                             ;   in Loop: Header=BB4_3228 Depth=2
	v_and_b32_e32 v50, 0x7f800000, v2
	v_cmp_ne_u64_e32 vcc, s[62:63], v[50:51]
                                        ; implicit-def: $vgpr25
	s_and_saveexec_b64 s[20:21], vcc
	s_xor_b64 s[90:91], exec, s[20:21]
	s_cbranch_execz .LBB4_4018
; %bb.4005:                             ;   in Loop: Header=BB4_3228 Depth=2
	v_and_b32_e32 v50, 0x7fffffff, v2
	v_cmp_gt_u64_e32 vcc, s[72:73], v[50:51]
	v_and_b32_sdwa v1, v2, s49 dst_sel:DWORD dst_unused:UNUSED_PAD src0_sel:BYTE_3 src1_sel:DWORD
                                        ; implicit-def: $vgpr25
	s_and_saveexec_b64 s[20:21], vcc
	s_xor_b64 s[92:93], exec, s[20:21]
	s_cbranch_execz .LBB4_4015
; %bb.4006:                             ;   in Loop: Header=BB4_3228 Depth=2
	v_mov_b32_e32 v25, 0
	v_cmp_ne_u32_e32 vcc, 0, v2
	s_and_saveexec_b64 s[94:95], vcc
	s_cbranch_execz .LBB4_4014
; %bb.4007:                             ;   in Loop: Header=BB4_3228 Depth=2
	v_and_b32_e32 v18, 0x7fffff, v2
	v_bfe_u32 v2, v2, 23, 8
	v_cmp_gt_u32_e64 s[20:21], s53, v2
	v_sub_u32_e32 v3, 0x79, v2
	v_cmp_eq_u32_e32 vcc, 0, v2
	v_cndmask_b32_e64 v3, 0, v3, s[20:21]
	v_mov_b32_e32 v20, 0x78
	v_or_b32_e32 v19, 0x800000, v18
	v_cndmask_b32_e32 v3, v3, v20, vcc
	v_cndmask_b32_e32 v50, v19, v18, vcc
	v_add_u32_e32 v18, 20, v3
	v_lshlrev_b64 v[18:19], v18, -1
	v_add_u32_e32 v20, 19, v3
	v_lshlrev_b64 v[20:21], v20, 1
	v_bfi_b32 v19, v19, 0, 0
	v_bfi_b32 v18, v18, 0, v50
	v_cmp_eq_u64_e64 s[20:21], v[18:19], v[20:21]
	v_lshrrev_b64 v[18:19], v3, v[50:51]
	v_mov_b32_e32 v20, v19
	v_mov_b32_e32 v19, v18
	s_and_saveexec_b64 s[30:31], s[20:21]
; %bb.4008:                             ;   in Loop: Header=BB4_3228 Depth=2
	v_bfe_u32 v19, v18, 20, 1
	v_add_co_u32_e64 v19, s[20:21], v18, v19
	v_add_co_u32_e64 v19, s[20:21], -1, v19
; %bb.4009:                             ;   in Loop: Header=BB4_3228 Depth=2
	s_or_b64 exec, exec, s[30:31]
	v_add_u32_e32 v2, 0xffffff81, v2
	v_cndmask_b32_e32 v2, v2, v49, vcc
	v_lshrrev_b32_e32 v20, 23, v18
	v_add3_u32 v20, v3, v2, v20
	v_add_u32_e32 v3, 6, v20
	v_and_b32_e32 v2, 0xfffff, v19
	v_add_u32_e32 v50, v2, v18
	v_cmp_ne_u32_e32 vcc, 0, v3
                                        ; implicit-def: $vgpr18_vgpr19
                                        ; implicit-def: $vgpr2
	s_and_saveexec_b64 s[20:21], vcc
	s_xor_b64 s[20:21], exec, s[20:21]
; %bb.4010:                             ;   in Loop: Header=BB4_3228 Depth=2
	v_cmp_lt_u64_e32 vcc, s[74:75], v[50:51]
	v_add_u32_e32 v2, 7, v20
	v_cndmask_b32_e32 v2, v3, v2, vcc
	v_cndmask_b32_e64 v3, 0, 1, vcc
	v_lshrrev_b64 v[18:19], v3, v[50:51]
; %bb.4011:                             ;   in Loop: Header=BB4_3228 Depth=2
	s_andn2_saveexec_b64 s[20:21], s[20:21]
; %bb.4012:                             ;   in Loop: Header=BB4_3228 Depth=2
	v_mov_b32_e32 v18, v50
	v_bfe_u32 v2, v50, 23, 1
	v_mov_b32_e32 v19, v51
; %bb.4013:                             ;   in Loop: Header=BB4_3228 Depth=2
	s_or_b64 exec, exec, s[20:21]
	v_lshrrev_b64 v[18:19], 20, v[18:19]
	v_cmp_gt_i32_e32 vcc, 16, v2
	v_cndmask_b32_e32 v19, 0, v19, vcc
	v_cndmask_b32_e32 v18, 7, v18, vcc
	v_cmp_eq_u32_e32 vcc, 0, v2
	v_min_i32_e32 v2, 15, v2
	v_cmp_eq_u64_e64 s[20:21], 0, v[18:19]
	v_lshlrev_b32_e32 v2, 3, v2
	v_and_b32_e32 v2, 0xf8, v2
	v_and_or_b32 v2, v18, 7, v2
	s_and_b64 s[20:21], vcc, s[20:21]
	v_cndmask_b32_e64 v2, v2, 0, s[20:21]
	v_or_b32_e32 v25, v2, v1
.LBB4_4014:                             ;   in Loop: Header=BB4_3228 Depth=2
	s_or_b64 exec, exec, s[94:95]
                                        ; implicit-def: $vgpr1
.LBB4_4015:                             ;   in Loop: Header=BB4_3228 Depth=2
	s_andn2_saveexec_b64 s[20:21], s[92:93]
; %bb.4016:                             ;   in Loop: Header=BB4_3228 Depth=2
	v_or_b32_e32 v25, 0x7e, v1
; %bb.4017:                             ;   in Loop: Header=BB4_3228 Depth=2
	s_or_b64 exec, exec, s[20:21]
                                        ; implicit-def: $vgpr2
.LBB4_4018:                             ;   in Loop: Header=BB4_3228 Depth=2
	s_andn2_saveexec_b64 s[20:21], s[90:91]
; %bb.4019:                             ;   in Loop: Header=BB4_3228 Depth=2
	v_or_b32_sdwa v25, v2, s51 dst_sel:DWORD dst_unused:UNUSED_PAD src0_sel:BYTE_3 src1_sel:DWORD
; %bb.4020:                             ;   in Loop: Header=BB4_3228 Depth=2
	s_or_b64 exec, exec, s[20:21]
	v_lshrrev_b32_e32 v19, 16, v14
	v_lshrrev_b32_e32 v18, 16, v10
	v_cmp_ne_u16_sdwa s[20:21], v19, v51 src0_sel:BYTE_0 src1_sel:DWORD
	s_and_b64 vcc, exec, s[18:19]
	s_mov_b64 s[90:91], -1
                                        ; implicit-def: $vgpr2
	s_cbranch_vccnz .LBB4_4034
; %bb.4021:                             ;   in Loop: Header=BB4_3228 Depth=2
	v_mov_b32_e32 v2, 0
	v_mov_b32_e32 v1, 0
	s_and_saveexec_b64 s[90:91], s[20:21]
	s_cbranch_execz .LBB4_4027
; %bb.4022:                             ;   in Loop: Header=BB4_3228 Depth=2
	v_cmp_ne_u16_sdwa s[94:95], v19, s49 src0_sel:BYTE_0 src1_sel:DWORD
	v_bfrev_b32_e32 v1, 1
	s_and_saveexec_b64 s[92:93], s[94:95]
	s_cbranch_execz .LBB4_4026
; %bb.4023:                             ;   in Loop: Header=BB4_3228 Depth=2
	v_bfe_u32 v3, v14, 16, 7
	v_cmp_ne_u32_e32 vcc, s51, v3
	v_mov_b32_e32 v1, 0x7f800001
	s_and_saveexec_b64 s[94:95], vcc
	s_cbranch_execz .LBB4_4025
; %bb.4024:                             ;   in Loop: Header=BB4_3228 Depth=2
	v_and_b32_e32 v1, 7, v19
	v_lshrrev_b32_e32 v26, 3, v3
	v_cmp_gt_u32_e32 vcc, 8, v3
	v_ffbh_u32_e32 v3, v1
	v_min_u32_e32 v3, 32, v3
	v_subrev_u32_e32 v20, 28, v3
	v_lshlrev_b64 v[20:21], v20, v[19:20]
	v_sub_u32_e32 v3, 29, v3
	v_and_b32_e32 v20, 7, v20
	v_cndmask_b32_e32 v3, v26, v3, vcc
	v_cndmask_b32_e32 v1, v1, v20, vcc
	v_lshlrev_b32_e32 v20, 24, v19
	v_lshlrev_b32_e32 v1, 20, v1
	v_and_b32_e32 v20, 0x80000000, v20
	v_lshl_add_u32 v3, v3, 23, v62
	v_or3_b32 v1, v20, v3, v1
.LBB4_4025:                             ;   in Loop: Header=BB4_3228 Depth=2
	s_or_b64 exec, exec, s[94:95]
.LBB4_4026:                             ;   in Loop: Header=BB4_3228 Depth=2
	s_or_b64 exec, exec, s[92:93]
.LBB4_4027:                             ;   in Loop: Header=BB4_3228 Depth=2
	s_or_b64 exec, exec, s[90:91]
	v_cmp_ne_u16_sdwa s[92:93], v18, v51 src0_sel:BYTE_0 src1_sel:DWORD
	s_and_saveexec_b64 s[90:91], s[92:93]
	s_cbranch_execz .LBB4_4033
; %bb.4028:                             ;   in Loop: Header=BB4_3228 Depth=2
	v_cmp_ne_u16_sdwa s[94:95], v18, s49 src0_sel:BYTE_0 src1_sel:DWORD
	v_bfrev_b32_e32 v2, 1
	s_and_saveexec_b64 s[92:93], s[94:95]
	s_cbranch_execz .LBB4_4032
; %bb.4029:                             ;   in Loop: Header=BB4_3228 Depth=2
	v_bfe_u32 v3, v10, 16, 7
	v_cmp_ne_u32_e32 vcc, s51, v3
	v_mov_b32_e32 v2, 0x7f800001
	s_and_saveexec_b64 s[94:95], vcc
	s_cbranch_execz .LBB4_4031
; %bb.4030:                             ;   in Loop: Header=BB4_3228 Depth=2
	v_and_b32_e32 v20, 7, v18
	v_ffbh_u32_e32 v2, v20
	v_min_u32_e32 v26, 32, v2
	v_subrev_u32_e32 v2, 28, v26
	v_lshrrev_b32_e32 v21, 3, v3
	v_cmp_gt_u32_e32 vcc, 8, v3
	v_lshlrev_b64 v[2:3], v2, v[18:19]
	v_sub_u32_e32 v3, 29, v26
	v_and_b32_e32 v2, 7, v2
	v_cndmask_b32_e32 v3, v21, v3, vcc
	v_cndmask_b32_e32 v2, v20, v2, vcc
	v_lshlrev_b32_e32 v20, 24, v18
	v_lshlrev_b32_e32 v2, 20, v2
	v_and_b32_e32 v20, 0x80000000, v20
	v_lshl_add_u32 v3, v3, 23, v62
	v_or3_b32 v2, v20, v3, v2
.LBB4_4031:                             ;   in Loop: Header=BB4_3228 Depth=2
	s_or_b64 exec, exec, s[94:95]
.LBB4_4032:                             ;   in Loop: Header=BB4_3228 Depth=2
	s_or_b64 exec, exec, s[92:93]
.LBB4_4033:                             ;   in Loop: Header=BB4_3228 Depth=2
	s_or_b64 exec, exec, s[90:91]
	v_max_f32_e32 v2, v2, v2
	v_max_f32_e32 v1, v1, v1
	;; [unrolled: 1-line block ×3, first 2 shown]
	s_mov_b64 s[90:91], 0
.LBB4_4034:                             ;   in Loop: Header=BB4_3228 Depth=2
	s_and_b64 vcc, exec, s[90:91]
	s_cbranch_vccz .LBB4_4048
; %bb.4035:                             ;   in Loop: Header=BB4_3228 Depth=2
	v_mov_b32_e32 v2, 0
	v_mov_b32_e32 v1, 0
	s_and_saveexec_b64 s[90:91], s[20:21]
	s_cbranch_execz .LBB4_4041
; %bb.4036:                             ;   in Loop: Header=BB4_3228 Depth=2
	v_cmp_ne_u16_sdwa s[92:93], v19, s49 src0_sel:BYTE_0 src1_sel:DWORD
	v_bfrev_b32_e32 v1, 1
	s_and_saveexec_b64 s[20:21], s[92:93]
	s_cbranch_execz .LBB4_4040
; %bb.4037:                             ;   in Loop: Header=BB4_3228 Depth=2
	v_bfe_u32 v3, v14, 16, 7
	v_cmp_ne_u32_e32 vcc, s51, v3
	v_mov_b32_e32 v1, 0x7f800001
	s_and_saveexec_b64 s[92:93], vcc
	s_cbranch_execz .LBB4_4039
; %bb.4038:                             ;   in Loop: Header=BB4_3228 Depth=2
	v_and_b32_e32 v1, 7, v19
	v_lshrrev_b32_e32 v26, 3, v3
	v_cmp_gt_u32_e32 vcc, 8, v3
	v_ffbh_u32_e32 v3, v1
	v_min_u32_e32 v3, 32, v3
	v_subrev_u32_e32 v20, 28, v3
	v_lshlrev_b64 v[20:21], v20, v[19:20]
	v_sub_u32_e32 v3, 29, v3
	v_and_b32_e32 v20, 7, v20
	v_cndmask_b32_e32 v3, v26, v3, vcc
	v_cndmask_b32_e32 v1, v1, v20, vcc
	v_lshlrev_b32_e32 v19, 24, v19
	v_lshlrev_b32_e32 v1, 20, v1
	v_and_b32_e32 v19, 0x80000000, v19
	v_lshl_add_u32 v3, v3, 23, v62
	v_or3_b32 v1, v19, v3, v1
.LBB4_4039:                             ;   in Loop: Header=BB4_3228 Depth=2
	s_or_b64 exec, exec, s[92:93]
.LBB4_4040:                             ;   in Loop: Header=BB4_3228 Depth=2
	s_or_b64 exec, exec, s[20:21]
.LBB4_4041:                             ;   in Loop: Header=BB4_3228 Depth=2
	s_or_b64 exec, exec, s[90:91]
	v_cmp_ne_u16_sdwa s[90:91], v18, v51 src0_sel:BYTE_0 src1_sel:DWORD
	s_and_saveexec_b64 s[20:21], s[90:91]
	s_cbranch_execz .LBB4_4047
; %bb.4042:                             ;   in Loop: Header=BB4_3228 Depth=2
	v_cmp_ne_u16_sdwa s[92:93], v18, s49 src0_sel:BYTE_0 src1_sel:DWORD
	v_bfrev_b32_e32 v2, 1
	s_and_saveexec_b64 s[90:91], s[92:93]
	s_cbranch_execz .LBB4_4046
; %bb.4043:                             ;   in Loop: Header=BB4_3228 Depth=2
	v_bfe_u32 v3, v10, 16, 7
	v_cmp_ne_u32_e32 vcc, s51, v3
	v_mov_b32_e32 v2, 0x7f800001
	s_and_saveexec_b64 s[92:93], vcc
	s_cbranch_execz .LBB4_4045
; %bb.4044:                             ;   in Loop: Header=BB4_3228 Depth=2
	v_and_b32_e32 v19, 7, v18
	v_ffbh_u32_e32 v2, v19
	v_min_u32_e32 v21, 32, v2
	v_subrev_u32_e32 v2, 28, v21
	v_lshrrev_b32_e32 v20, 3, v3
	v_cmp_gt_u32_e32 vcc, 8, v3
	v_lshlrev_b64 v[2:3], v2, v[18:19]
	v_sub_u32_e32 v3, 29, v21
	v_and_b32_e32 v2, 7, v2
	v_cndmask_b32_e32 v3, v20, v3, vcc
	v_cndmask_b32_e32 v2, v19, v2, vcc
	v_lshlrev_b32_e32 v18, 24, v18
	v_lshlrev_b32_e32 v2, 20, v2
	v_and_b32_e32 v18, 0x80000000, v18
	v_lshl_add_u32 v3, v3, 23, v62
	v_or3_b32 v2, v18, v3, v2
.LBB4_4045:                             ;   in Loop: Header=BB4_3228 Depth=2
	s_or_b64 exec, exec, s[92:93]
.LBB4_4046:                             ;   in Loop: Header=BB4_3228 Depth=2
	s_or_b64 exec, exec, s[90:91]
.LBB4_4047:                             ;   in Loop: Header=BB4_3228 Depth=2
	s_or_b64 exec, exec, s[20:21]
	v_max_f32_e32 v2, v2, v2
	v_max_f32_e32 v1, v1, v1
	v_min_f32_e32 v2, v1, v2
.LBB4_4048:                             ;   in Loop: Header=BB4_3228 Depth=2
	v_and_b32_e32 v50, 0x7f800000, v2
	v_cmp_ne_u64_e32 vcc, s[62:63], v[50:51]
                                        ; implicit-def: $vgpr27
	s_and_saveexec_b64 s[20:21], vcc
	s_xor_b64 s[90:91], exec, s[20:21]
	s_cbranch_execz .LBB4_4062
; %bb.4049:                             ;   in Loop: Header=BB4_3228 Depth=2
	v_and_b32_e32 v50, 0x7fffffff, v2
	v_cmp_gt_u64_e32 vcc, s[72:73], v[50:51]
	v_and_b32_sdwa v1, v2, s49 dst_sel:DWORD dst_unused:UNUSED_PAD src0_sel:BYTE_3 src1_sel:DWORD
                                        ; implicit-def: $vgpr27
	s_and_saveexec_b64 s[20:21], vcc
	s_xor_b64 s[92:93], exec, s[20:21]
	s_cbranch_execz .LBB4_4059
; %bb.4050:                             ;   in Loop: Header=BB4_3228 Depth=2
	v_mov_b32_e32 v27, 0
	v_cmp_ne_u32_e32 vcc, 0, v2
	s_and_saveexec_b64 s[94:95], vcc
	s_cbranch_execz .LBB4_4058
; %bb.4051:                             ;   in Loop: Header=BB4_3228 Depth=2
	v_and_b32_e32 v18, 0x7fffff, v2
	v_bfe_u32 v2, v2, 23, 8
	v_cmp_gt_u32_e64 s[20:21], s53, v2
	v_sub_u32_e32 v3, 0x79, v2
	v_cmp_eq_u32_e32 vcc, 0, v2
	v_cndmask_b32_e64 v3, 0, v3, s[20:21]
	v_mov_b32_e32 v20, 0x78
	v_or_b32_e32 v19, 0x800000, v18
	v_cndmask_b32_e32 v3, v3, v20, vcc
	v_cndmask_b32_e32 v50, v19, v18, vcc
	v_add_u32_e32 v18, 20, v3
	v_lshlrev_b64 v[18:19], v18, -1
	v_add_u32_e32 v20, 19, v3
	v_lshlrev_b64 v[20:21], v20, 1
	v_bfi_b32 v19, v19, 0, 0
	v_bfi_b32 v18, v18, 0, v50
	v_cmp_eq_u64_e64 s[20:21], v[18:19], v[20:21]
	v_lshrrev_b64 v[18:19], v3, v[50:51]
	v_mov_b32_e32 v20, v19
	v_mov_b32_e32 v19, v18
	s_and_saveexec_b64 s[30:31], s[20:21]
; %bb.4052:                             ;   in Loop: Header=BB4_3228 Depth=2
	v_bfe_u32 v19, v18, 20, 1
	v_add_co_u32_e64 v19, s[20:21], v18, v19
	v_add_co_u32_e64 v19, s[20:21], -1, v19
; %bb.4053:                             ;   in Loop: Header=BB4_3228 Depth=2
	s_or_b64 exec, exec, s[30:31]
	v_add_u32_e32 v2, 0xffffff81, v2
	v_cndmask_b32_e32 v2, v2, v49, vcc
	v_lshrrev_b32_e32 v20, 23, v18
	v_add3_u32 v20, v3, v2, v20
	v_add_u32_e32 v3, 6, v20
	v_and_b32_e32 v2, 0xfffff, v19
	v_add_u32_e32 v50, v2, v18
	v_cmp_ne_u32_e32 vcc, 0, v3
                                        ; implicit-def: $vgpr18_vgpr19
                                        ; implicit-def: $vgpr2
	s_and_saveexec_b64 s[20:21], vcc
	s_xor_b64 s[20:21], exec, s[20:21]
; %bb.4054:                             ;   in Loop: Header=BB4_3228 Depth=2
	v_cmp_lt_u64_e32 vcc, s[74:75], v[50:51]
	v_add_u32_e32 v2, 7, v20
	v_cndmask_b32_e32 v2, v3, v2, vcc
	v_cndmask_b32_e64 v3, 0, 1, vcc
	v_lshrrev_b64 v[18:19], v3, v[50:51]
; %bb.4055:                             ;   in Loop: Header=BB4_3228 Depth=2
	s_andn2_saveexec_b64 s[20:21], s[20:21]
; %bb.4056:                             ;   in Loop: Header=BB4_3228 Depth=2
	v_mov_b32_e32 v18, v50
	v_bfe_u32 v2, v50, 23, 1
	v_mov_b32_e32 v19, v51
; %bb.4057:                             ;   in Loop: Header=BB4_3228 Depth=2
	s_or_b64 exec, exec, s[20:21]
	v_lshrrev_b64 v[18:19], 20, v[18:19]
	v_cmp_gt_i32_e32 vcc, 16, v2
	v_cndmask_b32_e32 v19, 0, v19, vcc
	v_cndmask_b32_e32 v18, 7, v18, vcc
	v_cmp_eq_u32_e32 vcc, 0, v2
	v_min_i32_e32 v2, 15, v2
	v_cmp_eq_u64_e64 s[20:21], 0, v[18:19]
	v_lshlrev_b32_e32 v2, 3, v2
	v_and_b32_e32 v2, 0xf8, v2
	v_and_or_b32 v2, v18, 7, v2
	s_and_b64 s[20:21], vcc, s[20:21]
	v_cndmask_b32_e64 v2, v2, 0, s[20:21]
	v_or_b32_e32 v27, v2, v1
.LBB4_4058:                             ;   in Loop: Header=BB4_3228 Depth=2
	s_or_b64 exec, exec, s[94:95]
                                        ; implicit-def: $vgpr1
.LBB4_4059:                             ;   in Loop: Header=BB4_3228 Depth=2
	s_andn2_saveexec_b64 s[20:21], s[92:93]
; %bb.4060:                             ;   in Loop: Header=BB4_3228 Depth=2
	v_or_b32_e32 v27, 0x7e, v1
; %bb.4061:                             ;   in Loop: Header=BB4_3228 Depth=2
	s_or_b64 exec, exec, s[20:21]
                                        ; implicit-def: $vgpr2
.LBB4_4062:                             ;   in Loop: Header=BB4_3228 Depth=2
	s_andn2_saveexec_b64 s[20:21], s[90:91]
; %bb.4063:                             ;   in Loop: Header=BB4_3228 Depth=2
	v_or_b32_sdwa v27, v2, s51 dst_sel:DWORD dst_unused:UNUSED_PAD src0_sel:BYTE_3 src1_sel:DWORD
; %bb.4064:                             ;   in Loop: Header=BB4_3228 Depth=2
	s_or_b64 exec, exec, s[20:21]
	v_lshrrev_b32_e32 v19, 24, v14
	v_lshrrev_b32_e32 v18, 24, v10
	v_cmp_lt_u32_e64 s[20:21], s77, v14
	s_and_b64 vcc, exec, s[18:19]
	s_mov_b64 s[90:91], -1
                                        ; implicit-def: $vgpr2
	s_cbranch_vccnz .LBB4_4078
; %bb.4065:                             ;   in Loop: Header=BB4_3228 Depth=2
	v_mov_b32_e32 v2, 0
	v_mov_b32_e32 v1, 0
	s_and_saveexec_b64 s[90:91], s[20:21]
	s_cbranch_execz .LBB4_4071
; %bb.4066:                             ;   in Loop: Header=BB4_3228 Depth=2
	v_cmp_ne_u32_e32 vcc, s49, v19
	v_bfrev_b32_e32 v1, 1
	s_and_saveexec_b64 s[92:93], vcc
	s_cbranch_execz .LBB4_4070
; %bb.4067:                             ;   in Loop: Header=BB4_3228 Depth=2
	v_bfe_u32 v3, v14, 24, 7
	v_cmp_ne_u32_e32 vcc, s51, v3
	v_mov_b32_e32 v1, 0x7f800001
	s_and_saveexec_b64 s[94:95], vcc
	s_cbranch_execz .LBB4_4069
; %bb.4068:                             ;   in Loop: Header=BB4_3228 Depth=2
	v_and_b32_e32 v1, 7, v19
	v_lshrrev_b32_e32 v26, 3, v3
	v_cmp_gt_u32_e32 vcc, 8, v3
	v_ffbh_u32_e32 v3, v1
	v_min_u32_e32 v3, 32, v3
	v_subrev_u32_e32 v20, 28, v3
	v_lshlrev_b64 v[20:21], v20, v[19:20]
	v_sub_u32_e32 v3, 29, v3
	v_and_b32_e32 v20, 7, v20
	v_cndmask_b32_e32 v3, v26, v3, vcc
	v_cndmask_b32_e32 v1, v1, v20, vcc
	v_lshlrev_b32_e32 v20, 24, v19
	v_lshlrev_b32_e32 v1, 20, v1
	v_and_b32_e32 v20, 0x80000000, v20
	v_lshl_add_u32 v3, v3, 23, v62
	v_or3_b32 v1, v20, v3, v1
.LBB4_4069:                             ;   in Loop: Header=BB4_3228 Depth=2
	s_or_b64 exec, exec, s[94:95]
.LBB4_4070:                             ;   in Loop: Header=BB4_3228 Depth=2
	s_or_b64 exec, exec, s[92:93]
.LBB4_4071:                             ;   in Loop: Header=BB4_3228 Depth=2
	s_or_b64 exec, exec, s[90:91]
	v_cmp_lt_u32_e32 vcc, s77, v10
	s_and_saveexec_b64 s[90:91], vcc
	s_cbranch_execz .LBB4_4077
; %bb.4072:                             ;   in Loop: Header=BB4_3228 Depth=2
	v_cmp_ne_u32_e32 vcc, s49, v18
	v_bfrev_b32_e32 v2, 1
	s_and_saveexec_b64 s[92:93], vcc
	s_cbranch_execz .LBB4_4076
; %bb.4073:                             ;   in Loop: Header=BB4_3228 Depth=2
	v_bfe_u32 v3, v10, 24, 7
	v_cmp_ne_u32_e32 vcc, s51, v3
	v_mov_b32_e32 v2, 0x7f800001
	s_and_saveexec_b64 s[94:95], vcc
	s_cbranch_execz .LBB4_4075
; %bb.4074:                             ;   in Loop: Header=BB4_3228 Depth=2
	v_and_b32_e32 v20, 7, v18
	v_ffbh_u32_e32 v2, v20
	v_min_u32_e32 v26, 32, v2
	v_subrev_u32_e32 v2, 28, v26
	v_lshrrev_b32_e32 v21, 3, v3
	v_cmp_gt_u32_e32 vcc, 8, v3
	v_lshlrev_b64 v[2:3], v2, v[18:19]
	v_sub_u32_e32 v3, 29, v26
	v_and_b32_e32 v2, 7, v2
	v_cndmask_b32_e32 v3, v21, v3, vcc
	v_cndmask_b32_e32 v2, v20, v2, vcc
	v_lshlrev_b32_e32 v20, 24, v18
	v_lshlrev_b32_e32 v2, 20, v2
	v_and_b32_e32 v20, 0x80000000, v20
	v_lshl_add_u32 v3, v3, 23, v62
	v_or3_b32 v2, v20, v3, v2
.LBB4_4075:                             ;   in Loop: Header=BB4_3228 Depth=2
	s_or_b64 exec, exec, s[94:95]
.LBB4_4076:                             ;   in Loop: Header=BB4_3228 Depth=2
	s_or_b64 exec, exec, s[92:93]
.LBB4_4077:                             ;   in Loop: Header=BB4_3228 Depth=2
	s_or_b64 exec, exec, s[90:91]
	v_max_f32_e32 v2, v2, v2
	v_max_f32_e32 v1, v1, v1
	;; [unrolled: 1-line block ×3, first 2 shown]
	s_mov_b64 s[90:91], 0
.LBB4_4078:                             ;   in Loop: Header=BB4_3228 Depth=2
	s_and_b64 vcc, exec, s[90:91]
	s_cbranch_vccz .LBB4_4092
; %bb.4079:                             ;   in Loop: Header=BB4_3228 Depth=2
	v_mov_b32_e32 v2, 0
	v_mov_b32_e32 v1, 0
	s_and_saveexec_b64 s[90:91], s[20:21]
	s_cbranch_execz .LBB4_4085
; %bb.4080:                             ;   in Loop: Header=BB4_3228 Depth=2
	v_cmp_ne_u32_e32 vcc, s49, v19
	v_bfrev_b32_e32 v1, 1
	s_and_saveexec_b64 s[20:21], vcc
	s_cbranch_execz .LBB4_4084
; %bb.4081:                             ;   in Loop: Header=BB4_3228 Depth=2
	v_bfe_u32 v3, v14, 24, 7
	v_cmp_ne_u32_e32 vcc, s51, v3
	v_mov_b32_e32 v1, 0x7f800001
	s_and_saveexec_b64 s[92:93], vcc
	s_cbranch_execz .LBB4_4083
; %bb.4082:                             ;   in Loop: Header=BB4_3228 Depth=2
	v_and_b32_e32 v1, 7, v19
	v_lshrrev_b32_e32 v26, 3, v3
	v_cmp_gt_u32_e32 vcc, 8, v3
	v_ffbh_u32_e32 v3, v1
	v_min_u32_e32 v3, 32, v3
	v_subrev_u32_e32 v20, 28, v3
	v_lshlrev_b64 v[20:21], v20, v[19:20]
	v_sub_u32_e32 v3, 29, v3
	v_and_b32_e32 v20, 7, v20
	v_cndmask_b32_e32 v3, v26, v3, vcc
	v_cndmask_b32_e32 v1, v1, v20, vcc
	v_lshlrev_b32_e32 v19, 24, v19
	v_lshlrev_b32_e32 v1, 20, v1
	v_and_b32_e32 v19, 0x80000000, v19
	v_lshl_add_u32 v3, v3, 23, v62
	v_or3_b32 v1, v19, v3, v1
.LBB4_4083:                             ;   in Loop: Header=BB4_3228 Depth=2
	s_or_b64 exec, exec, s[92:93]
.LBB4_4084:                             ;   in Loop: Header=BB4_3228 Depth=2
	s_or_b64 exec, exec, s[20:21]
.LBB4_4085:                             ;   in Loop: Header=BB4_3228 Depth=2
	s_or_b64 exec, exec, s[90:91]
	v_cmp_lt_u32_e32 vcc, s77, v10
	s_and_saveexec_b64 s[20:21], vcc
	s_cbranch_execz .LBB4_4091
; %bb.4086:                             ;   in Loop: Header=BB4_3228 Depth=2
	v_cmp_ne_u32_e32 vcc, s49, v18
	v_bfrev_b32_e32 v2, 1
	s_and_saveexec_b64 s[90:91], vcc
	s_cbranch_execz .LBB4_4090
; %bb.4087:                             ;   in Loop: Header=BB4_3228 Depth=2
	v_bfe_u32 v3, v10, 24, 7
	v_cmp_ne_u32_e32 vcc, s51, v3
	v_mov_b32_e32 v2, 0x7f800001
	s_and_saveexec_b64 s[92:93], vcc
	s_cbranch_execz .LBB4_4089
; %bb.4088:                             ;   in Loop: Header=BB4_3228 Depth=2
	v_and_b32_e32 v19, 7, v18
	v_ffbh_u32_e32 v2, v19
	v_min_u32_e32 v21, 32, v2
	v_subrev_u32_e32 v2, 28, v21
	v_lshrrev_b32_e32 v20, 3, v3
	v_cmp_gt_u32_e32 vcc, 8, v3
	v_lshlrev_b64 v[2:3], v2, v[18:19]
	v_sub_u32_e32 v3, 29, v21
	v_and_b32_e32 v2, 7, v2
	v_cndmask_b32_e32 v3, v20, v3, vcc
	v_cndmask_b32_e32 v2, v19, v2, vcc
	v_lshlrev_b32_e32 v18, 24, v18
	v_lshlrev_b32_e32 v2, 20, v2
	v_and_b32_e32 v18, 0x80000000, v18
	v_lshl_add_u32 v3, v3, 23, v62
	v_or3_b32 v2, v18, v3, v2
.LBB4_4089:                             ;   in Loop: Header=BB4_3228 Depth=2
	s_or_b64 exec, exec, s[92:93]
.LBB4_4090:                             ;   in Loop: Header=BB4_3228 Depth=2
	s_or_b64 exec, exec, s[90:91]
.LBB4_4091:                             ;   in Loop: Header=BB4_3228 Depth=2
	s_or_b64 exec, exec, s[20:21]
	v_max_f32_e32 v2, v2, v2
	v_max_f32_e32 v1, v1, v1
	v_min_f32_e32 v2, v1, v2
.LBB4_4092:                             ;   in Loop: Header=BB4_3228 Depth=2
	v_and_b32_e32 v50, 0x7f800000, v2
	v_cmp_ne_u64_e32 vcc, s[62:63], v[50:51]
                                        ; implicit-def: $vgpr40
	s_and_saveexec_b64 s[20:21], vcc
	s_xor_b64 s[90:91], exec, s[20:21]
	s_cbranch_execz .LBB4_4106
; %bb.4093:                             ;   in Loop: Header=BB4_3228 Depth=2
	v_and_b32_e32 v50, 0x7fffffff, v2
	v_cmp_gt_u64_e32 vcc, s[72:73], v[50:51]
	v_and_b32_sdwa v1, v2, s49 dst_sel:DWORD dst_unused:UNUSED_PAD src0_sel:BYTE_3 src1_sel:DWORD
                                        ; implicit-def: $vgpr40
	s_and_saveexec_b64 s[20:21], vcc
	s_xor_b64 s[92:93], exec, s[20:21]
	s_cbranch_execz .LBB4_4103
; %bb.4094:                             ;   in Loop: Header=BB4_3228 Depth=2
	v_mov_b32_e32 v40, 0
	v_cmp_ne_u32_e32 vcc, 0, v2
	s_and_saveexec_b64 s[94:95], vcc
	s_cbranch_execz .LBB4_4102
; %bb.4095:                             ;   in Loop: Header=BB4_3228 Depth=2
	v_and_b32_e32 v18, 0x7fffff, v2
	v_bfe_u32 v2, v2, 23, 8
	v_cmp_gt_u32_e64 s[20:21], s53, v2
	v_sub_u32_e32 v3, 0x79, v2
	v_cmp_eq_u32_e32 vcc, 0, v2
	v_cndmask_b32_e64 v3, 0, v3, s[20:21]
	v_mov_b32_e32 v20, 0x78
	v_or_b32_e32 v19, 0x800000, v18
	v_cndmask_b32_e32 v3, v3, v20, vcc
	v_cndmask_b32_e32 v50, v19, v18, vcc
	v_add_u32_e32 v18, 20, v3
	v_lshlrev_b64 v[18:19], v18, -1
	v_add_u32_e32 v20, 19, v3
	v_lshlrev_b64 v[20:21], v20, 1
	v_bfi_b32 v19, v19, 0, 0
	v_bfi_b32 v18, v18, 0, v50
	v_cmp_eq_u64_e64 s[20:21], v[18:19], v[20:21]
	v_lshrrev_b64 v[18:19], v3, v[50:51]
	v_mov_b32_e32 v20, v19
	v_mov_b32_e32 v19, v18
	s_and_saveexec_b64 s[30:31], s[20:21]
; %bb.4096:                             ;   in Loop: Header=BB4_3228 Depth=2
	v_bfe_u32 v19, v18, 20, 1
	v_add_co_u32_e64 v19, s[20:21], v18, v19
	v_add_co_u32_e64 v19, s[20:21], -1, v19
; %bb.4097:                             ;   in Loop: Header=BB4_3228 Depth=2
	s_or_b64 exec, exec, s[30:31]
	v_add_u32_e32 v2, 0xffffff81, v2
	v_cndmask_b32_e32 v2, v2, v49, vcc
	v_lshrrev_b32_e32 v20, 23, v18
	v_add3_u32 v20, v3, v2, v20
	v_add_u32_e32 v3, 6, v20
	v_and_b32_e32 v2, 0xfffff, v19
	v_add_u32_e32 v50, v2, v18
	v_cmp_ne_u32_e32 vcc, 0, v3
                                        ; implicit-def: $vgpr18_vgpr19
                                        ; implicit-def: $vgpr2
	s_and_saveexec_b64 s[20:21], vcc
	s_xor_b64 s[20:21], exec, s[20:21]
; %bb.4098:                             ;   in Loop: Header=BB4_3228 Depth=2
	v_cmp_lt_u64_e32 vcc, s[74:75], v[50:51]
	v_add_u32_e32 v2, 7, v20
	v_cndmask_b32_e32 v2, v3, v2, vcc
	v_cndmask_b32_e64 v3, 0, 1, vcc
	v_lshrrev_b64 v[18:19], v3, v[50:51]
; %bb.4099:                             ;   in Loop: Header=BB4_3228 Depth=2
	s_andn2_saveexec_b64 s[20:21], s[20:21]
; %bb.4100:                             ;   in Loop: Header=BB4_3228 Depth=2
	v_mov_b32_e32 v18, v50
	v_bfe_u32 v2, v50, 23, 1
	v_mov_b32_e32 v19, v51
; %bb.4101:                             ;   in Loop: Header=BB4_3228 Depth=2
	s_or_b64 exec, exec, s[20:21]
	v_lshrrev_b64 v[18:19], 20, v[18:19]
	v_cmp_gt_i32_e32 vcc, 16, v2
	v_cndmask_b32_e32 v19, 0, v19, vcc
	v_cndmask_b32_e32 v18, 7, v18, vcc
	v_cmp_eq_u32_e32 vcc, 0, v2
	v_min_i32_e32 v2, 15, v2
	v_cmp_eq_u64_e64 s[20:21], 0, v[18:19]
	v_lshlrev_b32_e32 v2, 3, v2
	v_and_b32_e32 v2, 0xf8, v2
	v_and_or_b32 v2, v18, 7, v2
	s_and_b64 s[20:21], vcc, s[20:21]
	v_cndmask_b32_e64 v2, v2, 0, s[20:21]
	v_or_b32_e32 v40, v2, v1
.LBB4_4102:                             ;   in Loop: Header=BB4_3228 Depth=2
	s_or_b64 exec, exec, s[94:95]
                                        ; implicit-def: $vgpr1
.LBB4_4103:                             ;   in Loop: Header=BB4_3228 Depth=2
	s_andn2_saveexec_b64 s[20:21], s[92:93]
; %bb.4104:                             ;   in Loop: Header=BB4_3228 Depth=2
	v_or_b32_e32 v40, 0x7e, v1
; %bb.4105:                             ;   in Loop: Header=BB4_3228 Depth=2
	s_or_b64 exec, exec, s[20:21]
                                        ; implicit-def: $vgpr2
.LBB4_4106:                             ;   in Loop: Header=BB4_3228 Depth=2
	s_andn2_saveexec_b64 s[20:21], s[90:91]
; %bb.4107:                             ;   in Loop: Header=BB4_3228 Depth=2
	v_or_b32_sdwa v40, v2, s51 dst_sel:DWORD dst_unused:UNUSED_PAD src0_sel:BYTE_3 src1_sel:DWORD
; %bb.4108:                             ;   in Loop: Header=BB4_3228 Depth=2
	s_or_b64 exec, exec, s[20:21]
	v_mov_b32_e32 v50, v15
	v_mov_b32_e32 v18, v11
	;; [unrolled: 1-line block ×3, first 2 shown]
	v_cmp_ne_u16_sdwa s[20:21], v15, v51 src0_sel:BYTE_0 src1_sel:DWORD
	s_and_b64 vcc, exec, s[18:19]
	s_mov_b64 s[90:91], -1
                                        ; implicit-def: $vgpr2
	s_cbranch_vccnz .LBB4_4122
; %bb.4109:                             ;   in Loop: Header=BB4_3228 Depth=2
	v_mov_b32_e32 v2, 0
	v_mov_b32_e32 v1, 0
	s_and_saveexec_b64 s[90:91], s[20:21]
	s_cbranch_execz .LBB4_4115
; %bb.4110:                             ;   in Loop: Header=BB4_3228 Depth=2
	v_cmp_ne_u16_sdwa s[94:95], v15, s49 src0_sel:BYTE_0 src1_sel:DWORD
	v_bfrev_b32_e32 v1, 1
	s_and_saveexec_b64 s[92:93], s[94:95]
	s_cbranch_execz .LBB4_4114
; %bb.4111:                             ;   in Loop: Header=BB4_3228 Depth=2
	v_and_b32_e32 v3, 0x7f, v15
	v_cmp_ne_u32_e32 vcc, s51, v3
	v_mov_b32_e32 v1, 0x7f800001
	s_and_saveexec_b64 s[94:95], vcc
	s_cbranch_execz .LBB4_4113
; %bb.4112:                             ;   in Loop: Header=BB4_3228 Depth=2
	v_and_b32_e32 v1, 7, v15
	v_ffbh_u32_e32 v1, v1
	v_min_u32_e32 v1, 32, v1
	v_lshrrev_b32_e32 v20, 3, v3
	v_cmp_gt_u32_e32 vcc, 8, v3
	v_subrev_u32_e32 v3, 28, v1
	v_sub_u32_e32 v1, 29, v1
	v_cndmask_b32_e32 v3, 0, v3, vcc
	v_cndmask_b32_e32 v1, v20, v1, vcc
	v_lshlrev_b64 v[20:21], v3, v[50:51]
	v_lshl_add_u32 v1, v1, 23, v62
	v_lshlrev_b32_e32 v3, 20, v20
	v_lshlrev_b32_e32 v20, 24, v50
	v_and_b32_e32 v3, 0x700000, v3
	v_and_b32_e32 v20, 0x80000000, v20
	v_or3_b32 v1, v20, v1, v3
.LBB4_4113:                             ;   in Loop: Header=BB4_3228 Depth=2
	s_or_b64 exec, exec, s[94:95]
.LBB4_4114:                             ;   in Loop: Header=BB4_3228 Depth=2
	s_or_b64 exec, exec, s[92:93]
.LBB4_4115:                             ;   in Loop: Header=BB4_3228 Depth=2
	s_or_b64 exec, exec, s[90:91]
	v_cmp_ne_u16_sdwa s[92:93], v11, v51 src0_sel:BYTE_0 src1_sel:DWORD
	s_and_saveexec_b64 s[90:91], s[92:93]
	s_cbranch_execz .LBB4_4121
; %bb.4116:                             ;   in Loop: Header=BB4_3228 Depth=2
	v_cmp_ne_u16_sdwa s[94:95], v11, s49 src0_sel:BYTE_0 src1_sel:DWORD
	v_bfrev_b32_e32 v2, 1
	s_and_saveexec_b64 s[92:93], s[94:95]
	s_cbranch_execz .LBB4_4120
; %bb.4117:                             ;   in Loop: Header=BB4_3228 Depth=2
	v_and_b32_e32 v3, 0x7f, v11
	v_cmp_ne_u32_e32 vcc, s51, v3
	v_mov_b32_e32 v2, 0x7f800001
	s_and_saveexec_b64 s[94:95], vcc
	s_cbranch_execz .LBB4_4119
; %bb.4118:                             ;   in Loop: Header=BB4_3228 Depth=2
	v_and_b32_e32 v2, 7, v11
	v_ffbh_u32_e32 v2, v2
	v_min_u32_e32 v2, 32, v2
	v_lshrrev_b32_e32 v20, 3, v3
	v_cmp_gt_u32_e32 vcc, 8, v3
	v_subrev_u32_e32 v3, 28, v2
	v_sub_u32_e32 v2, 29, v2
	v_cndmask_b32_e32 v20, v20, v2, vcc
	v_cndmask_b32_e32 v2, 0, v3, vcc
	v_lshlrev_b64 v[2:3], v2, v[18:19]
	v_lshlrev_b32_e32 v3, 24, v18
	v_lshlrev_b32_e32 v2, 20, v2
	v_and_b32_e32 v2, 0x700000, v2
	v_and_b32_e32 v3, 0x80000000, v3
	v_lshl_add_u32 v20, v20, 23, v62
	v_or3_b32 v2, v3, v20, v2
.LBB4_4119:                             ;   in Loop: Header=BB4_3228 Depth=2
	s_or_b64 exec, exec, s[94:95]
.LBB4_4120:                             ;   in Loop: Header=BB4_3228 Depth=2
	s_or_b64 exec, exec, s[92:93]
.LBB4_4121:                             ;   in Loop: Header=BB4_3228 Depth=2
	s_or_b64 exec, exec, s[90:91]
	v_max_f32_e32 v2, v2, v2
	v_max_f32_e32 v1, v1, v1
	;; [unrolled: 1-line block ×3, first 2 shown]
	s_mov_b64 s[90:91], 0
.LBB4_4122:                             ;   in Loop: Header=BB4_3228 Depth=2
	s_and_b64 vcc, exec, s[90:91]
	s_cbranch_vccz .LBB4_4136
; %bb.4123:                             ;   in Loop: Header=BB4_3228 Depth=2
	v_mov_b32_e32 v2, 0
	v_mov_b32_e32 v1, 0
	s_and_saveexec_b64 s[90:91], s[20:21]
	s_cbranch_execz .LBB4_4129
; %bb.4124:                             ;   in Loop: Header=BB4_3228 Depth=2
	v_cmp_ne_u16_sdwa s[92:93], v15, s49 src0_sel:BYTE_0 src1_sel:DWORD
	v_bfrev_b32_e32 v1, 1
	s_and_saveexec_b64 s[20:21], s[92:93]
	s_cbranch_execz .LBB4_4128
; %bb.4125:                             ;   in Loop: Header=BB4_3228 Depth=2
	v_and_b32_e32 v3, 0x7f, v15
	v_cmp_ne_u32_e32 vcc, s51, v3
	v_mov_b32_e32 v1, 0x7f800001
	s_and_saveexec_b64 s[92:93], vcc
	s_cbranch_execz .LBB4_4127
; %bb.4126:                             ;   in Loop: Header=BB4_3228 Depth=2
	v_and_b32_e32 v1, 7, v15
	v_ffbh_u32_e32 v1, v1
	v_min_u32_e32 v1, 32, v1
	v_lshrrev_b32_e32 v20, 3, v3
	v_cmp_gt_u32_e32 vcc, 8, v3
	v_subrev_u32_e32 v3, 28, v1
	v_sub_u32_e32 v1, 29, v1
	v_cndmask_b32_e32 v3, 0, v3, vcc
	v_cndmask_b32_e32 v1, v20, v1, vcc
	v_lshlrev_b64 v[20:21], v3, v[50:51]
	v_lshl_add_u32 v1, v1, 23, v62
	v_lshlrev_b32_e32 v3, 20, v20
	v_lshlrev_b32_e32 v20, 24, v50
	v_and_b32_e32 v3, 0x700000, v3
	v_and_b32_e32 v20, 0x80000000, v20
	v_or3_b32 v1, v20, v1, v3
.LBB4_4127:                             ;   in Loop: Header=BB4_3228 Depth=2
	s_or_b64 exec, exec, s[92:93]
.LBB4_4128:                             ;   in Loop: Header=BB4_3228 Depth=2
	s_or_b64 exec, exec, s[20:21]
.LBB4_4129:                             ;   in Loop: Header=BB4_3228 Depth=2
	s_or_b64 exec, exec, s[90:91]
	v_cmp_ne_u16_sdwa s[90:91], v11, v51 src0_sel:BYTE_0 src1_sel:DWORD
	s_and_saveexec_b64 s[20:21], s[90:91]
	s_cbranch_execz .LBB4_4135
; %bb.4130:                             ;   in Loop: Header=BB4_3228 Depth=2
	v_cmp_ne_u16_sdwa s[92:93], v11, s49 src0_sel:BYTE_0 src1_sel:DWORD
	v_bfrev_b32_e32 v2, 1
	s_and_saveexec_b64 s[90:91], s[92:93]
	s_cbranch_execz .LBB4_4134
; %bb.4131:                             ;   in Loop: Header=BB4_3228 Depth=2
	v_and_b32_e32 v3, 0x7f, v11
	v_cmp_ne_u32_e32 vcc, s51, v3
	v_mov_b32_e32 v2, 0x7f800001
	s_and_saveexec_b64 s[92:93], vcc
	s_cbranch_execz .LBB4_4133
; %bb.4132:                             ;   in Loop: Header=BB4_3228 Depth=2
	v_and_b32_e32 v2, 7, v11
	v_ffbh_u32_e32 v2, v2
	v_min_u32_e32 v2, 32, v2
	v_lshrrev_b32_e32 v20, 3, v3
	v_cmp_gt_u32_e32 vcc, 8, v3
	v_subrev_u32_e32 v3, 28, v2
	v_sub_u32_e32 v2, 29, v2
	v_cndmask_b32_e32 v20, v20, v2, vcc
	v_cndmask_b32_e32 v2, 0, v3, vcc
	v_lshlrev_b64 v[2:3], v2, v[18:19]
	v_lshlrev_b32_e32 v3, 24, v18
	v_lshlrev_b32_e32 v2, 20, v2
	v_and_b32_e32 v2, 0x700000, v2
	v_and_b32_e32 v3, 0x80000000, v3
	v_lshl_add_u32 v19, v20, 23, v62
	v_or3_b32 v2, v3, v19, v2
.LBB4_4133:                             ;   in Loop: Header=BB4_3228 Depth=2
	s_or_b64 exec, exec, s[92:93]
.LBB4_4134:                             ;   in Loop: Header=BB4_3228 Depth=2
	s_or_b64 exec, exec, s[90:91]
.LBB4_4135:                             ;   in Loop: Header=BB4_3228 Depth=2
	s_or_b64 exec, exec, s[20:21]
	v_max_f32_e32 v2, v2, v2
	v_max_f32_e32 v1, v1, v1
	v_min_f32_e32 v2, v1, v2
.LBB4_4136:                             ;   in Loop: Header=BB4_3228 Depth=2
	v_and_b32_e32 v19, 0x7f800000, v2
	v_mov_b32_e32 v20, v51
	v_cmp_ne_u64_e32 vcc, s[62:63], v[19:20]
                                        ; implicit-def: $vgpr21
	s_and_saveexec_b64 s[20:21], vcc
	s_xor_b64 s[90:91], exec, s[20:21]
	s_cbranch_execz .LBB4_4150
; %bb.4137:                             ;   in Loop: Header=BB4_3228 Depth=2
	v_and_b32_e32 v19, 0x7fffffff, v2
	v_mov_b32_e32 v20, v51
	v_cmp_gt_u64_e32 vcc, s[72:73], v[19:20]
	v_and_b32_sdwa v1, v2, s49 dst_sel:DWORD dst_unused:UNUSED_PAD src0_sel:BYTE_3 src1_sel:DWORD
                                        ; implicit-def: $vgpr21
	s_and_saveexec_b64 s[20:21], vcc
	s_xor_b64 s[92:93], exec, s[20:21]
	s_cbranch_execz .LBB4_4147
; %bb.4138:                             ;   in Loop: Header=BB4_3228 Depth=2
	v_mov_b32_e32 v21, 0
	v_cmp_ne_u32_e32 vcc, 0, v2
	s_and_saveexec_b64 s[94:95], vcc
	s_cbranch_execz .LBB4_4146
; %bb.4139:                             ;   in Loop: Header=BB4_3228 Depth=2
	v_and_b32_e32 v19, 0x7fffff, v2
	v_bfe_u32 v2, v2, 23, 8
	v_cmp_gt_u32_e64 s[20:21], s53, v2
	v_sub_u32_e32 v3, 0x79, v2
	v_cmp_eq_u32_e32 vcc, 0, v2
	v_cndmask_b32_e64 v3, 0, v3, s[20:21]
	v_mov_b32_e32 v21, 0x78
	v_cndmask_b32_e32 v3, v3, v21, vcc
	v_add_u32_e32 v21, 20, v3
	v_or_b32_e32 v20, 0x800000, v19
	v_lshlrev_b64 v[34:35], v21, -1
	v_cndmask_b32_e32 v19, v20, v19, vcc
	v_mov_b32_e32 v20, v51
	v_add_u32_e32 v21, 19, v3
	v_bfi_b32 v34, v34, 0, v19
	v_lshlrev_b64 v[48:49], v21, 1
	v_lshrrev_b64 v[19:20], v3, v[19:20]
	v_bfi_b32 v35, v35, 0, 0
	v_cmp_eq_u64_e64 s[20:21], v[34:35], v[48:49]
	v_mov_b32_e32 v21, v20
	v_mov_b32_e32 v20, v19
	s_and_saveexec_b64 s[30:31], s[20:21]
; %bb.4140:                             ;   in Loop: Header=BB4_3228 Depth=2
	v_bfe_u32 v20, v19, 20, 1
	v_add_co_u32_e64 v20, s[20:21], v19, v20
	v_add_co_u32_e64 v20, s[20:21], -1, v20
; %bb.4141:                             ;   in Loop: Header=BB4_3228 Depth=2
	s_or_b64 exec, exec, s[30:31]
	v_add_u32_e32 v2, 0xffffff81, v2
	v_mov_b32_e32 v49, 0xffffff82
	v_cndmask_b32_e32 v2, v2, v49, vcc
	v_lshrrev_b32_e32 v21, 23, v19
	v_add3_u32 v21, v3, v2, v21
	v_add_u32_e32 v3, 6, v21
	v_and_b32_e32 v2, 0xfffff, v20
	v_add_u32_e32 v19, v2, v19
	v_mov_b32_e32 v20, v51
	v_cmp_ne_u32_e32 vcc, 0, v3
                                        ; implicit-def: $vgpr2
	s_and_saveexec_b64 s[20:21], vcc
	s_xor_b64 s[20:21], exec, s[20:21]
; %bb.4142:                             ;   in Loop: Header=BB4_3228 Depth=2
	v_cmp_lt_u64_e32 vcc, s[74:75], v[19:20]
	v_add_u32_e32 v2, 7, v21
	v_cndmask_b32_e32 v2, v3, v2, vcc
	v_cndmask_b32_e64 v3, 0, 1, vcc
	v_lshrrev_b64 v[19:20], v3, v[19:20]
; %bb.4143:                             ;   in Loop: Header=BB4_3228 Depth=2
	s_andn2_saveexec_b64 s[20:21], s[20:21]
; %bb.4144:                             ;   in Loop: Header=BB4_3228 Depth=2
	v_bfe_u32 v2, v19, 23, 1
; %bb.4145:                             ;   in Loop: Header=BB4_3228 Depth=2
	s_or_b64 exec, exec, s[20:21]
	v_lshrrev_b64 v[19:20], 20, v[19:20]
	v_cmp_gt_i32_e32 vcc, 16, v2
	v_cndmask_b32_e32 v20, 0, v20, vcc
	v_cndmask_b32_e32 v19, 7, v19, vcc
	v_cmp_eq_u32_e32 vcc, 0, v2
	v_min_i32_e32 v2, 15, v2
	v_cmp_eq_u64_e64 s[20:21], 0, v[19:20]
	v_lshlrev_b32_e32 v2, 3, v2
	v_and_b32_e32 v2, 0xf8, v2
	v_and_or_b32 v2, v19, 7, v2
	s_and_b64 s[20:21], vcc, s[20:21]
	v_cndmask_b32_e64 v2, v2, 0, s[20:21]
	v_or_b32_e32 v21, v2, v1
.LBB4_4146:                             ;   in Loop: Header=BB4_3228 Depth=2
	s_or_b64 exec, exec, s[94:95]
                                        ; implicit-def: $vgpr1
.LBB4_4147:                             ;   in Loop: Header=BB4_3228 Depth=2
	s_andn2_saveexec_b64 s[20:21], s[92:93]
; %bb.4148:                             ;   in Loop: Header=BB4_3228 Depth=2
	v_or_b32_e32 v21, 0x7e, v1
; %bb.4149:                             ;   in Loop: Header=BB4_3228 Depth=2
	s_or_b64 exec, exec, s[20:21]
                                        ; implicit-def: $vgpr2
.LBB4_4150:                             ;   in Loop: Header=BB4_3228 Depth=2
	s_andn2_saveexec_b64 s[20:21], s[90:91]
; %bb.4151:                             ;   in Loop: Header=BB4_3228 Depth=2
	v_or_b32_sdwa v21, v2, s51 dst_sel:DWORD dst_unused:UNUSED_PAD src0_sel:BYTE_3 src1_sel:DWORD
; %bb.4152:                             ;   in Loop: Header=BB4_3228 Depth=2
	s_or_b64 exec, exec, s[20:21]
	v_lshrrev_b16_e32 v20, 8, v50
	v_lshrrev_b16_e32 v19, 8, v18
	v_cmp_ne_u16_e64 s[20:21], 0, v20
	s_and_b64 vcc, exec, s[18:19]
	s_mov_b64 s[90:91], -1
                                        ; implicit-def: $vgpr2
	s_cbranch_vccnz .LBB4_4166
; %bb.4153:                             ;   in Loop: Header=BB4_3228 Depth=2
	v_mov_b32_e32 v2, 0
	v_mov_b32_e32 v1, 0
	s_and_saveexec_b64 s[90:91], s[20:21]
	s_cbranch_execz .LBB4_4159
; %bb.4154:                             ;   in Loop: Header=BB4_3228 Depth=2
	v_cmp_ne_u16_e32 vcc, s49, v20
	v_bfrev_b32_e32 v1, 1
	s_and_saveexec_b64 s[92:93], vcc
	s_cbranch_execz .LBB4_4158
; %bb.4155:                             ;   in Loop: Header=BB4_3228 Depth=2
	v_and_b32_e32 v3, 0x7f, v20
	v_cmp_ne_u32_e32 vcc, s51, v3
	v_mov_b32_e32 v1, 0x7f800001
	s_and_saveexec_b64 s[94:95], vcc
	s_cbranch_execz .LBB4_4157
; %bb.4156:                             ;   in Loop: Header=BB4_3228 Depth=2
	v_and_b32_e32 v1, 7, v20
	v_lshrrev_b32_e32 v26, 3, v3
	v_cmp_gt_u32_e32 vcc, 8, v3
	v_ffbh_u32_e32 v3, v1
	v_min_u32_e32 v3, 32, v3
	v_subrev_u32_e32 v31, 28, v3
	v_lshlrev_b64 v[34:35], v31, v[20:21]
	v_sub_u32_e32 v3, 29, v3
	v_and_b32_e32 v31, 7, v34
	v_cndmask_b32_e32 v3, v26, v3, vcc
	v_cndmask_b32_e32 v1, v1, v31, vcc
	v_lshlrev_b32_e32 v26, 16, v50
	v_lshlrev_b32_e32 v1, 20, v1
	v_and_b32_e32 v26, 0x80000000, v26
	v_lshl_add_u32 v3, v3, 23, v62
	v_or3_b32 v1, v26, v3, v1
.LBB4_4157:                             ;   in Loop: Header=BB4_3228 Depth=2
	s_or_b64 exec, exec, s[94:95]
.LBB4_4158:                             ;   in Loop: Header=BB4_3228 Depth=2
	s_or_b64 exec, exec, s[92:93]
.LBB4_4159:                             ;   in Loop: Header=BB4_3228 Depth=2
	s_or_b64 exec, exec, s[90:91]
	v_cmp_ne_u16_e32 vcc, 0, v19
	s_and_saveexec_b64 s[90:91], vcc
	s_cbranch_execz .LBB4_4165
; %bb.4160:                             ;   in Loop: Header=BB4_3228 Depth=2
	v_cmp_ne_u16_e32 vcc, s49, v19
	v_bfrev_b32_e32 v2, 1
	s_and_saveexec_b64 s[92:93], vcc
	s_cbranch_execz .LBB4_4164
; %bb.4161:                             ;   in Loop: Header=BB4_3228 Depth=2
	v_and_b32_e32 v3, 0x7f, v19
	v_cmp_ne_u32_e32 vcc, s51, v3
	v_mov_b32_e32 v2, 0x7f800001
	s_and_saveexec_b64 s[94:95], vcc
	s_cbranch_execz .LBB4_4163
; %bb.4162:                             ;   in Loop: Header=BB4_3228 Depth=2
	v_and_b32_e32 v26, 7, v19
	v_ffbh_u32_e32 v2, v26
	v_min_u32_e32 v34, 32, v2
	v_subrev_u32_e32 v2, 28, v34
	v_lshrrev_b32_e32 v31, 3, v3
	v_cmp_gt_u32_e32 vcc, 8, v3
	v_lshlrev_b64 v[2:3], v2, v[19:20]
	v_sub_u32_e32 v3, 29, v34
	v_and_b32_e32 v2, 7, v2
	v_cndmask_b32_e32 v3, v31, v3, vcc
	v_cndmask_b32_e32 v2, v26, v2, vcc
	v_lshlrev_b32_e32 v26, 16, v18
	v_lshlrev_b32_e32 v2, 20, v2
	v_and_b32_e32 v26, 0x80000000, v26
	v_lshl_add_u32 v3, v3, 23, v62
	v_or3_b32 v2, v26, v3, v2
.LBB4_4163:                             ;   in Loop: Header=BB4_3228 Depth=2
	s_or_b64 exec, exec, s[94:95]
.LBB4_4164:                             ;   in Loop: Header=BB4_3228 Depth=2
	s_or_b64 exec, exec, s[92:93]
.LBB4_4165:                             ;   in Loop: Header=BB4_3228 Depth=2
	s_or_b64 exec, exec, s[90:91]
	v_max_f32_e32 v2, v2, v2
	v_max_f32_e32 v1, v1, v1
	;; [unrolled: 1-line block ×3, first 2 shown]
	s_mov_b64 s[90:91], 0
.LBB4_4166:                             ;   in Loop: Header=BB4_3228 Depth=2
	s_and_b64 vcc, exec, s[90:91]
	s_cbranch_vccz .LBB4_4180
; %bb.4167:                             ;   in Loop: Header=BB4_3228 Depth=2
	v_mov_b32_e32 v2, 0
	v_mov_b32_e32 v1, 0
	s_and_saveexec_b64 s[90:91], s[20:21]
	s_cbranch_execz .LBB4_4173
; %bb.4168:                             ;   in Loop: Header=BB4_3228 Depth=2
	v_cmp_ne_u16_e32 vcc, s49, v20
	v_bfrev_b32_e32 v1, 1
	s_and_saveexec_b64 s[20:21], vcc
	s_cbranch_execz .LBB4_4172
; %bb.4169:                             ;   in Loop: Header=BB4_3228 Depth=2
	v_and_b32_e32 v3, 0x7f, v20
	v_cmp_ne_u32_e32 vcc, s51, v3
	v_mov_b32_e32 v1, 0x7f800001
	s_and_saveexec_b64 s[92:93], vcc
	s_cbranch_execz .LBB4_4171
; %bb.4170:                             ;   in Loop: Header=BB4_3228 Depth=2
	v_and_b32_e32 v1, 7, v20
	v_lshrrev_b32_e32 v26, 3, v3
	v_cmp_gt_u32_e32 vcc, 8, v3
	v_ffbh_u32_e32 v3, v1
	v_min_u32_e32 v3, 32, v3
	v_subrev_u32_e32 v31, 28, v3
	v_lshlrev_b64 v[34:35], v31, v[20:21]
	v_sub_u32_e32 v3, 29, v3
	v_and_b32_e32 v20, 7, v34
	v_cndmask_b32_e32 v3, v26, v3, vcc
	v_cndmask_b32_e32 v1, v1, v20, vcc
	v_lshlrev_b32_e32 v20, 16, v50
	v_lshlrev_b32_e32 v1, 20, v1
	v_and_b32_e32 v20, 0x80000000, v20
	v_lshl_add_u32 v3, v3, 23, v62
	v_or3_b32 v1, v20, v3, v1
.LBB4_4171:                             ;   in Loop: Header=BB4_3228 Depth=2
	s_or_b64 exec, exec, s[92:93]
.LBB4_4172:                             ;   in Loop: Header=BB4_3228 Depth=2
	s_or_b64 exec, exec, s[20:21]
.LBB4_4173:                             ;   in Loop: Header=BB4_3228 Depth=2
	s_or_b64 exec, exec, s[90:91]
	v_cmp_ne_u16_e32 vcc, 0, v19
	s_and_saveexec_b64 s[20:21], vcc
	s_cbranch_execz .LBB4_4179
; %bb.4174:                             ;   in Loop: Header=BB4_3228 Depth=2
	v_cmp_ne_u16_e32 vcc, s49, v19
	v_bfrev_b32_e32 v2, 1
	s_and_saveexec_b64 s[90:91], vcc
	s_cbranch_execz .LBB4_4178
; %bb.4175:                             ;   in Loop: Header=BB4_3228 Depth=2
	v_and_b32_e32 v3, 0x7f, v19
	v_cmp_ne_u32_e32 vcc, s51, v3
	v_mov_b32_e32 v2, 0x7f800001
	s_and_saveexec_b64 s[92:93], vcc
	s_cbranch_execz .LBB4_4177
; %bb.4176:                             ;   in Loop: Header=BB4_3228 Depth=2
	v_and_b32_e32 v20, 7, v19
	v_ffbh_u32_e32 v2, v20
	v_min_u32_e32 v31, 32, v2
	v_subrev_u32_e32 v2, 28, v31
	v_lshrrev_b32_e32 v26, 3, v3
	v_cmp_gt_u32_e32 vcc, 8, v3
	v_lshlrev_b64 v[2:3], v2, v[19:20]
	v_sub_u32_e32 v3, 29, v31
	v_and_b32_e32 v2, 7, v2
	v_cndmask_b32_e32 v3, v26, v3, vcc
	v_cndmask_b32_e32 v2, v20, v2, vcc
	v_lshlrev_b32_e32 v18, 16, v18
	v_lshlrev_b32_e32 v2, 20, v2
	v_and_b32_e32 v18, 0x80000000, v18
	v_lshl_add_u32 v3, v3, 23, v62
	v_or3_b32 v2, v18, v3, v2
.LBB4_4177:                             ;   in Loop: Header=BB4_3228 Depth=2
	s_or_b64 exec, exec, s[92:93]
.LBB4_4178:                             ;   in Loop: Header=BB4_3228 Depth=2
	s_or_b64 exec, exec, s[90:91]
.LBB4_4179:                             ;   in Loop: Header=BB4_3228 Depth=2
	s_or_b64 exec, exec, s[20:21]
	v_max_f32_e32 v2, v2, v2
	v_max_f32_e32 v1, v1, v1
	v_min_f32_e32 v2, v1, v2
.LBB4_4180:                             ;   in Loop: Header=BB4_3228 Depth=2
	v_and_b32_e32 v50, 0x7f800000, v2
	v_cmp_ne_u64_e32 vcc, s[62:63], v[50:51]
                                        ; implicit-def: $vgpr31
	s_and_saveexec_b64 s[20:21], vcc
	s_xor_b64 s[90:91], exec, s[20:21]
	s_cbranch_execz .LBB4_4194
; %bb.4181:                             ;   in Loop: Header=BB4_3228 Depth=2
	v_and_b32_e32 v50, 0x7fffffff, v2
	v_cmp_gt_u64_e32 vcc, s[72:73], v[50:51]
	v_and_b32_sdwa v1, v2, s49 dst_sel:DWORD dst_unused:UNUSED_PAD src0_sel:BYTE_3 src1_sel:DWORD
                                        ; implicit-def: $vgpr31
	s_and_saveexec_b64 s[20:21], vcc
	s_xor_b64 s[92:93], exec, s[20:21]
	s_cbranch_execz .LBB4_4191
; %bb.4182:                             ;   in Loop: Header=BB4_3228 Depth=2
	v_mov_b32_e32 v31, 0
	v_cmp_ne_u32_e32 vcc, 0, v2
	s_and_saveexec_b64 s[94:95], vcc
	s_cbranch_execz .LBB4_4190
; %bb.4183:                             ;   in Loop: Header=BB4_3228 Depth=2
	v_and_b32_e32 v18, 0x7fffff, v2
	v_bfe_u32 v2, v2, 23, 8
	v_cmp_gt_u32_e64 s[20:21], s53, v2
	v_sub_u32_e32 v3, 0x79, v2
	v_cmp_eq_u32_e32 vcc, 0, v2
	v_cndmask_b32_e64 v3, 0, v3, s[20:21]
	v_mov_b32_e32 v20, 0x78
	v_or_b32_e32 v19, 0x800000, v18
	v_cndmask_b32_e32 v3, v3, v20, vcc
	v_cndmask_b32_e32 v50, v19, v18, vcc
	v_add_u32_e32 v18, 20, v3
	v_lshlrev_b64 v[18:19], v18, -1
	v_add_u32_e32 v20, 19, v3
	v_lshlrev_b64 v[34:35], v20, 1
	v_bfi_b32 v19, v19, 0, 0
	v_bfi_b32 v18, v18, 0, v50
	v_cmp_eq_u64_e64 s[20:21], v[18:19], v[34:35]
	v_lshrrev_b64 v[18:19], v3, v[50:51]
	v_mov_b32_e32 v20, v19
	v_mov_b32_e32 v19, v18
	s_and_saveexec_b64 s[30:31], s[20:21]
; %bb.4184:                             ;   in Loop: Header=BB4_3228 Depth=2
	v_bfe_u32 v19, v18, 20, 1
	v_add_co_u32_e64 v19, s[20:21], v18, v19
	v_add_co_u32_e64 v19, s[20:21], -1, v19
; %bb.4185:                             ;   in Loop: Header=BB4_3228 Depth=2
	s_or_b64 exec, exec, s[30:31]
	v_add_u32_e32 v2, 0xffffff81, v2
	v_cndmask_b32_e32 v2, v2, v49, vcc
	v_lshrrev_b32_e32 v20, 23, v18
	v_add3_u32 v20, v3, v2, v20
	v_add_u32_e32 v3, 6, v20
	v_and_b32_e32 v2, 0xfffff, v19
	v_add_u32_e32 v50, v2, v18
	v_cmp_ne_u32_e32 vcc, 0, v3
                                        ; implicit-def: $vgpr18_vgpr19
                                        ; implicit-def: $vgpr2
	s_and_saveexec_b64 s[20:21], vcc
	s_xor_b64 s[20:21], exec, s[20:21]
; %bb.4186:                             ;   in Loop: Header=BB4_3228 Depth=2
	v_cmp_lt_u64_e32 vcc, s[74:75], v[50:51]
	v_add_u32_e32 v2, 7, v20
	v_cndmask_b32_e32 v2, v3, v2, vcc
	v_cndmask_b32_e64 v3, 0, 1, vcc
	v_lshrrev_b64 v[18:19], v3, v[50:51]
; %bb.4187:                             ;   in Loop: Header=BB4_3228 Depth=2
	s_andn2_saveexec_b64 s[20:21], s[20:21]
; %bb.4188:                             ;   in Loop: Header=BB4_3228 Depth=2
	v_mov_b32_e32 v18, v50
	v_bfe_u32 v2, v50, 23, 1
	v_mov_b32_e32 v19, v51
; %bb.4189:                             ;   in Loop: Header=BB4_3228 Depth=2
	s_or_b64 exec, exec, s[20:21]
	v_lshrrev_b64 v[18:19], 20, v[18:19]
	v_cmp_gt_i32_e32 vcc, 16, v2
	v_cndmask_b32_e32 v19, 0, v19, vcc
	v_cndmask_b32_e32 v18, 7, v18, vcc
	v_cmp_eq_u32_e32 vcc, 0, v2
	v_min_i32_e32 v2, 15, v2
	v_cmp_eq_u64_e64 s[20:21], 0, v[18:19]
	v_lshlrev_b32_e32 v2, 3, v2
	v_and_b32_e32 v2, 0xf8, v2
	v_and_or_b32 v2, v18, 7, v2
	s_and_b64 s[20:21], vcc, s[20:21]
	v_cndmask_b32_e64 v2, v2, 0, s[20:21]
	v_or_b32_e32 v31, v2, v1
.LBB4_4190:                             ;   in Loop: Header=BB4_3228 Depth=2
	s_or_b64 exec, exec, s[94:95]
                                        ; implicit-def: $vgpr1
.LBB4_4191:                             ;   in Loop: Header=BB4_3228 Depth=2
	s_andn2_saveexec_b64 s[20:21], s[92:93]
; %bb.4192:                             ;   in Loop: Header=BB4_3228 Depth=2
	v_or_b32_e32 v31, 0x7e, v1
; %bb.4193:                             ;   in Loop: Header=BB4_3228 Depth=2
	s_or_b64 exec, exec, s[20:21]
                                        ; implicit-def: $vgpr2
.LBB4_4194:                             ;   in Loop: Header=BB4_3228 Depth=2
	s_andn2_saveexec_b64 s[20:21], s[90:91]
; %bb.4195:                             ;   in Loop: Header=BB4_3228 Depth=2
	v_or_b32_sdwa v31, v2, s51 dst_sel:DWORD dst_unused:UNUSED_PAD src0_sel:BYTE_3 src1_sel:DWORD
; %bb.4196:                             ;   in Loop: Header=BB4_3228 Depth=2
	s_or_b64 exec, exec, s[20:21]
	v_lshrrev_b32_e32 v19, 16, v15
	v_lshrrev_b32_e32 v18, 16, v11
	v_cmp_ne_u16_sdwa s[20:21], v19, v51 src0_sel:BYTE_0 src1_sel:DWORD
	s_and_b64 vcc, exec, s[18:19]
	s_mov_b64 s[90:91], -1
                                        ; implicit-def: $vgpr2
	s_cbranch_vccnz .LBB4_4210
; %bb.4197:                             ;   in Loop: Header=BB4_3228 Depth=2
	v_mov_b32_e32 v2, 0
	v_mov_b32_e32 v1, 0
	s_and_saveexec_b64 s[90:91], s[20:21]
	s_cbranch_execz .LBB4_4203
; %bb.4198:                             ;   in Loop: Header=BB4_3228 Depth=2
	v_cmp_ne_u16_sdwa s[94:95], v19, s49 src0_sel:BYTE_0 src1_sel:DWORD
	v_bfrev_b32_e32 v1, 1
	s_and_saveexec_b64 s[92:93], s[94:95]
	s_cbranch_execz .LBB4_4202
; %bb.4199:                             ;   in Loop: Header=BB4_3228 Depth=2
	v_bfe_u32 v3, v15, 16, 7
	v_cmp_ne_u32_e32 vcc, s51, v3
	v_mov_b32_e32 v1, 0x7f800001
	s_and_saveexec_b64 s[94:95], vcc
	s_cbranch_execz .LBB4_4201
; %bb.4200:                             ;   in Loop: Header=BB4_3228 Depth=2
	v_and_b32_e32 v1, 7, v19
	v_lshrrev_b32_e32 v20, 3, v3
	v_cmp_gt_u32_e32 vcc, 8, v3
	v_ffbh_u32_e32 v3, v1
	v_min_u32_e32 v3, 32, v3
	v_subrev_u32_e32 v26, 28, v3
	v_lshlrev_b64 v[34:35], v26, v[19:20]
	v_sub_u32_e32 v3, 29, v3
	v_and_b32_e32 v26, 7, v34
	v_cndmask_b32_e32 v3, v20, v3, vcc
	v_cndmask_b32_e32 v1, v1, v26, vcc
	v_lshlrev_b32_e32 v20, 24, v19
	v_lshlrev_b32_e32 v1, 20, v1
	v_and_b32_e32 v20, 0x80000000, v20
	v_lshl_add_u32 v3, v3, 23, v62
	v_or3_b32 v1, v20, v3, v1
.LBB4_4201:                             ;   in Loop: Header=BB4_3228 Depth=2
	s_or_b64 exec, exec, s[94:95]
.LBB4_4202:                             ;   in Loop: Header=BB4_3228 Depth=2
	s_or_b64 exec, exec, s[92:93]
.LBB4_4203:                             ;   in Loop: Header=BB4_3228 Depth=2
	s_or_b64 exec, exec, s[90:91]
	v_cmp_ne_u16_sdwa s[92:93], v18, v51 src0_sel:BYTE_0 src1_sel:DWORD
	s_and_saveexec_b64 s[90:91], s[92:93]
	s_cbranch_execz .LBB4_4209
; %bb.4204:                             ;   in Loop: Header=BB4_3228 Depth=2
	v_cmp_ne_u16_sdwa s[94:95], v18, s49 src0_sel:BYTE_0 src1_sel:DWORD
	v_bfrev_b32_e32 v2, 1
	s_and_saveexec_b64 s[92:93], s[94:95]
	s_cbranch_execz .LBB4_4208
; %bb.4205:                             ;   in Loop: Header=BB4_3228 Depth=2
	v_bfe_u32 v3, v11, 16, 7
	v_cmp_ne_u32_e32 vcc, s51, v3
	v_mov_b32_e32 v2, 0x7f800001
	s_and_saveexec_b64 s[94:95], vcc
	s_cbranch_execz .LBB4_4207
; %bb.4206:                             ;   in Loop: Header=BB4_3228 Depth=2
	v_and_b32_e32 v20, 7, v18
	v_ffbh_u32_e32 v2, v20
	v_min_u32_e32 v34, 32, v2
	v_subrev_u32_e32 v2, 28, v34
	v_lshrrev_b32_e32 v26, 3, v3
	v_cmp_gt_u32_e32 vcc, 8, v3
	v_lshlrev_b64 v[2:3], v2, v[18:19]
	v_sub_u32_e32 v3, 29, v34
	v_and_b32_e32 v2, 7, v2
	v_cndmask_b32_e32 v3, v26, v3, vcc
	v_cndmask_b32_e32 v2, v20, v2, vcc
	v_lshlrev_b32_e32 v20, 24, v18
	v_lshlrev_b32_e32 v2, 20, v2
	v_and_b32_e32 v20, 0x80000000, v20
	v_lshl_add_u32 v3, v3, 23, v62
	v_or3_b32 v2, v20, v3, v2
.LBB4_4207:                             ;   in Loop: Header=BB4_3228 Depth=2
	s_or_b64 exec, exec, s[94:95]
.LBB4_4208:                             ;   in Loop: Header=BB4_3228 Depth=2
	s_or_b64 exec, exec, s[92:93]
.LBB4_4209:                             ;   in Loop: Header=BB4_3228 Depth=2
	s_or_b64 exec, exec, s[90:91]
	v_max_f32_e32 v2, v2, v2
	v_max_f32_e32 v1, v1, v1
	;; [unrolled: 1-line block ×3, first 2 shown]
	s_mov_b64 s[90:91], 0
.LBB4_4210:                             ;   in Loop: Header=BB4_3228 Depth=2
	s_and_b64 vcc, exec, s[90:91]
	s_cbranch_vccz .LBB4_4224
; %bb.4211:                             ;   in Loop: Header=BB4_3228 Depth=2
	v_mov_b32_e32 v2, 0
	v_mov_b32_e32 v1, 0
	s_and_saveexec_b64 s[90:91], s[20:21]
	s_cbranch_execz .LBB4_4217
; %bb.4212:                             ;   in Loop: Header=BB4_3228 Depth=2
	v_cmp_ne_u16_sdwa s[92:93], v19, s49 src0_sel:BYTE_0 src1_sel:DWORD
	v_bfrev_b32_e32 v1, 1
	s_and_saveexec_b64 s[20:21], s[92:93]
	s_cbranch_execz .LBB4_4216
; %bb.4213:                             ;   in Loop: Header=BB4_3228 Depth=2
	v_bfe_u32 v3, v15, 16, 7
	v_cmp_ne_u32_e32 vcc, s51, v3
	v_mov_b32_e32 v1, 0x7f800001
	s_and_saveexec_b64 s[92:93], vcc
	s_cbranch_execz .LBB4_4215
; %bb.4214:                             ;   in Loop: Header=BB4_3228 Depth=2
	v_and_b32_e32 v1, 7, v19
	v_lshrrev_b32_e32 v20, 3, v3
	v_cmp_gt_u32_e32 vcc, 8, v3
	v_ffbh_u32_e32 v3, v1
	v_min_u32_e32 v3, 32, v3
	v_subrev_u32_e32 v26, 28, v3
	v_lshlrev_b64 v[34:35], v26, v[19:20]
	v_sub_u32_e32 v3, 29, v3
	v_and_b32_e32 v26, 7, v34
	v_cndmask_b32_e32 v3, v20, v3, vcc
	v_cndmask_b32_e32 v1, v1, v26, vcc
	v_lshlrev_b32_e32 v19, 24, v19
	v_lshlrev_b32_e32 v1, 20, v1
	v_and_b32_e32 v19, 0x80000000, v19
	v_lshl_add_u32 v3, v3, 23, v62
	v_or3_b32 v1, v19, v3, v1
.LBB4_4215:                             ;   in Loop: Header=BB4_3228 Depth=2
	s_or_b64 exec, exec, s[92:93]
.LBB4_4216:                             ;   in Loop: Header=BB4_3228 Depth=2
	s_or_b64 exec, exec, s[20:21]
.LBB4_4217:                             ;   in Loop: Header=BB4_3228 Depth=2
	s_or_b64 exec, exec, s[90:91]
	v_cmp_ne_u16_sdwa s[90:91], v18, v51 src0_sel:BYTE_0 src1_sel:DWORD
	s_and_saveexec_b64 s[20:21], s[90:91]
	s_cbranch_execz .LBB4_4223
; %bb.4218:                             ;   in Loop: Header=BB4_3228 Depth=2
	v_cmp_ne_u16_sdwa s[92:93], v18, s49 src0_sel:BYTE_0 src1_sel:DWORD
	v_bfrev_b32_e32 v2, 1
	s_and_saveexec_b64 s[90:91], s[92:93]
	s_cbranch_execz .LBB4_4222
; %bb.4219:                             ;   in Loop: Header=BB4_3228 Depth=2
	v_bfe_u32 v3, v11, 16, 7
	v_cmp_ne_u32_e32 vcc, s51, v3
	v_mov_b32_e32 v2, 0x7f800001
	s_and_saveexec_b64 s[92:93], vcc
	s_cbranch_execz .LBB4_4221
; %bb.4220:                             ;   in Loop: Header=BB4_3228 Depth=2
	v_and_b32_e32 v19, 7, v18
	v_ffbh_u32_e32 v2, v19
	v_min_u32_e32 v26, 32, v2
	v_subrev_u32_e32 v2, 28, v26
	v_lshrrev_b32_e32 v20, 3, v3
	v_cmp_gt_u32_e32 vcc, 8, v3
	v_lshlrev_b64 v[2:3], v2, v[18:19]
	v_sub_u32_e32 v3, 29, v26
	v_and_b32_e32 v2, 7, v2
	v_cndmask_b32_e32 v3, v20, v3, vcc
	v_cndmask_b32_e32 v2, v19, v2, vcc
	v_lshlrev_b32_e32 v18, 24, v18
	v_lshlrev_b32_e32 v2, 20, v2
	v_and_b32_e32 v18, 0x80000000, v18
	v_lshl_add_u32 v3, v3, 23, v62
	v_or3_b32 v2, v18, v3, v2
.LBB4_4221:                             ;   in Loop: Header=BB4_3228 Depth=2
	s_or_b64 exec, exec, s[92:93]
.LBB4_4222:                             ;   in Loop: Header=BB4_3228 Depth=2
	s_or_b64 exec, exec, s[90:91]
.LBB4_4223:                             ;   in Loop: Header=BB4_3228 Depth=2
	s_or_b64 exec, exec, s[20:21]
	v_max_f32_e32 v2, v2, v2
	v_max_f32_e32 v1, v1, v1
	v_min_f32_e32 v2, v1, v2
.LBB4_4224:                             ;   in Loop: Header=BB4_3228 Depth=2
	v_and_b32_e32 v50, 0x7f800000, v2
	v_cmp_ne_u64_e32 vcc, s[62:63], v[50:51]
                                        ; implicit-def: $vgpr20
	s_and_saveexec_b64 s[20:21], vcc
	s_xor_b64 s[90:91], exec, s[20:21]
	s_cbranch_execz .LBB4_4238
; %bb.4225:                             ;   in Loop: Header=BB4_3228 Depth=2
	v_and_b32_e32 v50, 0x7fffffff, v2
	v_cmp_gt_u64_e32 vcc, s[72:73], v[50:51]
	v_and_b32_sdwa v1, v2, s49 dst_sel:DWORD dst_unused:UNUSED_PAD src0_sel:BYTE_3 src1_sel:DWORD
                                        ; implicit-def: $vgpr20
	s_and_saveexec_b64 s[20:21], vcc
	s_xor_b64 s[92:93], exec, s[20:21]
	s_cbranch_execz .LBB4_4235
; %bb.4226:                             ;   in Loop: Header=BB4_3228 Depth=2
	v_mov_b32_e32 v20, 0
	v_cmp_ne_u32_e32 vcc, 0, v2
	s_and_saveexec_b64 s[94:95], vcc
	s_cbranch_execz .LBB4_4234
; %bb.4227:                             ;   in Loop: Header=BB4_3228 Depth=2
	v_and_b32_e32 v18, 0x7fffff, v2
	v_bfe_u32 v2, v2, 23, 8
	v_cmp_gt_u32_e64 s[20:21], s53, v2
	v_sub_u32_e32 v3, 0x79, v2
	v_cmp_eq_u32_e32 vcc, 0, v2
	v_cndmask_b32_e64 v3, 0, v3, s[20:21]
	v_mov_b32_e32 v20, 0x78
	v_or_b32_e32 v19, 0x800000, v18
	v_cndmask_b32_e32 v3, v3, v20, vcc
	v_cndmask_b32_e32 v50, v19, v18, vcc
	v_add_u32_e32 v18, 20, v3
	v_lshlrev_b64 v[18:19], v18, -1
	v_add_u32_e32 v20, 19, v3
	v_lshlrev_b64 v[34:35], v20, 1
	v_bfi_b32 v19, v19, 0, 0
	v_bfi_b32 v18, v18, 0, v50
	v_cmp_eq_u64_e64 s[20:21], v[18:19], v[34:35]
	v_lshrrev_b64 v[18:19], v3, v[50:51]
	v_mov_b32_e32 v20, v19
	v_mov_b32_e32 v19, v18
	s_and_saveexec_b64 s[30:31], s[20:21]
; %bb.4228:                             ;   in Loop: Header=BB4_3228 Depth=2
	v_bfe_u32 v19, v18, 20, 1
	v_add_co_u32_e64 v19, s[20:21], v18, v19
	v_add_co_u32_e64 v19, s[20:21], -1, v19
; %bb.4229:                             ;   in Loop: Header=BB4_3228 Depth=2
	s_or_b64 exec, exec, s[30:31]
	v_add_u32_e32 v2, 0xffffff81, v2
	v_cndmask_b32_e32 v2, v2, v49, vcc
	v_lshrrev_b32_e32 v20, 23, v18
	v_add3_u32 v20, v3, v2, v20
	v_add_u32_e32 v3, 6, v20
	v_and_b32_e32 v2, 0xfffff, v19
	v_add_u32_e32 v50, v2, v18
	v_cmp_ne_u32_e32 vcc, 0, v3
                                        ; implicit-def: $vgpr18_vgpr19
                                        ; implicit-def: $vgpr2
	s_and_saveexec_b64 s[20:21], vcc
	s_xor_b64 s[20:21], exec, s[20:21]
; %bb.4230:                             ;   in Loop: Header=BB4_3228 Depth=2
	v_cmp_lt_u64_e32 vcc, s[74:75], v[50:51]
	v_add_u32_e32 v2, 7, v20
	v_cndmask_b32_e32 v2, v3, v2, vcc
	v_cndmask_b32_e64 v3, 0, 1, vcc
	v_lshrrev_b64 v[18:19], v3, v[50:51]
; %bb.4231:                             ;   in Loop: Header=BB4_3228 Depth=2
	s_andn2_saveexec_b64 s[20:21], s[20:21]
; %bb.4232:                             ;   in Loop: Header=BB4_3228 Depth=2
	v_mov_b32_e32 v18, v50
	v_bfe_u32 v2, v50, 23, 1
	v_mov_b32_e32 v19, v51
; %bb.4233:                             ;   in Loop: Header=BB4_3228 Depth=2
	s_or_b64 exec, exec, s[20:21]
	v_lshrrev_b64 v[18:19], 20, v[18:19]
	v_cmp_gt_i32_e32 vcc, 16, v2
	v_cndmask_b32_e32 v19, 0, v19, vcc
	v_cndmask_b32_e32 v18, 7, v18, vcc
	v_cmp_eq_u32_e32 vcc, 0, v2
	v_min_i32_e32 v2, 15, v2
	v_cmp_eq_u64_e64 s[20:21], 0, v[18:19]
	v_lshlrev_b32_e32 v2, 3, v2
	v_and_b32_e32 v2, 0xf8, v2
	v_and_or_b32 v2, v18, 7, v2
	s_and_b64 s[20:21], vcc, s[20:21]
	v_cndmask_b32_e64 v2, v2, 0, s[20:21]
	v_or_b32_e32 v20, v2, v1
.LBB4_4234:                             ;   in Loop: Header=BB4_3228 Depth=2
	s_or_b64 exec, exec, s[94:95]
                                        ; implicit-def: $vgpr1
.LBB4_4235:                             ;   in Loop: Header=BB4_3228 Depth=2
	s_andn2_saveexec_b64 s[20:21], s[92:93]
; %bb.4236:                             ;   in Loop: Header=BB4_3228 Depth=2
	v_or_b32_e32 v20, 0x7e, v1
; %bb.4237:                             ;   in Loop: Header=BB4_3228 Depth=2
	s_or_b64 exec, exec, s[20:21]
                                        ; implicit-def: $vgpr2
.LBB4_4238:                             ;   in Loop: Header=BB4_3228 Depth=2
	s_andn2_saveexec_b64 s[20:21], s[90:91]
; %bb.4239:                             ;   in Loop: Header=BB4_3228 Depth=2
	v_or_b32_sdwa v20, v2, s51 dst_sel:DWORD dst_unused:UNUSED_PAD src0_sel:BYTE_3 src1_sel:DWORD
; %bb.4240:                             ;   in Loop: Header=BB4_3228 Depth=2
	s_or_b64 exec, exec, s[20:21]
	v_cmp_lt_u64_e64 s[20:21], s[76:77], v[14:15]
	v_lshrrev_b32_e32 v19, 24, v15
	v_lshrrev_b32_e32 v18, 24, v11
	s_and_b64 vcc, exec, s[18:19]
	s_mov_b64 s[90:91], -1
                                        ; implicit-def: $vgpr2
	s_cbranch_vccnz .LBB4_4254
; %bb.4241:                             ;   in Loop: Header=BB4_3228 Depth=2
	v_mov_b32_e32 v2, 0
	v_mov_b32_e32 v1, 0
	s_and_saveexec_b64 s[90:91], s[20:21]
	s_cbranch_execz .LBB4_4247
; %bb.4242:                             ;   in Loop: Header=BB4_3228 Depth=2
	v_cmp_ne_u32_e32 vcc, s49, v19
	v_bfrev_b32_e32 v1, 1
	s_and_saveexec_b64 s[92:93], vcc
	s_cbranch_execz .LBB4_4246
; %bb.4243:                             ;   in Loop: Header=BB4_3228 Depth=2
	v_bfe_u32 v3, v15, 24, 7
	v_cmp_ne_u32_e32 vcc, s51, v3
	v_mov_b32_e32 v1, 0x7f800001
	s_and_saveexec_b64 s[94:95], vcc
	s_cbranch_execz .LBB4_4245
; %bb.4244:                             ;   in Loop: Header=BB4_3228 Depth=2
	v_and_b32_e32 v1, 7, v19
	v_lshrrev_b32_e32 v14, 3, v3
	v_cmp_gt_u32_e32 vcc, 8, v3
	v_ffbh_u32_e32 v3, v1
	v_min_u32_e32 v3, 32, v3
	v_subrev_u32_e32 v26, 28, v3
	v_lshlrev_b64 v[34:35], v26, v[19:20]
	v_sub_u32_e32 v3, 29, v3
	v_and_b32_e32 v26, 7, v34
	v_cndmask_b32_e32 v3, v14, v3, vcc
	v_cndmask_b32_e32 v1, v1, v26, vcc
	v_lshlrev_b32_e32 v14, 24, v19
	v_lshlrev_b32_e32 v1, 20, v1
	v_and_b32_e32 v14, 0x80000000, v14
	v_lshl_add_u32 v3, v3, 23, v62
	v_or3_b32 v1, v14, v3, v1
.LBB4_4245:                             ;   in Loop: Header=BB4_3228 Depth=2
	s_or_b64 exec, exec, s[94:95]
.LBB4_4246:                             ;   in Loop: Header=BB4_3228 Depth=2
	s_or_b64 exec, exec, s[92:93]
.LBB4_4247:                             ;   in Loop: Header=BB4_3228 Depth=2
	s_or_b64 exec, exec, s[90:91]
	v_cmp_lt_u64_e32 vcc, s[76:77], v[10:11]
	s_and_saveexec_b64 s[90:91], vcc
	s_cbranch_execz .LBB4_4253
; %bb.4248:                             ;   in Loop: Header=BB4_3228 Depth=2
	v_cmp_ne_u32_e32 vcc, s49, v18
	v_bfrev_b32_e32 v2, 1
	s_and_saveexec_b64 s[92:93], vcc
	s_cbranch_execz .LBB4_4252
; %bb.4249:                             ;   in Loop: Header=BB4_3228 Depth=2
	v_bfe_u32 v3, v11, 24, 7
	v_cmp_ne_u32_e32 vcc, s51, v3
	v_mov_b32_e32 v2, 0x7f800001
	s_and_saveexec_b64 s[94:95], vcc
	s_cbranch_execz .LBB4_4251
; %bb.4250:                             ;   in Loop: Header=BB4_3228 Depth=2
	v_and_b32_e32 v14, 7, v18
	v_ffbh_u32_e32 v2, v14
	v_min_u32_e32 v34, 32, v2
	v_subrev_u32_e32 v2, 28, v34
	v_lshrrev_b32_e32 v26, 3, v3
	v_cmp_gt_u32_e32 vcc, 8, v3
	v_lshlrev_b64 v[2:3], v2, v[18:19]
	v_sub_u32_e32 v3, 29, v34
	v_and_b32_e32 v2, 7, v2
	v_cndmask_b32_e32 v3, v26, v3, vcc
	v_cndmask_b32_e32 v2, v14, v2, vcc
	v_lshlrev_b32_e32 v14, 24, v18
	v_lshlrev_b32_e32 v2, 20, v2
	v_and_b32_e32 v14, 0x80000000, v14
	v_lshl_add_u32 v3, v3, 23, v62
	v_or3_b32 v2, v14, v3, v2
.LBB4_4251:                             ;   in Loop: Header=BB4_3228 Depth=2
	s_or_b64 exec, exec, s[94:95]
.LBB4_4252:                             ;   in Loop: Header=BB4_3228 Depth=2
	s_or_b64 exec, exec, s[92:93]
.LBB4_4253:                             ;   in Loop: Header=BB4_3228 Depth=2
	s_or_b64 exec, exec, s[90:91]
	v_max_f32_e32 v2, v2, v2
	v_max_f32_e32 v1, v1, v1
	;; [unrolled: 1-line block ×3, first 2 shown]
	s_mov_b64 s[90:91], 0
.LBB4_4254:                             ;   in Loop: Header=BB4_3228 Depth=2
	s_and_b64 vcc, exec, s[90:91]
	s_cbranch_vccz .LBB4_4268
; %bb.4255:                             ;   in Loop: Header=BB4_3228 Depth=2
	v_mov_b32_e32 v2, 0
	v_mov_b32_e32 v1, 0
	s_and_saveexec_b64 s[90:91], s[20:21]
	s_cbranch_execz .LBB4_4261
; %bb.4256:                             ;   in Loop: Header=BB4_3228 Depth=2
	v_cmp_ne_u32_e32 vcc, s49, v19
	v_bfrev_b32_e32 v1, 1
	s_and_saveexec_b64 s[20:21], vcc
	s_cbranch_execz .LBB4_4260
; %bb.4257:                             ;   in Loop: Header=BB4_3228 Depth=2
	v_bfe_u32 v3, v15, 24, 7
	v_cmp_ne_u32_e32 vcc, s51, v3
	v_mov_b32_e32 v1, 0x7f800001
	s_and_saveexec_b64 s[92:93], vcc
	s_cbranch_execz .LBB4_4259
; %bb.4258:                             ;   in Loop: Header=BB4_3228 Depth=2
	v_and_b32_e32 v1, 7, v19
	v_lshrrev_b32_e32 v26, 3, v3
	v_cmp_gt_u32_e32 vcc, 8, v3
	v_ffbh_u32_e32 v3, v1
	v_min_u32_e32 v3, 32, v3
	v_subrev_u32_e32 v14, 28, v3
	v_lshlrev_b64 v[14:15], v14, v[19:20]
	v_sub_u32_e32 v3, 29, v3
	v_and_b32_e32 v14, 7, v14
	v_cndmask_b32_e32 v3, v26, v3, vcc
	v_cndmask_b32_e32 v1, v1, v14, vcc
	v_lshlrev_b32_e32 v14, 24, v19
	v_lshlrev_b32_e32 v1, 20, v1
	v_and_b32_e32 v14, 0x80000000, v14
	v_lshl_add_u32 v3, v3, 23, v62
	v_or3_b32 v1, v14, v3, v1
.LBB4_4259:                             ;   in Loop: Header=BB4_3228 Depth=2
	s_or_b64 exec, exec, s[92:93]
.LBB4_4260:                             ;   in Loop: Header=BB4_3228 Depth=2
	s_or_b64 exec, exec, s[20:21]
.LBB4_4261:                             ;   in Loop: Header=BB4_3228 Depth=2
	s_or_b64 exec, exec, s[90:91]
	v_cmp_lt_u64_e32 vcc, s[76:77], v[10:11]
	s_and_saveexec_b64 s[20:21], vcc
	s_cbranch_execz .LBB4_4267
; %bb.4262:                             ;   in Loop: Header=BB4_3228 Depth=2
	v_cmp_ne_u32_e32 vcc, s49, v18
	v_bfrev_b32_e32 v2, 1
	s_and_saveexec_b64 s[90:91], vcc
	s_cbranch_execz .LBB4_4266
; %bb.4263:                             ;   in Loop: Header=BB4_3228 Depth=2
	v_bfe_u32 v3, v11, 24, 7
	v_cmp_ne_u32_e32 vcc, s51, v3
	v_mov_b32_e32 v2, 0x7f800001
	s_and_saveexec_b64 s[92:93], vcc
	s_cbranch_execz .LBB4_4265
; %bb.4264:                             ;   in Loop: Header=BB4_3228 Depth=2
	v_and_b32_e32 v10, 7, v18
	v_ffbh_u32_e32 v2, v10
	v_min_u32_e32 v14, 32, v2
	v_subrev_u32_e32 v2, 28, v14
	v_lshrrev_b32_e32 v11, 3, v3
	v_cmp_gt_u32_e32 vcc, 8, v3
	v_lshlrev_b64 v[2:3], v2, v[18:19]
	v_sub_u32_e32 v3, 29, v14
	v_and_b32_e32 v2, 7, v2
	v_cndmask_b32_e32 v3, v11, v3, vcc
	v_cndmask_b32_e32 v2, v10, v2, vcc
	v_lshlrev_b32_e32 v10, 24, v18
	v_lshlrev_b32_e32 v2, 20, v2
	v_and_b32_e32 v10, 0x80000000, v10
	v_lshl_add_u32 v3, v3, 23, v62
	v_or3_b32 v2, v10, v3, v2
.LBB4_4265:                             ;   in Loop: Header=BB4_3228 Depth=2
	s_or_b64 exec, exec, s[92:93]
.LBB4_4266:                             ;   in Loop: Header=BB4_3228 Depth=2
	s_or_b64 exec, exec, s[90:91]
.LBB4_4267:                             ;   in Loop: Header=BB4_3228 Depth=2
	s_or_b64 exec, exec, s[20:21]
	v_max_f32_e32 v2, v2, v2
	v_max_f32_e32 v1, v1, v1
	v_min_f32_e32 v2, v1, v2
.LBB4_4268:                             ;   in Loop: Header=BB4_3228 Depth=2
	v_and_b32_e32 v50, 0x7f800000, v2
	v_cmp_ne_u64_e32 vcc, s[62:63], v[50:51]
                                        ; implicit-def: $vgpr26
	s_and_saveexec_b64 s[20:21], vcc
	s_xor_b64 s[90:91], exec, s[20:21]
	s_cbranch_execz .LBB4_4282
; %bb.4269:                             ;   in Loop: Header=BB4_3228 Depth=2
	v_and_b32_e32 v50, 0x7fffffff, v2
	v_cmp_gt_u64_e32 vcc, s[72:73], v[50:51]
	v_and_b32_sdwa v1, v2, s49 dst_sel:DWORD dst_unused:UNUSED_PAD src0_sel:BYTE_3 src1_sel:DWORD
                                        ; implicit-def: $vgpr26
	s_and_saveexec_b64 s[20:21], vcc
	s_xor_b64 s[92:93], exec, s[20:21]
	s_cbranch_execz .LBB4_4279
; %bb.4270:                             ;   in Loop: Header=BB4_3228 Depth=2
	v_mov_b32_e32 v26, 0
	v_cmp_ne_u32_e32 vcc, 0, v2
	s_and_saveexec_b64 s[94:95], vcc
	s_cbranch_execz .LBB4_4278
; %bb.4271:                             ;   in Loop: Header=BB4_3228 Depth=2
	v_and_b32_e32 v10, 0x7fffff, v2
	v_bfe_u32 v2, v2, 23, 8
	v_cmp_gt_u32_e64 s[20:21], s53, v2
	v_sub_u32_e32 v3, 0x79, v2
	v_cmp_eq_u32_e32 vcc, 0, v2
	v_cndmask_b32_e64 v3, 0, v3, s[20:21]
	v_mov_b32_e32 v14, 0x78
	v_or_b32_e32 v11, 0x800000, v10
	v_cndmask_b32_e32 v3, v3, v14, vcc
	v_cndmask_b32_e32 v50, v11, v10, vcc
	v_add_u32_e32 v10, 20, v3
	v_lshlrev_b64 v[10:11], v10, -1
	v_add_u32_e32 v14, 19, v3
	v_lshlrev_b64 v[14:15], v14, 1
	v_bfi_b32 v11, v11, 0, 0
	v_bfi_b32 v10, v10, 0, v50
	v_cmp_eq_u64_e64 s[20:21], v[10:11], v[14:15]
	v_lshrrev_b64 v[10:11], v3, v[50:51]
	v_mov_b32_e32 v15, v11
	v_mov_b32_e32 v14, v10
	s_and_saveexec_b64 s[30:31], s[20:21]
; %bb.4272:                             ;   in Loop: Header=BB4_3228 Depth=2
	v_bfe_u32 v11, v10, 20, 1
	v_add_co_u32_e64 v11, s[20:21], v10, v11
	v_add_co_u32_e64 v14, s[20:21], -1, v11
; %bb.4273:                             ;   in Loop: Header=BB4_3228 Depth=2
	s_or_b64 exec, exec, s[30:31]
	v_add_u32_e32 v2, 0xffffff81, v2
	v_cndmask_b32_e32 v2, v2, v49, vcc
	v_lshrrev_b32_e32 v11, 23, v10
	v_add3_u32 v15, v3, v2, v11
	v_add_u32_e32 v3, 6, v15
	v_and_b32_e32 v2, 0xfffff, v14
	v_add_u32_e32 v50, v2, v10
	v_cmp_ne_u32_e32 vcc, 0, v3
                                        ; implicit-def: $vgpr10_vgpr11
                                        ; implicit-def: $vgpr2
	s_and_saveexec_b64 s[20:21], vcc
	s_xor_b64 s[20:21], exec, s[20:21]
; %bb.4274:                             ;   in Loop: Header=BB4_3228 Depth=2
	v_cmp_lt_u64_e32 vcc, s[74:75], v[50:51]
	v_add_u32_e32 v2, 7, v15
	v_cndmask_b32_e32 v2, v3, v2, vcc
	v_cndmask_b32_e64 v3, 0, 1, vcc
	v_lshrrev_b64 v[10:11], v3, v[50:51]
; %bb.4275:                             ;   in Loop: Header=BB4_3228 Depth=2
	s_andn2_saveexec_b64 s[20:21], s[20:21]
; %bb.4276:                             ;   in Loop: Header=BB4_3228 Depth=2
	v_mov_b32_e32 v10, v50
	v_bfe_u32 v2, v50, 23, 1
	v_mov_b32_e32 v11, v51
; %bb.4277:                             ;   in Loop: Header=BB4_3228 Depth=2
	s_or_b64 exec, exec, s[20:21]
	v_lshrrev_b64 v[10:11], 20, v[10:11]
	v_cmp_gt_i32_e32 vcc, 16, v2
	v_cndmask_b32_e32 v11, 0, v11, vcc
	v_cndmask_b32_e32 v10, 7, v10, vcc
	v_cmp_eq_u32_e32 vcc, 0, v2
	v_min_i32_e32 v2, 15, v2
	v_cmp_eq_u64_e64 s[20:21], 0, v[10:11]
	v_lshlrev_b32_e32 v2, 3, v2
	v_and_b32_e32 v2, 0xf8, v2
	v_and_or_b32 v2, v10, 7, v2
	s_and_b64 s[20:21], vcc, s[20:21]
	v_cndmask_b32_e64 v2, v2, 0, s[20:21]
	v_or_b32_e32 v26, v2, v1
.LBB4_4278:                             ;   in Loop: Header=BB4_3228 Depth=2
	s_or_b64 exec, exec, s[94:95]
                                        ; implicit-def: $vgpr1
.LBB4_4279:                             ;   in Loop: Header=BB4_3228 Depth=2
	s_andn2_saveexec_b64 s[20:21], s[92:93]
; %bb.4280:                             ;   in Loop: Header=BB4_3228 Depth=2
	v_or_b32_e32 v26, 0x7e, v1
; %bb.4281:                             ;   in Loop: Header=BB4_3228 Depth=2
	s_or_b64 exec, exec, s[20:21]
                                        ; implicit-def: $vgpr2
.LBB4_4282:                             ;   in Loop: Header=BB4_3228 Depth=2
	s_andn2_saveexec_b64 s[20:21], s[90:91]
; %bb.4283:                             ;   in Loop: Header=BB4_3228 Depth=2
	v_or_b32_sdwa v26, v2, s51 dst_sel:DWORD dst_unused:UNUSED_PAD src0_sel:BYTE_3 src1_sel:DWORD
; %bb.4284:                             ;   in Loop: Header=BB4_3228 Depth=2
	s_or_b64 exec, exec, s[20:21]
	v_cmp_ne_u16_sdwa s[20:21], v16, v51 src0_sel:BYTE_0 src1_sel:DWORD
	s_and_b64 vcc, exec, s[18:19]
	s_mov_b64 s[90:91], -1
                                        ; implicit-def: $vgpr3
	s_cbranch_vccnz .LBB4_4298
; %bb.4285:                             ;   in Loop: Header=BB4_3228 Depth=2
	v_mov_b32_e32 v2, 0
	v_mov_b32_e32 v1, 0
	s_and_saveexec_b64 s[90:91], s[20:21]
	s_cbranch_execz .LBB4_4291
; %bb.4286:                             ;   in Loop: Header=BB4_3228 Depth=2
	v_cmp_ne_u16_sdwa s[94:95], v16, s49 src0_sel:BYTE_0 src1_sel:DWORD
	v_bfrev_b32_e32 v1, 1
	s_and_saveexec_b64 s[92:93], s[94:95]
	s_cbranch_execz .LBB4_4290
; %bb.4287:                             ;   in Loop: Header=BB4_3228 Depth=2
	v_and_b32_e32 v3, 0x7f, v16
	v_cmp_ne_u32_e32 vcc, s51, v3
	v_mov_b32_e32 v1, 0x7f800001
	s_and_saveexec_b64 s[94:95], vcc
	s_cbranch_execz .LBB4_4289
; %bb.4288:                             ;   in Loop: Header=BB4_3228 Depth=2
	v_and_b32_e32 v1, 7, v16
	v_ffbh_u32_e32 v1, v1
	v_min_u32_e32 v1, 32, v1
	v_lshrrev_b32_e32 v10, 3, v3
	v_cmp_gt_u32_e32 vcc, 8, v3
	v_subrev_u32_e32 v3, 28, v1
	v_sub_u32_e32 v1, 29, v1
	v_cndmask_b32_e32 v3, 0, v3, vcc
	v_cndmask_b32_e32 v1, v10, v1, vcc
	v_lshlrev_b64 v[10:11], v3, v[16:17]
	v_lshl_add_u32 v1, v1, 23, v62
	v_lshlrev_b32_e32 v3, 20, v10
	v_lshlrev_b32_e32 v10, 24, v16
	v_and_b32_e32 v3, 0x700000, v3
	v_and_b32_e32 v10, 0x80000000, v10
	v_or3_b32 v1, v10, v1, v3
.LBB4_4289:                             ;   in Loop: Header=BB4_3228 Depth=2
	s_or_b64 exec, exec, s[94:95]
.LBB4_4290:                             ;   in Loop: Header=BB4_3228 Depth=2
	s_or_b64 exec, exec, s[92:93]
.LBB4_4291:                             ;   in Loop: Header=BB4_3228 Depth=2
	s_or_b64 exec, exec, s[90:91]
	v_cmp_ne_u16_sdwa s[92:93], v12, v51 src0_sel:BYTE_0 src1_sel:DWORD
	s_and_saveexec_b64 s[90:91], s[92:93]
	s_cbranch_execz .LBB4_4297
; %bb.4292:                             ;   in Loop: Header=BB4_3228 Depth=2
	v_cmp_ne_u16_sdwa s[94:95], v12, s49 src0_sel:BYTE_0 src1_sel:DWORD
	v_bfrev_b32_e32 v2, 1
	s_and_saveexec_b64 s[92:93], s[94:95]
	s_cbranch_execz .LBB4_4296
; %bb.4293:                             ;   in Loop: Header=BB4_3228 Depth=2
	v_and_b32_e32 v3, 0x7f, v12
	v_cmp_ne_u32_e32 vcc, s51, v3
	v_mov_b32_e32 v2, 0x7f800001
	s_and_saveexec_b64 s[94:95], vcc
	s_cbranch_execz .LBB4_4295
; %bb.4294:                             ;   in Loop: Header=BB4_3228 Depth=2
	v_and_b32_e32 v2, 7, v12
	v_ffbh_u32_e32 v2, v2
	v_min_u32_e32 v2, 32, v2
	v_lshrrev_b32_e32 v10, 3, v3
	v_cmp_gt_u32_e32 vcc, 8, v3
	v_subrev_u32_e32 v3, 28, v2
	v_sub_u32_e32 v2, 29, v2
	v_cndmask_b32_e32 v10, v10, v2, vcc
	v_cndmask_b32_e32 v2, 0, v3, vcc
	v_lshlrev_b64 v[2:3], v2, v[12:13]
	v_lshlrev_b32_e32 v3, 24, v12
	v_lshlrev_b32_e32 v2, 20, v2
	v_and_b32_e32 v2, 0x700000, v2
	v_and_b32_e32 v3, 0x80000000, v3
	v_lshl_add_u32 v10, v10, 23, v62
	v_or3_b32 v2, v3, v10, v2
.LBB4_4295:                             ;   in Loop: Header=BB4_3228 Depth=2
	s_or_b64 exec, exec, s[94:95]
.LBB4_4296:                             ;   in Loop: Header=BB4_3228 Depth=2
	s_or_b64 exec, exec, s[92:93]
.LBB4_4297:                             ;   in Loop: Header=BB4_3228 Depth=2
	s_or_b64 exec, exec, s[90:91]
	v_max_f32_e32 v2, v2, v2
	v_max_f32_e32 v1, v1, v1
	;; [unrolled: 1-line block ×3, first 2 shown]
	s_mov_b64 s[90:91], 0
.LBB4_4298:                             ;   in Loop: Header=BB4_3228 Depth=2
	s_and_b64 vcc, exec, s[90:91]
	s_cbranch_vccz .LBB4_4312
; %bb.4299:                             ;   in Loop: Header=BB4_3228 Depth=2
	v_mov_b32_e32 v2, 0
	v_mov_b32_e32 v1, 0
	s_and_saveexec_b64 s[90:91], s[20:21]
	s_cbranch_execz .LBB4_4305
; %bb.4300:                             ;   in Loop: Header=BB4_3228 Depth=2
	v_cmp_ne_u16_sdwa s[92:93], v16, s49 src0_sel:BYTE_0 src1_sel:DWORD
	v_bfrev_b32_e32 v1, 1
	s_and_saveexec_b64 s[20:21], s[92:93]
	s_cbranch_execz .LBB4_4304
; %bb.4301:                             ;   in Loop: Header=BB4_3228 Depth=2
	v_and_b32_e32 v3, 0x7f, v16
	v_cmp_ne_u32_e32 vcc, s51, v3
	v_mov_b32_e32 v1, 0x7f800001
	s_and_saveexec_b64 s[92:93], vcc
	s_cbranch_execz .LBB4_4303
; %bb.4302:                             ;   in Loop: Header=BB4_3228 Depth=2
	v_and_b32_e32 v1, 7, v16
	v_ffbh_u32_e32 v1, v1
	v_min_u32_e32 v1, 32, v1
	v_lshrrev_b32_e32 v10, 3, v3
	v_cmp_gt_u32_e32 vcc, 8, v3
	v_subrev_u32_e32 v3, 28, v1
	v_sub_u32_e32 v1, 29, v1
	v_cndmask_b32_e32 v3, 0, v3, vcc
	v_cndmask_b32_e32 v1, v10, v1, vcc
	v_lshlrev_b64 v[10:11], v3, v[16:17]
	v_lshl_add_u32 v1, v1, 23, v62
	v_lshlrev_b32_e32 v3, 20, v10
	v_lshlrev_b32_e32 v10, 24, v16
	v_and_b32_e32 v3, 0x700000, v3
	v_and_b32_e32 v10, 0x80000000, v10
	v_or3_b32 v1, v10, v1, v3
.LBB4_4303:                             ;   in Loop: Header=BB4_3228 Depth=2
	s_or_b64 exec, exec, s[92:93]
.LBB4_4304:                             ;   in Loop: Header=BB4_3228 Depth=2
	s_or_b64 exec, exec, s[20:21]
.LBB4_4305:                             ;   in Loop: Header=BB4_3228 Depth=2
	s_or_b64 exec, exec, s[90:91]
	v_cmp_ne_u16_sdwa s[90:91], v12, v51 src0_sel:BYTE_0 src1_sel:DWORD
	s_and_saveexec_b64 s[20:21], s[90:91]
	s_cbranch_execz .LBB4_4311
; %bb.4306:                             ;   in Loop: Header=BB4_3228 Depth=2
	v_cmp_ne_u16_sdwa s[92:93], v12, s49 src0_sel:BYTE_0 src1_sel:DWORD
	v_bfrev_b32_e32 v2, 1
	s_and_saveexec_b64 s[90:91], s[92:93]
	s_cbranch_execz .LBB4_4310
; %bb.4307:                             ;   in Loop: Header=BB4_3228 Depth=2
	v_and_b32_e32 v3, 0x7f, v12
	v_cmp_ne_u32_e32 vcc, s51, v3
	v_mov_b32_e32 v2, 0x7f800001
	s_and_saveexec_b64 s[92:93], vcc
	s_cbranch_execz .LBB4_4309
; %bb.4308:                             ;   in Loop: Header=BB4_3228 Depth=2
	v_and_b32_e32 v2, 7, v12
	v_ffbh_u32_e32 v2, v2
	v_min_u32_e32 v2, 32, v2
	v_lshrrev_b32_e32 v10, 3, v3
	v_cmp_gt_u32_e32 vcc, 8, v3
	v_subrev_u32_e32 v3, 28, v2
	v_sub_u32_e32 v2, 29, v2
	v_cndmask_b32_e32 v10, v10, v2, vcc
	v_cndmask_b32_e32 v2, 0, v3, vcc
	v_lshlrev_b64 v[2:3], v2, v[12:13]
	v_lshlrev_b32_e32 v3, 24, v12
	v_lshlrev_b32_e32 v2, 20, v2
	v_and_b32_e32 v2, 0x700000, v2
	v_and_b32_e32 v3, 0x80000000, v3
	v_lshl_add_u32 v10, v10, 23, v62
	v_or3_b32 v2, v3, v10, v2
.LBB4_4309:                             ;   in Loop: Header=BB4_3228 Depth=2
	s_or_b64 exec, exec, s[92:93]
.LBB4_4310:                             ;   in Loop: Header=BB4_3228 Depth=2
	s_or_b64 exec, exec, s[90:91]
.LBB4_4311:                             ;   in Loop: Header=BB4_3228 Depth=2
	s_or_b64 exec, exec, s[20:21]
	v_max_f32_e32 v2, v2, v2
	v_max_f32_e32 v1, v1, v1
	v_min_f32_e32 v3, v1, v2
.LBB4_4312:                             ;   in Loop: Header=BB4_3228 Depth=2
	v_and_b32_e32 v50, 0x7f800000, v3
	v_cmp_ne_u64_e32 vcc, s[62:63], v[50:51]
                                        ; implicit-def: $vgpr1
	s_and_saveexec_b64 s[20:21], vcc
	s_xor_b64 s[90:91], exec, s[20:21]
	s_cbranch_execz .LBB4_4326
; %bb.4313:                             ;   in Loop: Header=BB4_3228 Depth=2
	v_and_b32_e32 v50, 0x7fffffff, v3
	v_cmp_gt_u64_e32 vcc, s[72:73], v[50:51]
	v_and_b32_sdwa v2, v3, s49 dst_sel:DWORD dst_unused:UNUSED_PAD src0_sel:BYTE_3 src1_sel:DWORD
                                        ; implicit-def: $vgpr1
	s_and_saveexec_b64 s[20:21], vcc
	s_xor_b64 s[92:93], exec, s[20:21]
	s_cbranch_execz .LBB4_4323
; %bb.4314:                             ;   in Loop: Header=BB4_3228 Depth=2
	v_mov_b32_e32 v1, 0
	v_cmp_ne_u32_e32 vcc, 0, v3
	s_and_saveexec_b64 s[94:95], vcc
	s_cbranch_execz .LBB4_4322
; %bb.4315:                             ;   in Loop: Header=BB4_3228 Depth=2
	v_bfe_u32 v1, v3, 23, 8
	v_and_b32_e32 v10, 0x7fffff, v3
	v_cmp_gt_u32_e64 s[20:21], s53, v1
	v_sub_u32_e32 v3, 0x79, v1
	v_cmp_eq_u32_e32 vcc, 0, v1
	v_cndmask_b32_e64 v3, 0, v3, s[20:21]
	v_mov_b32_e32 v14, 0x78
	v_or_b32_e32 v11, 0x800000, v10
	v_cndmask_b32_e32 v3, v3, v14, vcc
	v_cndmask_b32_e32 v50, v11, v10, vcc
	v_add_u32_e32 v10, 20, v3
	v_lshlrev_b64 v[10:11], v10, -1
	v_add_u32_e32 v14, 19, v3
	v_lshlrev_b64 v[14:15], v14, 1
	v_bfi_b32 v11, v11, 0, 0
	v_bfi_b32 v10, v10, 0, v50
	v_cmp_eq_u64_e64 s[20:21], v[10:11], v[14:15]
	v_lshrrev_b64 v[10:11], v3, v[50:51]
	v_mov_b32_e32 v15, v11
	v_mov_b32_e32 v14, v10
	s_and_saveexec_b64 s[30:31], s[20:21]
; %bb.4316:                             ;   in Loop: Header=BB4_3228 Depth=2
	v_bfe_u32 v11, v10, 20, 1
	v_add_co_u32_e64 v11, s[20:21], v10, v11
	v_add_co_u32_e64 v14, s[20:21], -1, v11
; %bb.4317:                             ;   in Loop: Header=BB4_3228 Depth=2
	s_or_b64 exec, exec, s[30:31]
	v_add_u32_e32 v1, 0xffffff81, v1
	v_cndmask_b32_e32 v1, v1, v49, vcc
	v_lshrrev_b32_e32 v11, 23, v10
	v_add3_u32 v15, v3, v1, v11
	v_add_u32_e32 v3, 6, v15
	v_and_b32_e32 v1, 0xfffff, v14
	v_add_u32_e32 v50, v1, v10
	v_cmp_ne_u32_e32 vcc, 0, v3
                                        ; implicit-def: $vgpr10_vgpr11
                                        ; implicit-def: $vgpr1
	s_and_saveexec_b64 s[20:21], vcc
	s_xor_b64 s[20:21], exec, s[20:21]
; %bb.4318:                             ;   in Loop: Header=BB4_3228 Depth=2
	v_cmp_lt_u64_e32 vcc, s[74:75], v[50:51]
	v_add_u32_e32 v1, 7, v15
	v_cndmask_b32_e32 v1, v3, v1, vcc
	v_cndmask_b32_e64 v3, 0, 1, vcc
	v_lshrrev_b64 v[10:11], v3, v[50:51]
; %bb.4319:                             ;   in Loop: Header=BB4_3228 Depth=2
	s_andn2_saveexec_b64 s[20:21], s[20:21]
; %bb.4320:                             ;   in Loop: Header=BB4_3228 Depth=2
	v_mov_b32_e32 v10, v50
	v_bfe_u32 v1, v50, 23, 1
	v_mov_b32_e32 v11, v51
; %bb.4321:                             ;   in Loop: Header=BB4_3228 Depth=2
	s_or_b64 exec, exec, s[20:21]
	v_lshrrev_b64 v[10:11], 20, v[10:11]
	v_cmp_gt_i32_e32 vcc, 16, v1
	v_cndmask_b32_e32 v11, 0, v11, vcc
	v_cndmask_b32_e32 v10, 7, v10, vcc
	v_cmp_eq_u32_e32 vcc, 0, v1
	v_min_i32_e32 v1, 15, v1
	v_cmp_eq_u64_e64 s[20:21], 0, v[10:11]
	v_lshlrev_b32_e32 v1, 3, v1
	v_and_b32_e32 v1, 0xf8, v1
	v_and_or_b32 v1, v10, 7, v1
	s_and_b64 s[20:21], vcc, s[20:21]
	v_cndmask_b32_e64 v1, v1, 0, s[20:21]
	v_or_b32_e32 v1, v1, v2
.LBB4_4322:                             ;   in Loop: Header=BB4_3228 Depth=2
	s_or_b64 exec, exec, s[94:95]
                                        ; implicit-def: $vgpr2
.LBB4_4323:                             ;   in Loop: Header=BB4_3228 Depth=2
	s_andn2_saveexec_b64 s[20:21], s[92:93]
; %bb.4324:                             ;   in Loop: Header=BB4_3228 Depth=2
	v_or_b32_e32 v1, 0x7e, v2
; %bb.4325:                             ;   in Loop: Header=BB4_3228 Depth=2
	s_or_b64 exec, exec, s[20:21]
                                        ; implicit-def: $vgpr3
.LBB4_4326:                             ;   in Loop: Header=BB4_3228 Depth=2
	s_andn2_saveexec_b64 s[20:21], s[90:91]
; %bb.4327:                             ;   in Loop: Header=BB4_3228 Depth=2
	v_or_b32_sdwa v1, v3, s51 dst_sel:DWORD dst_unused:UNUSED_PAD src0_sel:BYTE_3 src1_sel:DWORD
; %bb.4328:                             ;   in Loop: Header=BB4_3228 Depth=2
	s_or_b64 exec, exec, s[20:21]
	v_lshrrev_b16_e32 v11, 8, v16
	v_lshrrev_b16_e32 v10, 8, v12
	v_cmp_ne_u16_e64 s[20:21], 0, v11
	s_and_b64 vcc, exec, s[18:19]
	s_mov_b64 s[90:91], -1
                                        ; implicit-def: $vgpr14
	s_cbranch_vccnz .LBB4_4342
; %bb.4329:                             ;   in Loop: Header=BB4_3228 Depth=2
	v_mov_b32_e32 v3, 0
	v_mov_b32_e32 v2, 0
	s_and_saveexec_b64 s[90:91], s[20:21]
	s_cbranch_execz .LBB4_4335
; %bb.4330:                             ;   in Loop: Header=BB4_3228 Depth=2
	v_cmp_ne_u16_e32 vcc, s49, v11
	v_bfrev_b32_e32 v2, 1
	s_and_saveexec_b64 s[92:93], vcc
	s_cbranch_execz .LBB4_4334
; %bb.4331:                             ;   in Loop: Header=BB4_3228 Depth=2
	v_and_b32_e32 v14, 0x7f, v11
	v_cmp_ne_u32_e32 vcc, s51, v14
	v_mov_b32_e32 v2, 0x7f800001
	s_and_saveexec_b64 s[94:95], vcc
	s_cbranch_execz .LBB4_4333
; %bb.4332:                             ;   in Loop: Header=BB4_3228 Depth=2
	v_and_b32_e32 v2, 7, v11
	v_lshrrev_b32_e32 v18, 3, v14
	v_cmp_gt_u32_e32 vcc, 8, v14
	v_ffbh_u32_e32 v14, v2
	v_min_u32_e32 v19, 32, v14
	v_subrev_u32_e32 v14, 28, v19
	v_lshlrev_b64 v[14:15], v14, v[11:12]
	v_sub_u32_e32 v15, 29, v19
	v_and_b32_e32 v14, 7, v14
	v_cndmask_b32_e32 v15, v18, v15, vcc
	v_cndmask_b32_e32 v2, v2, v14, vcc
	v_lshlrev_b32_e32 v14, 16, v16
	v_lshlrev_b32_e32 v2, 20, v2
	v_and_b32_e32 v14, 0x80000000, v14
	v_lshl_add_u32 v15, v15, 23, v62
	v_or3_b32 v2, v14, v15, v2
.LBB4_4333:                             ;   in Loop: Header=BB4_3228 Depth=2
	s_or_b64 exec, exec, s[94:95]
.LBB4_4334:                             ;   in Loop: Header=BB4_3228 Depth=2
	s_or_b64 exec, exec, s[92:93]
.LBB4_4335:                             ;   in Loop: Header=BB4_3228 Depth=2
	s_or_b64 exec, exec, s[90:91]
	v_cmp_ne_u16_e32 vcc, 0, v10
	s_and_saveexec_b64 s[90:91], vcc
	s_cbranch_execz .LBB4_4341
; %bb.4336:                             ;   in Loop: Header=BB4_3228 Depth=2
	v_cmp_ne_u16_e32 vcc, s49, v10
	v_bfrev_b32_e32 v3, 1
	s_and_saveexec_b64 s[92:93], vcc
	s_cbranch_execz .LBB4_4340
; %bb.4337:                             ;   in Loop: Header=BB4_3228 Depth=2
	v_and_b32_e32 v14, 0x7f, v10
	v_cmp_ne_u32_e32 vcc, s51, v14
	v_mov_b32_e32 v3, 0x7f800001
	s_and_saveexec_b64 s[94:95], vcc
	s_cbranch_execz .LBB4_4339
; %bb.4338:                             ;   in Loop: Header=BB4_3228 Depth=2
	v_and_b32_e32 v3, 7, v10
	v_lshrrev_b32_e32 v18, 3, v14
	v_cmp_gt_u32_e32 vcc, 8, v14
	v_ffbh_u32_e32 v14, v3
	v_min_u32_e32 v19, 32, v14
	v_subrev_u32_e32 v14, 28, v19
	v_lshlrev_b64 v[14:15], v14, v[10:11]
	v_sub_u32_e32 v15, 29, v19
	v_and_b32_e32 v14, 7, v14
	v_cndmask_b32_e32 v15, v18, v15, vcc
	v_cndmask_b32_e32 v3, v3, v14, vcc
	v_lshlrev_b32_e32 v14, 16, v12
	v_lshlrev_b32_e32 v3, 20, v3
	v_and_b32_e32 v14, 0x80000000, v14
	v_lshl_add_u32 v15, v15, 23, v62
	v_or3_b32 v3, v14, v15, v3
.LBB4_4339:                             ;   in Loop: Header=BB4_3228 Depth=2
	s_or_b64 exec, exec, s[94:95]
.LBB4_4340:                             ;   in Loop: Header=BB4_3228 Depth=2
	s_or_b64 exec, exec, s[92:93]
.LBB4_4341:                             ;   in Loop: Header=BB4_3228 Depth=2
	s_or_b64 exec, exec, s[90:91]
	v_max_f32_e32 v3, v3, v3
	v_max_f32_e32 v2, v2, v2
	v_max_f32_e32 v14, v2, v3
	s_mov_b64 s[90:91], 0
.LBB4_4342:                             ;   in Loop: Header=BB4_3228 Depth=2
	s_and_b64 vcc, exec, s[90:91]
	s_cbranch_vccz .LBB4_4356
; %bb.4343:                             ;   in Loop: Header=BB4_3228 Depth=2
	v_mov_b32_e32 v3, 0
	v_mov_b32_e32 v2, 0
	s_and_saveexec_b64 s[90:91], s[20:21]
	s_cbranch_execz .LBB4_4349
; %bb.4344:                             ;   in Loop: Header=BB4_3228 Depth=2
	v_cmp_ne_u16_e32 vcc, s49, v11
	v_bfrev_b32_e32 v2, 1
	s_and_saveexec_b64 s[20:21], vcc
	s_cbranch_execz .LBB4_4348
; %bb.4345:                             ;   in Loop: Header=BB4_3228 Depth=2
	v_and_b32_e32 v14, 0x7f, v11
	v_cmp_ne_u32_e32 vcc, s51, v14
	v_mov_b32_e32 v2, 0x7f800001
	s_and_saveexec_b64 s[92:93], vcc
	s_cbranch_execz .LBB4_4347
; %bb.4346:                             ;   in Loop: Header=BB4_3228 Depth=2
	v_and_b32_e32 v2, 7, v11
	v_lshrrev_b32_e32 v18, 3, v14
	v_cmp_gt_u32_e32 vcc, 8, v14
	v_ffbh_u32_e32 v14, v2
	v_min_u32_e32 v19, 32, v14
	v_subrev_u32_e32 v14, 28, v19
	v_lshlrev_b64 v[14:15], v14, v[11:12]
	v_sub_u32_e32 v11, 29, v19
	v_and_b32_e32 v14, 7, v14
	v_cndmask_b32_e32 v11, v18, v11, vcc
	v_cndmask_b32_e32 v2, v2, v14, vcc
	v_lshlrev_b32_e32 v14, 16, v16
	v_lshlrev_b32_e32 v2, 20, v2
	v_and_b32_e32 v14, 0x80000000, v14
	v_lshl_add_u32 v11, v11, 23, v62
	v_or3_b32 v2, v14, v11, v2
.LBB4_4347:                             ;   in Loop: Header=BB4_3228 Depth=2
	s_or_b64 exec, exec, s[92:93]
.LBB4_4348:                             ;   in Loop: Header=BB4_3228 Depth=2
	s_or_b64 exec, exec, s[20:21]
.LBB4_4349:                             ;   in Loop: Header=BB4_3228 Depth=2
	s_or_b64 exec, exec, s[90:91]
	v_cmp_ne_u16_e32 vcc, 0, v10
	s_and_saveexec_b64 s[20:21], vcc
	s_cbranch_execz .LBB4_4355
; %bb.4350:                             ;   in Loop: Header=BB4_3228 Depth=2
	v_cmp_ne_u16_e32 vcc, s49, v10
	v_bfrev_b32_e32 v3, 1
	s_and_saveexec_b64 s[90:91], vcc
	s_cbranch_execz .LBB4_4354
; %bb.4351:                             ;   in Loop: Header=BB4_3228 Depth=2
	v_and_b32_e32 v11, 0x7f, v10
	v_cmp_ne_u32_e32 vcc, s51, v11
	v_mov_b32_e32 v3, 0x7f800001
	s_and_saveexec_b64 s[92:93], vcc
	s_cbranch_execz .LBB4_4353
; %bb.4352:                             ;   in Loop: Header=BB4_3228 Depth=2
	v_and_b32_e32 v3, 7, v10
	v_lshrrev_b32_e32 v14, 3, v11
	v_cmp_gt_u32_e32 vcc, 8, v11
	v_ffbh_u32_e32 v11, v3
	v_min_u32_e32 v15, 32, v11
	v_subrev_u32_e32 v11, 28, v15
	v_lshlrev_b64 v[10:11], v11, v[10:11]
	v_sub_u32_e32 v11, 29, v15
	v_and_b32_e32 v10, 7, v10
	v_cndmask_b32_e32 v11, v14, v11, vcc
	v_cndmask_b32_e32 v3, v3, v10, vcc
	v_lshlrev_b32_e32 v10, 16, v12
	v_lshlrev_b32_e32 v3, 20, v3
	v_and_b32_e32 v10, 0x80000000, v10
	v_lshl_add_u32 v11, v11, 23, v62
	v_or3_b32 v3, v10, v11, v3
.LBB4_4353:                             ;   in Loop: Header=BB4_3228 Depth=2
	s_or_b64 exec, exec, s[92:93]
.LBB4_4354:                             ;   in Loop: Header=BB4_3228 Depth=2
	s_or_b64 exec, exec, s[90:91]
.LBB4_4355:                             ;   in Loop: Header=BB4_3228 Depth=2
	s_or_b64 exec, exec, s[20:21]
	v_max_f32_e32 v3, v3, v3
	v_max_f32_e32 v2, v2, v2
	v_min_f32_e32 v14, v2, v3
.LBB4_4356:                             ;   in Loop: Header=BB4_3228 Depth=2
	v_and_b32_e32 v50, 0x7f800000, v14
	v_cmp_ne_u64_e32 vcc, s[62:63], v[50:51]
                                        ; implicit-def: $vgpr2
	s_and_saveexec_b64 s[20:21], vcc
	s_xor_b64 s[90:91], exec, s[20:21]
	s_cbranch_execz .LBB4_4370
; %bb.4357:                             ;   in Loop: Header=BB4_3228 Depth=2
	v_and_b32_e32 v50, 0x7fffffff, v14
	v_cmp_gt_u64_e32 vcc, s[72:73], v[50:51]
	v_and_b32_sdwa v3, v14, s49 dst_sel:DWORD dst_unused:UNUSED_PAD src0_sel:BYTE_3 src1_sel:DWORD
                                        ; implicit-def: $vgpr2
	s_and_saveexec_b64 s[20:21], vcc
	s_xor_b64 s[92:93], exec, s[20:21]
	s_cbranch_execz .LBB4_4367
; %bb.4358:                             ;   in Loop: Header=BB4_3228 Depth=2
	v_mov_b32_e32 v2, 0
	v_cmp_ne_u32_e32 vcc, 0, v14
	s_and_saveexec_b64 s[94:95], vcc
	s_cbranch_execz .LBB4_4366
; %bb.4359:                             ;   in Loop: Header=BB4_3228 Depth=2
	v_bfe_u32 v2, v14, 23, 8
	v_cmp_gt_u32_e64 s[20:21], s53, v2
	v_sub_u32_e32 v11, 0x79, v2
	v_and_b32_e32 v10, 0x7fffff, v14
	v_cmp_eq_u32_e32 vcc, 0, v2
	v_cndmask_b32_e64 v11, 0, v11, s[20:21]
	v_mov_b32_e32 v15, 0x78
	v_or_b32_e32 v14, 0x800000, v10
	v_cndmask_b32_e32 v18, v11, v15, vcc
	v_cndmask_b32_e32 v50, v14, v10, vcc
	v_add_u32_e32 v10, 20, v18
	v_lshlrev_b64 v[10:11], v10, -1
	v_add_u32_e32 v14, 19, v18
	v_lshlrev_b64 v[14:15], v14, 1
	v_bfi_b32 v11, v11, 0, 0
	v_bfi_b32 v10, v10, 0, v50
	v_cmp_eq_u64_e64 s[20:21], v[10:11], v[14:15]
	v_lshrrev_b64 v[10:11], v18, v[50:51]
	v_mov_b32_e32 v15, v11
	v_mov_b32_e32 v14, v10
	s_and_saveexec_b64 s[30:31], s[20:21]
; %bb.4360:                             ;   in Loop: Header=BB4_3228 Depth=2
	v_bfe_u32 v11, v10, 20, 1
	v_add_co_u32_e64 v11, s[20:21], v10, v11
	v_add_co_u32_e64 v14, s[20:21], -1, v11
; %bb.4361:                             ;   in Loop: Header=BB4_3228 Depth=2
	s_or_b64 exec, exec, s[30:31]
	v_add_u32_e32 v2, 0xffffff81, v2
	v_cndmask_b32_e32 v2, v2, v49, vcc
	v_lshrrev_b32_e32 v11, 23, v10
	v_add3_u32 v18, v18, v2, v11
	v_add_u32_e32 v15, 6, v18
	v_and_b32_e32 v2, 0xfffff, v14
	v_add_u32_e32 v50, v2, v10
	v_cmp_ne_u32_e32 vcc, 0, v15
                                        ; implicit-def: $vgpr10_vgpr11
                                        ; implicit-def: $vgpr2
	s_and_saveexec_b64 s[20:21], vcc
	s_xor_b64 s[20:21], exec, s[20:21]
; %bb.4362:                             ;   in Loop: Header=BB4_3228 Depth=2
	v_cmp_lt_u64_e32 vcc, s[74:75], v[50:51]
	v_add_u32_e32 v2, 7, v18
	v_cndmask_b32_e64 v10, 0, 1, vcc
	v_lshrrev_b64 v[10:11], v10, v[50:51]
	v_cndmask_b32_e32 v2, v15, v2, vcc
; %bb.4363:                             ;   in Loop: Header=BB4_3228 Depth=2
	s_andn2_saveexec_b64 s[20:21], s[20:21]
; %bb.4364:                             ;   in Loop: Header=BB4_3228 Depth=2
	v_mov_b32_e32 v10, v50
	v_bfe_u32 v2, v50, 23, 1
	v_mov_b32_e32 v11, v51
; %bb.4365:                             ;   in Loop: Header=BB4_3228 Depth=2
	s_or_b64 exec, exec, s[20:21]
	v_lshrrev_b64 v[10:11], 20, v[10:11]
	v_cmp_gt_i32_e32 vcc, 16, v2
	v_cndmask_b32_e32 v11, 0, v11, vcc
	v_cndmask_b32_e32 v10, 7, v10, vcc
	v_cmp_eq_u32_e32 vcc, 0, v2
	v_min_i32_e32 v2, 15, v2
	v_cmp_eq_u64_e64 s[20:21], 0, v[10:11]
	v_lshlrev_b32_e32 v2, 3, v2
	v_and_b32_e32 v2, 0xf8, v2
	v_and_or_b32 v2, v10, 7, v2
	s_and_b64 s[20:21], vcc, s[20:21]
	v_cndmask_b32_e64 v2, v2, 0, s[20:21]
	v_or_b32_e32 v2, v2, v3
.LBB4_4366:                             ;   in Loop: Header=BB4_3228 Depth=2
	s_or_b64 exec, exec, s[94:95]
                                        ; implicit-def: $vgpr3
.LBB4_4367:                             ;   in Loop: Header=BB4_3228 Depth=2
	s_andn2_saveexec_b64 s[20:21], s[92:93]
; %bb.4368:                             ;   in Loop: Header=BB4_3228 Depth=2
	v_or_b32_e32 v2, 0x7e, v3
; %bb.4369:                             ;   in Loop: Header=BB4_3228 Depth=2
	s_or_b64 exec, exec, s[20:21]
                                        ; implicit-def: $vgpr14
.LBB4_4370:                             ;   in Loop: Header=BB4_3228 Depth=2
	s_andn2_saveexec_b64 s[20:21], s[90:91]
; %bb.4371:                             ;   in Loop: Header=BB4_3228 Depth=2
	v_or_b32_sdwa v2, v14, s51 dst_sel:DWORD dst_unused:UNUSED_PAD src0_sel:BYTE_3 src1_sel:DWORD
; %bb.4372:                             ;   in Loop: Header=BB4_3228 Depth=2
	s_or_b64 exec, exec, s[20:21]
	v_lshrrev_b32_e32 v11, 16, v16
	v_lshrrev_b32_e32 v10, 16, v12
	v_cmp_ne_u16_sdwa s[20:21], v11, v51 src0_sel:BYTE_0 src1_sel:DWORD
	s_and_b64 vcc, exec, s[18:19]
	s_mov_b64 s[90:91], -1
                                        ; implicit-def: $vgpr14
	s_cbranch_vccnz .LBB4_4386
; %bb.4373:                             ;   in Loop: Header=BB4_3228 Depth=2
	v_mov_b32_e32 v14, 0
	v_mov_b32_e32 v3, 0
	s_and_saveexec_b64 s[90:91], s[20:21]
	s_cbranch_execz .LBB4_4379
; %bb.4374:                             ;   in Loop: Header=BB4_3228 Depth=2
	v_cmp_ne_u16_sdwa s[94:95], v11, s49 src0_sel:BYTE_0 src1_sel:DWORD
	v_bfrev_b32_e32 v3, 1
	s_and_saveexec_b64 s[92:93], s[94:95]
	s_cbranch_execz .LBB4_4378
; %bb.4375:                             ;   in Loop: Header=BB4_3228 Depth=2
	v_bfe_u32 v15, v16, 16, 7
	v_cmp_ne_u32_e32 vcc, s51, v15
	v_mov_b32_e32 v3, 0x7f800001
	s_and_saveexec_b64 s[94:95], vcc
	s_cbranch_execz .LBB4_4377
; %bb.4376:                             ;   in Loop: Header=BB4_3228 Depth=2
	v_and_b32_e32 v3, 7, v11
	v_lshrrev_b32_e32 v34, 3, v15
	v_cmp_gt_u32_e32 vcc, 8, v15
	v_ffbh_u32_e32 v15, v3
	v_min_u32_e32 v15, 32, v15
	v_subrev_u32_e32 v18, 28, v15
	v_lshlrev_b64 v[18:19], v18, v[11:12]
	v_sub_u32_e32 v15, 29, v15
	v_and_b32_e32 v18, 7, v18
	v_cndmask_b32_e32 v15, v34, v15, vcc
	v_cndmask_b32_e32 v3, v3, v18, vcc
	v_lshlrev_b32_e32 v18, 24, v11
	v_lshlrev_b32_e32 v3, 20, v3
	v_and_b32_e32 v18, 0x80000000, v18
	v_lshl_add_u32 v15, v15, 23, v62
	v_or3_b32 v3, v18, v15, v3
.LBB4_4377:                             ;   in Loop: Header=BB4_3228 Depth=2
	s_or_b64 exec, exec, s[94:95]
.LBB4_4378:                             ;   in Loop: Header=BB4_3228 Depth=2
	s_or_b64 exec, exec, s[92:93]
.LBB4_4379:                             ;   in Loop: Header=BB4_3228 Depth=2
	s_or_b64 exec, exec, s[90:91]
	v_cmp_ne_u16_sdwa s[92:93], v10, v51 src0_sel:BYTE_0 src1_sel:DWORD
	s_and_saveexec_b64 s[90:91], s[92:93]
	s_cbranch_execz .LBB4_4385
; %bb.4380:                             ;   in Loop: Header=BB4_3228 Depth=2
	v_cmp_ne_u16_sdwa s[94:95], v10, s49 src0_sel:BYTE_0 src1_sel:DWORD
	v_bfrev_b32_e32 v14, 1
	s_and_saveexec_b64 s[92:93], s[94:95]
	s_cbranch_execz .LBB4_4384
; %bb.4381:                             ;   in Loop: Header=BB4_3228 Depth=2
	v_bfe_u32 v15, v12, 16, 7
	v_cmp_ne_u32_e32 vcc, s51, v15
	v_mov_b32_e32 v14, 0x7f800001
	s_and_saveexec_b64 s[94:95], vcc
	s_cbranch_execz .LBB4_4383
; %bb.4382:                             ;   in Loop: Header=BB4_3228 Depth=2
	v_and_b32_e32 v18, 7, v10
	v_ffbh_u32_e32 v14, v18
	v_min_u32_e32 v34, 32, v14
	v_subrev_u32_e32 v14, 28, v34
	v_lshrrev_b32_e32 v19, 3, v15
	v_cmp_gt_u32_e32 vcc, 8, v15
	v_lshlrev_b64 v[14:15], v14, v[10:11]
	v_sub_u32_e32 v15, 29, v34
	v_and_b32_e32 v14, 7, v14
	v_cndmask_b32_e32 v15, v19, v15, vcc
	v_cndmask_b32_e32 v14, v18, v14, vcc
	v_lshlrev_b32_e32 v18, 24, v10
	v_lshlrev_b32_e32 v14, 20, v14
	v_and_b32_e32 v18, 0x80000000, v18
	v_lshl_add_u32 v15, v15, 23, v62
	v_or3_b32 v14, v18, v15, v14
.LBB4_4383:                             ;   in Loop: Header=BB4_3228 Depth=2
	s_or_b64 exec, exec, s[94:95]
.LBB4_4384:                             ;   in Loop: Header=BB4_3228 Depth=2
	s_or_b64 exec, exec, s[92:93]
.LBB4_4385:                             ;   in Loop: Header=BB4_3228 Depth=2
	s_or_b64 exec, exec, s[90:91]
	v_max_f32_e32 v14, v14, v14
	v_max_f32_e32 v3, v3, v3
	;; [unrolled: 1-line block ×3, first 2 shown]
	s_mov_b64 s[90:91], 0
.LBB4_4386:                             ;   in Loop: Header=BB4_3228 Depth=2
	s_and_b64 vcc, exec, s[90:91]
	s_cbranch_vccz .LBB4_4400
; %bb.4387:                             ;   in Loop: Header=BB4_3228 Depth=2
	v_mov_b32_e32 v14, 0
	v_mov_b32_e32 v3, 0
	s_and_saveexec_b64 s[90:91], s[20:21]
	s_cbranch_execz .LBB4_4393
; %bb.4388:                             ;   in Loop: Header=BB4_3228 Depth=2
	v_cmp_ne_u16_sdwa s[92:93], v11, s49 src0_sel:BYTE_0 src1_sel:DWORD
	v_bfrev_b32_e32 v3, 1
	s_and_saveexec_b64 s[20:21], s[92:93]
	s_cbranch_execz .LBB4_4392
; %bb.4389:                             ;   in Loop: Header=BB4_3228 Depth=2
	v_bfe_u32 v15, v16, 16, 7
	v_cmp_ne_u32_e32 vcc, s51, v15
	v_mov_b32_e32 v3, 0x7f800001
	s_and_saveexec_b64 s[92:93], vcc
	s_cbranch_execz .LBB4_4391
; %bb.4390:                             ;   in Loop: Header=BB4_3228 Depth=2
	v_and_b32_e32 v3, 7, v11
	v_lshrrev_b32_e32 v34, 3, v15
	v_cmp_gt_u32_e32 vcc, 8, v15
	v_ffbh_u32_e32 v15, v3
	v_min_u32_e32 v15, 32, v15
	v_subrev_u32_e32 v18, 28, v15
	v_lshlrev_b64 v[18:19], v18, v[11:12]
	v_sub_u32_e32 v15, 29, v15
	v_and_b32_e32 v18, 7, v18
	v_cndmask_b32_e32 v15, v34, v15, vcc
	v_cndmask_b32_e32 v3, v3, v18, vcc
	v_lshlrev_b32_e32 v11, 24, v11
	v_lshlrev_b32_e32 v3, 20, v3
	v_and_b32_e32 v11, 0x80000000, v11
	v_lshl_add_u32 v15, v15, 23, v62
	v_or3_b32 v3, v11, v15, v3
.LBB4_4391:                             ;   in Loop: Header=BB4_3228 Depth=2
	s_or_b64 exec, exec, s[92:93]
.LBB4_4392:                             ;   in Loop: Header=BB4_3228 Depth=2
	s_or_b64 exec, exec, s[20:21]
.LBB4_4393:                             ;   in Loop: Header=BB4_3228 Depth=2
	s_or_b64 exec, exec, s[90:91]
	v_cmp_ne_u16_sdwa s[90:91], v10, v51 src0_sel:BYTE_0 src1_sel:DWORD
	s_and_saveexec_b64 s[20:21], s[90:91]
	s_cbranch_execz .LBB4_4399
; %bb.4394:                             ;   in Loop: Header=BB4_3228 Depth=2
	v_cmp_ne_u16_sdwa s[92:93], v10, s49 src0_sel:BYTE_0 src1_sel:DWORD
	v_bfrev_b32_e32 v14, 1
	s_and_saveexec_b64 s[90:91], s[92:93]
	s_cbranch_execz .LBB4_4398
; %bb.4395:                             ;   in Loop: Header=BB4_3228 Depth=2
	v_bfe_u32 v11, v12, 16, 7
	v_cmp_ne_u32_e32 vcc, s51, v11
	v_mov_b32_e32 v14, 0x7f800001
	s_and_saveexec_b64 s[92:93], vcc
	s_cbranch_execz .LBB4_4397
; %bb.4396:                             ;   in Loop: Header=BB4_3228 Depth=2
	v_and_b32_e32 v18, 7, v10
	v_lshrrev_b32_e32 v19, 3, v11
	v_cmp_gt_u32_e32 vcc, 8, v11
	v_ffbh_u32_e32 v11, v18
	v_min_u32_e32 v11, 32, v11
	v_subrev_u32_e32 v14, 28, v11
	v_lshlrev_b64 v[14:15], v14, v[10:11]
	v_sub_u32_e32 v11, 29, v11
	v_and_b32_e32 v14, 7, v14
	v_cndmask_b32_e32 v11, v19, v11, vcc
	v_cndmask_b32_e32 v14, v18, v14, vcc
	v_lshlrev_b32_e32 v10, 24, v10
	v_lshlrev_b32_e32 v14, 20, v14
	v_and_b32_e32 v10, 0x80000000, v10
	v_lshl_add_u32 v11, v11, 23, v62
	v_or3_b32 v14, v10, v11, v14
.LBB4_4397:                             ;   in Loop: Header=BB4_3228 Depth=2
	s_or_b64 exec, exec, s[92:93]
.LBB4_4398:                             ;   in Loop: Header=BB4_3228 Depth=2
	s_or_b64 exec, exec, s[90:91]
.LBB4_4399:                             ;   in Loop: Header=BB4_3228 Depth=2
	s_or_b64 exec, exec, s[20:21]
	v_max_f32_e32 v10, v14, v14
	v_max_f32_e32 v3, v3, v3
	v_min_f32_e32 v14, v3, v10
.LBB4_4400:                             ;   in Loop: Header=BB4_3228 Depth=2
	v_and_b32_e32 v50, 0x7f800000, v14
	v_cmp_ne_u64_e32 vcc, s[62:63], v[50:51]
                                        ; implicit-def: $vgpr3
	s_and_saveexec_b64 s[20:21], vcc
	s_xor_b64 s[90:91], exec, s[20:21]
	s_cbranch_execz .LBB4_4414
; %bb.4401:                             ;   in Loop: Header=BB4_3228 Depth=2
	v_and_b32_e32 v50, 0x7fffffff, v14
	v_cmp_gt_u64_e32 vcc, s[72:73], v[50:51]
	v_and_b32_sdwa v18, v14, s49 dst_sel:DWORD dst_unused:UNUSED_PAD src0_sel:BYTE_3 src1_sel:DWORD
                                        ; implicit-def: $vgpr3
	s_and_saveexec_b64 s[20:21], vcc
	s_xor_b64 s[92:93], exec, s[20:21]
	s_cbranch_execz .LBB4_4411
; %bb.4402:                             ;   in Loop: Header=BB4_3228 Depth=2
	v_mov_b32_e32 v3, 0
	v_cmp_ne_u32_e32 vcc, 0, v14
	s_and_saveexec_b64 s[94:95], vcc
	s_cbranch_execz .LBB4_4410
; %bb.4403:                             ;   in Loop: Header=BB4_3228 Depth=2
	v_bfe_u32 v3, v14, 23, 8
	v_cmp_gt_u32_e64 s[20:21], s53, v3
	v_sub_u32_e32 v11, 0x79, v3
	v_and_b32_e32 v10, 0x7fffff, v14
	v_cmp_eq_u32_e32 vcc, 0, v3
	v_cndmask_b32_e64 v11, 0, v11, s[20:21]
	v_mov_b32_e32 v15, 0x78
	v_or_b32_e32 v14, 0x800000, v10
	v_cndmask_b32_e32 v19, v11, v15, vcc
	v_cndmask_b32_e32 v50, v14, v10, vcc
	v_add_u32_e32 v10, 20, v19
	v_lshlrev_b64 v[10:11], v10, -1
	v_add_u32_e32 v14, 19, v19
	v_lshlrev_b64 v[14:15], v14, 1
	v_bfi_b32 v11, v11, 0, 0
	v_bfi_b32 v10, v10, 0, v50
	v_cmp_eq_u64_e64 s[20:21], v[10:11], v[14:15]
	v_lshrrev_b64 v[10:11], v19, v[50:51]
	v_mov_b32_e32 v15, v11
	v_mov_b32_e32 v14, v10
	s_and_saveexec_b64 s[30:31], s[20:21]
; %bb.4404:                             ;   in Loop: Header=BB4_3228 Depth=2
	v_bfe_u32 v11, v10, 20, 1
	v_add_co_u32_e64 v11, s[20:21], v10, v11
	v_add_co_u32_e64 v14, s[20:21], -1, v11
; %bb.4405:                             ;   in Loop: Header=BB4_3228 Depth=2
	s_or_b64 exec, exec, s[30:31]
	v_add_u32_e32 v3, 0xffffff81, v3
	v_cndmask_b32_e32 v3, v3, v49, vcc
	v_lshrrev_b32_e32 v11, 23, v10
	v_add3_u32 v19, v19, v3, v11
	v_add_u32_e32 v15, 6, v19
	v_and_b32_e32 v3, 0xfffff, v14
	v_add_u32_e32 v50, v3, v10
	v_cmp_ne_u32_e32 vcc, 0, v15
                                        ; implicit-def: $vgpr10_vgpr11
                                        ; implicit-def: $vgpr3
	s_and_saveexec_b64 s[20:21], vcc
	s_xor_b64 s[20:21], exec, s[20:21]
; %bb.4406:                             ;   in Loop: Header=BB4_3228 Depth=2
	v_cmp_lt_u64_e32 vcc, s[74:75], v[50:51]
	v_add_u32_e32 v3, 7, v19
	v_cndmask_b32_e64 v10, 0, 1, vcc
	v_lshrrev_b64 v[10:11], v10, v[50:51]
	v_cndmask_b32_e32 v3, v15, v3, vcc
; %bb.4407:                             ;   in Loop: Header=BB4_3228 Depth=2
	s_andn2_saveexec_b64 s[20:21], s[20:21]
; %bb.4408:                             ;   in Loop: Header=BB4_3228 Depth=2
	v_mov_b32_e32 v10, v50
	v_bfe_u32 v3, v50, 23, 1
	v_mov_b32_e32 v11, v51
; %bb.4409:                             ;   in Loop: Header=BB4_3228 Depth=2
	s_or_b64 exec, exec, s[20:21]
	v_lshrrev_b64 v[10:11], 20, v[10:11]
	v_cmp_gt_i32_e32 vcc, 16, v3
	v_cndmask_b32_e32 v11, 0, v11, vcc
	v_cndmask_b32_e32 v10, 7, v10, vcc
	v_cmp_eq_u32_e32 vcc, 0, v3
	v_min_i32_e32 v3, 15, v3
	v_cmp_eq_u64_e64 s[20:21], 0, v[10:11]
	v_lshlrev_b32_e32 v3, 3, v3
	v_and_b32_e32 v3, 0xf8, v3
	v_and_or_b32 v3, v10, 7, v3
	s_and_b64 s[20:21], vcc, s[20:21]
	v_cndmask_b32_e64 v3, v3, 0, s[20:21]
	v_or_b32_e32 v3, v3, v18
.LBB4_4410:                             ;   in Loop: Header=BB4_3228 Depth=2
	s_or_b64 exec, exec, s[94:95]
                                        ; implicit-def: $vgpr18
.LBB4_4411:                             ;   in Loop: Header=BB4_3228 Depth=2
	s_andn2_saveexec_b64 s[20:21], s[92:93]
; %bb.4412:                             ;   in Loop: Header=BB4_3228 Depth=2
	v_or_b32_e32 v3, 0x7e, v18
; %bb.4413:                             ;   in Loop: Header=BB4_3228 Depth=2
	s_or_b64 exec, exec, s[20:21]
                                        ; implicit-def: $vgpr14
.LBB4_4414:                             ;   in Loop: Header=BB4_3228 Depth=2
	s_andn2_saveexec_b64 s[20:21], s[90:91]
; %bb.4415:                             ;   in Loop: Header=BB4_3228 Depth=2
	v_or_b32_sdwa v3, v14, s51 dst_sel:DWORD dst_unused:UNUSED_PAD src0_sel:BYTE_3 src1_sel:DWORD
; %bb.4416:                             ;   in Loop: Header=BB4_3228 Depth=2
	s_or_b64 exec, exec, s[20:21]
	v_lshrrev_b32_e32 v11, 24, v16
	v_lshrrev_b32_e32 v10, 24, v12
	v_cmp_lt_u32_e64 s[20:21], s77, v16
	s_and_b64 vcc, exec, s[18:19]
	s_mov_b64 s[90:91], -1
                                        ; implicit-def: $vgpr14
	s_cbranch_vccnz .LBB4_4430
; %bb.4417:                             ;   in Loop: Header=BB4_3228 Depth=2
	v_mov_b32_e32 v15, 0
	v_mov_b32_e32 v14, 0
	s_and_saveexec_b64 s[90:91], s[20:21]
	s_cbranch_execz .LBB4_4423
; %bb.4418:                             ;   in Loop: Header=BB4_3228 Depth=2
	v_cmp_ne_u32_e32 vcc, s49, v11
	v_bfrev_b32_e32 v14, 1
	s_and_saveexec_b64 s[92:93], vcc
	s_cbranch_execz .LBB4_4422
; %bb.4419:                             ;   in Loop: Header=BB4_3228 Depth=2
	v_bfe_u32 v18, v16, 24, 7
	v_cmp_ne_u32_e32 vcc, s51, v18
	v_mov_b32_e32 v14, 0x7f800001
	s_and_saveexec_b64 s[94:95], vcc
	s_cbranch_execz .LBB4_4421
; %bb.4420:                             ;   in Loop: Header=BB4_3228 Depth=2
	v_and_b32_e32 v14, 7, v11
	v_lshrrev_b32_e32 v34, 3, v18
	v_cmp_gt_u32_e32 vcc, 8, v18
	v_ffbh_u32_e32 v18, v14
	v_min_u32_e32 v35, 32, v18
	v_subrev_u32_e32 v18, 28, v35
	v_lshlrev_b64 v[18:19], v18, v[11:12]
	v_sub_u32_e32 v19, 29, v35
	v_and_b32_e32 v18, 7, v18
	v_cndmask_b32_e32 v19, v34, v19, vcc
	v_cndmask_b32_e32 v14, v14, v18, vcc
	v_lshlrev_b32_e32 v18, 24, v11
	v_lshlrev_b32_e32 v14, 20, v14
	v_and_b32_e32 v18, 0x80000000, v18
	v_lshl_add_u32 v19, v19, 23, v62
	v_or3_b32 v14, v18, v19, v14
.LBB4_4421:                             ;   in Loop: Header=BB4_3228 Depth=2
	s_or_b64 exec, exec, s[94:95]
.LBB4_4422:                             ;   in Loop: Header=BB4_3228 Depth=2
	s_or_b64 exec, exec, s[92:93]
.LBB4_4423:                             ;   in Loop: Header=BB4_3228 Depth=2
	s_or_b64 exec, exec, s[90:91]
	v_cmp_lt_u32_e32 vcc, s77, v12
	s_and_saveexec_b64 s[90:91], vcc
	s_cbranch_execz .LBB4_4429
; %bb.4424:                             ;   in Loop: Header=BB4_3228 Depth=2
	v_cmp_ne_u32_e32 vcc, s49, v10
	v_bfrev_b32_e32 v15, 1
	s_and_saveexec_b64 s[92:93], vcc
	s_cbranch_execz .LBB4_4428
; %bb.4425:                             ;   in Loop: Header=BB4_3228 Depth=2
	v_bfe_u32 v18, v12, 24, 7
	v_cmp_ne_u32_e32 vcc, s51, v18
	v_mov_b32_e32 v15, 0x7f800001
	s_and_saveexec_b64 s[94:95], vcc
	s_cbranch_execz .LBB4_4427
; %bb.4426:                             ;   in Loop: Header=BB4_3228 Depth=2
	v_and_b32_e32 v15, 7, v10
	v_lshrrev_b32_e32 v34, 3, v18
	v_cmp_gt_u32_e32 vcc, 8, v18
	v_ffbh_u32_e32 v18, v15
	v_min_u32_e32 v35, 32, v18
	v_subrev_u32_e32 v18, 28, v35
	v_lshlrev_b64 v[18:19], v18, v[10:11]
	v_sub_u32_e32 v19, 29, v35
	v_and_b32_e32 v18, 7, v18
	v_cndmask_b32_e32 v19, v34, v19, vcc
	v_cndmask_b32_e32 v15, v15, v18, vcc
	v_lshlrev_b32_e32 v18, 24, v10
	v_lshlrev_b32_e32 v15, 20, v15
	v_and_b32_e32 v18, 0x80000000, v18
	v_lshl_add_u32 v19, v19, 23, v62
	v_or3_b32 v15, v18, v19, v15
.LBB4_4427:                             ;   in Loop: Header=BB4_3228 Depth=2
	s_or_b64 exec, exec, s[94:95]
.LBB4_4428:                             ;   in Loop: Header=BB4_3228 Depth=2
	s_or_b64 exec, exec, s[92:93]
.LBB4_4429:                             ;   in Loop: Header=BB4_3228 Depth=2
	s_or_b64 exec, exec, s[90:91]
	v_max_f32_e32 v15, v15, v15
	v_max_f32_e32 v14, v14, v14
	v_max_f32_e32 v14, v14, v15
	s_mov_b64 s[90:91], 0
.LBB4_4430:                             ;   in Loop: Header=BB4_3228 Depth=2
	s_and_b64 vcc, exec, s[90:91]
	s_cbranch_vccz .LBB4_4444
; %bb.4431:                             ;   in Loop: Header=BB4_3228 Depth=2
	v_mov_b32_e32 v15, 0
	v_mov_b32_e32 v14, 0
	s_and_saveexec_b64 s[90:91], s[20:21]
	s_cbranch_execz .LBB4_4437
; %bb.4432:                             ;   in Loop: Header=BB4_3228 Depth=2
	v_cmp_ne_u32_e32 vcc, s49, v11
	v_bfrev_b32_e32 v14, 1
	s_and_saveexec_b64 s[20:21], vcc
	s_cbranch_execz .LBB4_4436
; %bb.4433:                             ;   in Loop: Header=BB4_3228 Depth=2
	v_bfe_u32 v18, v16, 24, 7
	v_cmp_ne_u32_e32 vcc, s51, v18
	v_mov_b32_e32 v14, 0x7f800001
	s_and_saveexec_b64 s[92:93], vcc
	s_cbranch_execz .LBB4_4435
; %bb.4434:                             ;   in Loop: Header=BB4_3228 Depth=2
	v_and_b32_e32 v14, 7, v11
	v_lshrrev_b32_e32 v34, 3, v18
	v_cmp_gt_u32_e32 vcc, 8, v18
	v_ffbh_u32_e32 v18, v14
	v_min_u32_e32 v35, 32, v18
	v_subrev_u32_e32 v18, 28, v35
	v_lshlrev_b64 v[18:19], v18, v[11:12]
	v_sub_u32_e32 v19, 29, v35
	v_and_b32_e32 v18, 7, v18
	v_cndmask_b32_e32 v19, v34, v19, vcc
	v_cndmask_b32_e32 v14, v14, v18, vcc
	v_lshlrev_b32_e32 v11, 24, v11
	v_lshlrev_b32_e32 v14, 20, v14
	v_and_b32_e32 v11, 0x80000000, v11
	v_lshl_add_u32 v18, v19, 23, v62
	v_or3_b32 v14, v11, v18, v14
.LBB4_4435:                             ;   in Loop: Header=BB4_3228 Depth=2
	s_or_b64 exec, exec, s[92:93]
.LBB4_4436:                             ;   in Loop: Header=BB4_3228 Depth=2
	s_or_b64 exec, exec, s[20:21]
.LBB4_4437:                             ;   in Loop: Header=BB4_3228 Depth=2
	s_or_b64 exec, exec, s[90:91]
	v_cmp_lt_u32_e32 vcc, s77, v12
	s_and_saveexec_b64 s[20:21], vcc
	s_cbranch_execz .LBB4_4443
; %bb.4438:                             ;   in Loop: Header=BB4_3228 Depth=2
	v_cmp_ne_u32_e32 vcc, s49, v10
	v_bfrev_b32_e32 v15, 1
	s_and_saveexec_b64 s[90:91], vcc
	s_cbranch_execz .LBB4_4442
; %bb.4439:                             ;   in Loop: Header=BB4_3228 Depth=2
	v_bfe_u32 v11, v12, 24, 7
	v_cmp_ne_u32_e32 vcc, s51, v11
	v_mov_b32_e32 v15, 0x7f800001
	s_and_saveexec_b64 s[92:93], vcc
	s_cbranch_execz .LBB4_4441
; %bb.4440:                             ;   in Loop: Header=BB4_3228 Depth=2
	v_and_b32_e32 v15, 7, v10
	v_lshrrev_b32_e32 v34, 3, v11
	v_cmp_gt_u32_e32 vcc, 8, v11
	v_ffbh_u32_e32 v11, v15
	v_min_u32_e32 v11, 32, v11
	v_subrev_u32_e32 v18, 28, v11
	v_lshlrev_b64 v[18:19], v18, v[10:11]
	v_sub_u32_e32 v11, 29, v11
	v_and_b32_e32 v18, 7, v18
	v_cndmask_b32_e32 v11, v34, v11, vcc
	v_cndmask_b32_e32 v15, v15, v18, vcc
	v_lshlrev_b32_e32 v10, 24, v10
	v_lshlrev_b32_e32 v15, 20, v15
	v_and_b32_e32 v10, 0x80000000, v10
	v_lshl_add_u32 v11, v11, 23, v62
	v_or3_b32 v15, v10, v11, v15
.LBB4_4441:                             ;   in Loop: Header=BB4_3228 Depth=2
	s_or_b64 exec, exec, s[92:93]
.LBB4_4442:                             ;   in Loop: Header=BB4_3228 Depth=2
	s_or_b64 exec, exec, s[90:91]
.LBB4_4443:                             ;   in Loop: Header=BB4_3228 Depth=2
	s_or_b64 exec, exec, s[20:21]
	v_max_f32_e32 v10, v15, v15
	v_max_f32_e32 v11, v14, v14
	v_min_f32_e32 v14, v11, v10
.LBB4_4444:                             ;   in Loop: Header=BB4_3228 Depth=2
	v_and_b32_e32 v50, 0x7f800000, v14
	v_cmp_ne_u64_e32 vcc, s[62:63], v[50:51]
                                        ; implicit-def: $vgpr54
	s_and_saveexec_b64 s[20:21], vcc
	s_xor_b64 s[90:91], exec, s[20:21]
	s_cbranch_execz .LBB4_4458
; %bb.4445:                             ;   in Loop: Header=BB4_3228 Depth=2
	v_and_b32_e32 v50, 0x7fffffff, v14
	v_cmp_gt_u64_e32 vcc, s[72:73], v[50:51]
	v_and_b32_sdwa v18, v14, s49 dst_sel:DWORD dst_unused:UNUSED_PAD src0_sel:BYTE_3 src1_sel:DWORD
                                        ; implicit-def: $vgpr54
	s_and_saveexec_b64 s[20:21], vcc
	s_xor_b64 s[92:93], exec, s[20:21]
	s_cbranch_execz .LBB4_4455
; %bb.4446:                             ;   in Loop: Header=BB4_3228 Depth=2
	v_mov_b32_e32 v54, 0
	v_cmp_ne_u32_e32 vcc, 0, v14
	s_and_saveexec_b64 s[94:95], vcc
	s_cbranch_execz .LBB4_4454
; %bb.4447:                             ;   in Loop: Header=BB4_3228 Depth=2
	v_bfe_u32 v19, v14, 23, 8
	v_cmp_gt_u32_e64 s[20:21], s53, v19
	v_sub_u32_e32 v11, 0x79, v19
	v_and_b32_e32 v10, 0x7fffff, v14
	v_cmp_eq_u32_e32 vcc, 0, v19
	v_cndmask_b32_e64 v11, 0, v11, s[20:21]
	v_mov_b32_e32 v15, 0x78
	v_or_b32_e32 v14, 0x800000, v10
	v_cndmask_b32_e32 v48, v11, v15, vcc
	v_cndmask_b32_e32 v50, v14, v10, vcc
	v_add_u32_e32 v10, 20, v48
	v_lshlrev_b64 v[10:11], v10, -1
	v_add_u32_e32 v14, 19, v48
	v_lshlrev_b64 v[14:15], v14, 1
	v_bfi_b32 v11, v11, 0, 0
	v_bfi_b32 v10, v10, 0, v50
	v_cmp_eq_u64_e64 s[20:21], v[10:11], v[14:15]
	v_lshrrev_b64 v[10:11], v48, v[50:51]
	v_mov_b32_e32 v15, v11
	v_mov_b32_e32 v14, v10
	s_and_saveexec_b64 s[30:31], s[20:21]
; %bb.4448:                             ;   in Loop: Header=BB4_3228 Depth=2
	v_bfe_u32 v11, v10, 20, 1
	v_add_co_u32_e64 v11, s[20:21], v10, v11
	v_add_co_u32_e64 v14, s[20:21], -1, v11
; %bb.4449:                             ;   in Loop: Header=BB4_3228 Depth=2
	s_or_b64 exec, exec, s[30:31]
	v_add_u32_e32 v11, 0xffffff81, v19
	v_cndmask_b32_e32 v11, v11, v49, vcc
	v_lshrrev_b32_e32 v15, 23, v10
	v_add3_u32 v19, v48, v11, v15
	v_add_u32_e32 v15, 6, v19
	v_and_b32_e32 v11, 0xfffff, v14
	v_add_u32_e32 v50, v11, v10
	v_cmp_ne_u32_e32 vcc, 0, v15
                                        ; implicit-def: $vgpr10_vgpr11
                                        ; implicit-def: $vgpr14
	s_and_saveexec_b64 s[20:21], vcc
	s_xor_b64 s[20:21], exec, s[20:21]
; %bb.4450:                             ;   in Loop: Header=BB4_3228 Depth=2
	v_cmp_lt_u64_e32 vcc, s[74:75], v[50:51]
	v_add_u32_e32 v10, 7, v19
	v_cndmask_b32_e32 v14, v15, v10, vcc
	v_cndmask_b32_e64 v10, 0, 1, vcc
	v_lshrrev_b64 v[10:11], v10, v[50:51]
; %bb.4451:                             ;   in Loop: Header=BB4_3228 Depth=2
	s_andn2_saveexec_b64 s[20:21], s[20:21]
; %bb.4452:                             ;   in Loop: Header=BB4_3228 Depth=2
	v_mov_b32_e32 v10, v50
	v_bfe_u32 v14, v50, 23, 1
	v_mov_b32_e32 v11, v51
; %bb.4453:                             ;   in Loop: Header=BB4_3228 Depth=2
	s_or_b64 exec, exec, s[20:21]
	v_lshrrev_b64 v[10:11], 20, v[10:11]
	v_cmp_gt_i32_e32 vcc, 16, v14
	v_cndmask_b32_e32 v11, 0, v11, vcc
	v_cndmask_b32_e32 v10, 7, v10, vcc
	v_cmp_eq_u64_e64 s[20:21], 0, v[10:11]
	v_min_i32_e32 v11, 15, v14
	v_lshlrev_b32_e32 v11, 3, v11
	v_cmp_eq_u32_e32 vcc, 0, v14
	v_and_b32_e32 v11, 0xf8, v11
	v_and_or_b32 v10, v10, 7, v11
	s_and_b64 s[20:21], vcc, s[20:21]
	v_cndmask_b32_e64 v10, v10, 0, s[20:21]
	v_or_b32_e32 v54, v10, v18
.LBB4_4454:                             ;   in Loop: Header=BB4_3228 Depth=2
	s_or_b64 exec, exec, s[94:95]
                                        ; implicit-def: $vgpr18
.LBB4_4455:                             ;   in Loop: Header=BB4_3228 Depth=2
	s_andn2_saveexec_b64 s[20:21], s[92:93]
; %bb.4456:                             ;   in Loop: Header=BB4_3228 Depth=2
	v_or_b32_e32 v54, 0x7e, v18
; %bb.4457:                             ;   in Loop: Header=BB4_3228 Depth=2
	s_or_b64 exec, exec, s[20:21]
                                        ; implicit-def: $vgpr14
.LBB4_4458:                             ;   in Loop: Header=BB4_3228 Depth=2
	s_andn2_saveexec_b64 s[20:21], s[90:91]
; %bb.4459:                             ;   in Loop: Header=BB4_3228 Depth=2
	v_or_b32_sdwa v54, v14, s51 dst_sel:DWORD dst_unused:UNUSED_PAD src0_sel:BYTE_3 src1_sel:DWORD
; %bb.4460:                             ;   in Loop: Header=BB4_3228 Depth=2
	s_or_b64 exec, exec, s[20:21]
	v_mov_b32_e32 v50, v17
	v_mov_b32_e32 v10, v13
	;; [unrolled: 1-line block ×3, first 2 shown]
	v_cmp_ne_u16_sdwa s[20:21], v17, v51 src0_sel:BYTE_0 src1_sel:DWORD
	s_and_b64 vcc, exec, s[18:19]
	s_mov_b64 s[90:91], -1
                                        ; implicit-def: $vgpr14
	s_cbranch_vccnz .LBB4_4474
; %bb.4461:                             ;   in Loop: Header=BB4_3228 Depth=2
	v_mov_b32_e32 v15, 0
	v_mov_b32_e32 v14, 0
	s_and_saveexec_b64 s[90:91], s[20:21]
	s_cbranch_execz .LBB4_4467
; %bb.4462:                             ;   in Loop: Header=BB4_3228 Depth=2
	v_cmp_ne_u16_sdwa s[94:95], v17, s49 src0_sel:BYTE_0 src1_sel:DWORD
	v_bfrev_b32_e32 v14, 1
	s_and_saveexec_b64 s[92:93], s[94:95]
	s_cbranch_execz .LBB4_4466
; %bb.4463:                             ;   in Loop: Header=BB4_3228 Depth=2
	v_and_b32_e32 v18, 0x7f, v17
	v_cmp_ne_u32_e32 vcc, s51, v18
	v_mov_b32_e32 v14, 0x7f800001
	s_and_saveexec_b64 s[94:95], vcc
	s_cbranch_execz .LBB4_4465
; %bb.4464:                             ;   in Loop: Header=BB4_3228 Depth=2
	v_and_b32_e32 v14, 7, v17
	v_ffbh_u32_e32 v14, v14
	v_min_u32_e32 v14, 32, v14
	v_lshrrev_b32_e32 v19, 3, v18
	v_cmp_gt_u32_e32 vcc, 8, v18
	v_subrev_u32_e32 v18, 28, v14
	v_sub_u32_e32 v14, 29, v14
	v_cndmask_b32_e32 v18, 0, v18, vcc
	v_cndmask_b32_e32 v14, v19, v14, vcc
	v_lshlrev_b64 v[18:19], v18, v[50:51]
	v_lshlrev_b32_e32 v19, 24, v50
	v_lshlrev_b32_e32 v18, 20, v18
	v_and_b32_e32 v18, 0x700000, v18
	v_and_b32_e32 v19, 0x80000000, v19
	v_lshl_add_u32 v14, v14, 23, v62
	v_or3_b32 v14, v19, v14, v18
.LBB4_4465:                             ;   in Loop: Header=BB4_3228 Depth=2
	s_or_b64 exec, exec, s[94:95]
.LBB4_4466:                             ;   in Loop: Header=BB4_3228 Depth=2
	s_or_b64 exec, exec, s[92:93]
.LBB4_4467:                             ;   in Loop: Header=BB4_3228 Depth=2
	s_or_b64 exec, exec, s[90:91]
	v_cmp_ne_u16_sdwa s[92:93], v13, v51 src0_sel:BYTE_0 src1_sel:DWORD
	s_and_saveexec_b64 s[90:91], s[92:93]
	s_cbranch_execz .LBB4_4473
; %bb.4468:                             ;   in Loop: Header=BB4_3228 Depth=2
	v_cmp_ne_u16_sdwa s[94:95], v13, s49 src0_sel:BYTE_0 src1_sel:DWORD
	v_bfrev_b32_e32 v15, 1
	s_and_saveexec_b64 s[92:93], s[94:95]
	s_cbranch_execz .LBB4_4472
; %bb.4469:                             ;   in Loop: Header=BB4_3228 Depth=2
	v_and_b32_e32 v18, 0x7f, v13
	v_cmp_ne_u32_e32 vcc, s51, v18
	v_mov_b32_e32 v15, 0x7f800001
	s_and_saveexec_b64 s[94:95], vcc
	s_cbranch_execz .LBB4_4471
; %bb.4470:                             ;   in Loop: Header=BB4_3228 Depth=2
	v_and_b32_e32 v15, 7, v13
	v_ffbh_u32_e32 v15, v15
	v_min_u32_e32 v15, 32, v15
	v_lshrrev_b32_e32 v19, 3, v18
	v_cmp_gt_u32_e32 vcc, 8, v18
	v_subrev_u32_e32 v18, 28, v15
	v_sub_u32_e32 v15, 29, v15
	v_cndmask_b32_e32 v18, 0, v18, vcc
	v_cndmask_b32_e32 v15, v19, v15, vcc
	v_lshlrev_b64 v[18:19], v18, v[10:11]
	v_lshlrev_b32_e32 v19, 24, v10
	v_lshlrev_b32_e32 v18, 20, v18
	v_and_b32_e32 v18, 0x700000, v18
	v_and_b32_e32 v19, 0x80000000, v19
	v_lshl_add_u32 v15, v15, 23, v62
	v_or3_b32 v15, v19, v15, v18
.LBB4_4471:                             ;   in Loop: Header=BB4_3228 Depth=2
	s_or_b64 exec, exec, s[94:95]
.LBB4_4472:                             ;   in Loop: Header=BB4_3228 Depth=2
	s_or_b64 exec, exec, s[92:93]
.LBB4_4473:                             ;   in Loop: Header=BB4_3228 Depth=2
	s_or_b64 exec, exec, s[90:91]
	v_max_f32_e32 v15, v15, v15
	v_max_f32_e32 v14, v14, v14
	;; [unrolled: 1-line block ×3, first 2 shown]
	s_mov_b64 s[90:91], 0
.LBB4_4474:                             ;   in Loop: Header=BB4_3228 Depth=2
	s_and_b64 vcc, exec, s[90:91]
	s_cbranch_vccz .LBB4_4488
; %bb.4475:                             ;   in Loop: Header=BB4_3228 Depth=2
	v_mov_b32_e32 v15, 0
	v_mov_b32_e32 v14, 0
	s_and_saveexec_b64 s[90:91], s[20:21]
	s_cbranch_execz .LBB4_4481
; %bb.4476:                             ;   in Loop: Header=BB4_3228 Depth=2
	v_cmp_ne_u16_sdwa s[92:93], v17, s49 src0_sel:BYTE_0 src1_sel:DWORD
	v_bfrev_b32_e32 v14, 1
	s_and_saveexec_b64 s[20:21], s[92:93]
	s_cbranch_execz .LBB4_4480
; %bb.4477:                             ;   in Loop: Header=BB4_3228 Depth=2
	v_and_b32_e32 v18, 0x7f, v17
	v_cmp_ne_u32_e32 vcc, s51, v18
	v_mov_b32_e32 v14, 0x7f800001
	s_and_saveexec_b64 s[92:93], vcc
	s_cbranch_execz .LBB4_4479
; %bb.4478:                             ;   in Loop: Header=BB4_3228 Depth=2
	v_and_b32_e32 v14, 7, v17
	v_ffbh_u32_e32 v14, v14
	v_min_u32_e32 v14, 32, v14
	v_lshrrev_b32_e32 v19, 3, v18
	v_cmp_gt_u32_e32 vcc, 8, v18
	v_subrev_u32_e32 v18, 28, v14
	v_sub_u32_e32 v14, 29, v14
	v_cndmask_b32_e32 v18, 0, v18, vcc
	v_cndmask_b32_e32 v14, v19, v14, vcc
	v_lshlrev_b64 v[18:19], v18, v[50:51]
	v_lshlrev_b32_e32 v19, 24, v50
	v_lshlrev_b32_e32 v18, 20, v18
	v_and_b32_e32 v18, 0x700000, v18
	v_and_b32_e32 v19, 0x80000000, v19
	v_lshl_add_u32 v14, v14, 23, v62
	v_or3_b32 v14, v19, v14, v18
.LBB4_4479:                             ;   in Loop: Header=BB4_3228 Depth=2
	s_or_b64 exec, exec, s[92:93]
.LBB4_4480:                             ;   in Loop: Header=BB4_3228 Depth=2
	s_or_b64 exec, exec, s[20:21]
.LBB4_4481:                             ;   in Loop: Header=BB4_3228 Depth=2
	s_or_b64 exec, exec, s[90:91]
	v_cmp_ne_u16_sdwa s[90:91], v13, v51 src0_sel:BYTE_0 src1_sel:DWORD
	s_and_saveexec_b64 s[20:21], s[90:91]
	s_cbranch_execz .LBB4_4487
; %bb.4482:                             ;   in Loop: Header=BB4_3228 Depth=2
	v_cmp_ne_u16_sdwa s[92:93], v13, s49 src0_sel:BYTE_0 src1_sel:DWORD
	v_bfrev_b32_e32 v15, 1
	s_and_saveexec_b64 s[90:91], s[92:93]
	s_cbranch_execz .LBB4_4486
; %bb.4483:                             ;   in Loop: Header=BB4_3228 Depth=2
	v_and_b32_e32 v18, 0x7f, v13
	v_cmp_ne_u32_e32 vcc, s51, v18
	v_mov_b32_e32 v15, 0x7f800001
	s_and_saveexec_b64 s[92:93], vcc
	s_cbranch_execz .LBB4_4485
; %bb.4484:                             ;   in Loop: Header=BB4_3228 Depth=2
	v_and_b32_e32 v15, 7, v13
	v_ffbh_u32_e32 v15, v15
	v_min_u32_e32 v15, 32, v15
	v_lshrrev_b32_e32 v19, 3, v18
	v_cmp_gt_u32_e32 vcc, 8, v18
	v_subrev_u32_e32 v18, 28, v15
	v_sub_u32_e32 v15, 29, v15
	v_cndmask_b32_e32 v18, 0, v18, vcc
	v_cndmask_b32_e32 v15, v19, v15, vcc
	v_lshlrev_b64 v[18:19], v18, v[10:11]
	v_lshl_add_u32 v15, v15, 23, v62
	v_lshlrev_b32_e32 v11, 20, v18
	v_lshlrev_b32_e32 v18, 24, v10
	v_and_b32_e32 v11, 0x700000, v11
	v_and_b32_e32 v18, 0x80000000, v18
	v_or3_b32 v15, v18, v15, v11
.LBB4_4485:                             ;   in Loop: Header=BB4_3228 Depth=2
	s_or_b64 exec, exec, s[92:93]
.LBB4_4486:                             ;   in Loop: Header=BB4_3228 Depth=2
	s_or_b64 exec, exec, s[90:91]
.LBB4_4487:                             ;   in Loop: Header=BB4_3228 Depth=2
	s_or_b64 exec, exec, s[20:21]
	v_max_f32_e32 v11, v15, v15
	v_max_f32_e32 v14, v14, v14
	v_min_f32_e32 v14, v14, v11
.LBB4_4488:                             ;   in Loop: Header=BB4_3228 Depth=2
	v_and_b32_e32 v18, 0x7f800000, v14
	v_mov_b32_e32 v19, v51
	v_cmp_ne_u64_e32 vcc, s[62:63], v[18:19]
                                        ; implicit-def: $vgpr18
	s_and_saveexec_b64 s[20:21], vcc
	s_xor_b64 s[90:91], exec, s[20:21]
	s_cbranch_execz .LBB4_4502
; %bb.4489:                             ;   in Loop: Header=BB4_3228 Depth=2
	v_and_b32_e32 v18, 0x7fffffff, v14
	v_mov_b32_e32 v19, v51
	v_cmp_gt_u64_e32 vcc, s[72:73], v[18:19]
	v_and_b32_sdwa v11, v14, s49 dst_sel:DWORD dst_unused:UNUSED_PAD src0_sel:BYTE_3 src1_sel:DWORD
                                        ; implicit-def: $vgpr18
	s_and_saveexec_b64 s[20:21], vcc
	s_xor_b64 s[92:93], exec, s[20:21]
	s_cbranch_execz .LBB4_4499
; %bb.4490:                             ;   in Loop: Header=BB4_3228 Depth=2
	v_mov_b32_e32 v18, 0
	v_cmp_ne_u32_e32 vcc, 0, v14
	s_and_saveexec_b64 s[94:95], vcc
	s_cbranch_execz .LBB4_4498
; %bb.4491:                             ;   in Loop: Header=BB4_3228 Depth=2
	v_bfe_u32 v48, v14, 23, 8
	v_and_b32_e32 v15, 0x7fffff, v14
	v_cmp_gt_u32_e64 s[20:21], s53, v48
	v_sub_u32_e32 v14, 0x79, v48
	v_cmp_eq_u32_e32 vcc, 0, v48
	v_cndmask_b32_e64 v14, 0, v14, s[20:21]
	v_mov_b32_e32 v19, 0x78
	v_or_b32_e32 v18, 0x800000, v15
	v_cndmask_b32_e32 v49, v14, v19, vcc
	v_cndmask_b32_e32 v14, v18, v15, vcc
	v_add_u32_e32 v18, 20, v49
	v_lshlrev_b64 v[18:19], v18, -1
	v_mov_b32_e32 v15, v51
	v_add_u32_e32 v34, 19, v49
	v_bfi_b32 v18, v18, 0, v14
	v_lshlrev_b64 v[34:35], v34, 1
	v_lshrrev_b64 v[14:15], v49, v[14:15]
	v_bfi_b32 v19, v19, 0, 0
	v_cmp_eq_u64_e64 s[20:21], v[18:19], v[34:35]
	v_mov_b32_e32 v19, v15
	v_mov_b32_e32 v61, 0xffffff82
	;; [unrolled: 1-line block ×3, first 2 shown]
	s_and_saveexec_b64 s[30:31], s[20:21]
; %bb.4492:                             ;   in Loop: Header=BB4_3228 Depth=2
	v_bfe_u32 v15, v14, 20, 1
	v_add_co_u32_e64 v15, s[20:21], v14, v15
	v_add_co_u32_e64 v18, s[20:21], -1, v15
; %bb.4493:                             ;   in Loop: Header=BB4_3228 Depth=2
	s_or_b64 exec, exec, s[30:31]
	v_add_u32_e32 v15, 0xffffff81, v48
	v_cndmask_b32_e32 v15, v15, v61, vcc
	v_lshrrev_b32_e32 v19, 23, v14
	v_add3_u32 v48, v49, v15, v19
	v_add_u32_e32 v19, 6, v48
	v_and_b32_e32 v15, 0xfffff, v18
	v_add_u32_e32 v14, v15, v14
	v_mov_b32_e32 v15, v51
	v_cmp_ne_u32_e32 vcc, 0, v19
                                        ; implicit-def: $vgpr18
	s_and_saveexec_b64 s[20:21], vcc
	s_xor_b64 s[20:21], exec, s[20:21]
; %bb.4494:                             ;   in Loop: Header=BB4_3228 Depth=2
	v_cmp_lt_u64_e32 vcc, s[74:75], v[14:15]
	v_add_u32_e32 v18, 7, v48
	v_cndmask_b32_e32 v18, v19, v18, vcc
	v_cndmask_b32_e64 v19, 0, 1, vcc
	v_lshrrev_b64 v[14:15], v19, v[14:15]
; %bb.4495:                             ;   in Loop: Header=BB4_3228 Depth=2
	s_andn2_saveexec_b64 s[20:21], s[20:21]
; %bb.4496:                             ;   in Loop: Header=BB4_3228 Depth=2
	v_bfe_u32 v18, v14, 23, 1
; %bb.4497:                             ;   in Loop: Header=BB4_3228 Depth=2
	s_or_b64 exec, exec, s[20:21]
	v_lshrrev_b64 v[14:15], 20, v[14:15]
	v_cmp_gt_i32_e32 vcc, 16, v18
	v_cndmask_b32_e32 v15, 0, v15, vcc
	v_cndmask_b32_e32 v14, 7, v14, vcc
	v_cmp_eq_u64_e64 s[20:21], 0, v[14:15]
	v_min_i32_e32 v15, 15, v18
	v_lshlrev_b32_e32 v15, 3, v15
	v_cmp_eq_u32_e32 vcc, 0, v18
	v_and_b32_e32 v15, 0xf8, v15
	v_and_or_b32 v14, v14, 7, v15
	s_and_b64 s[20:21], vcc, s[20:21]
	v_cndmask_b32_e64 v14, v14, 0, s[20:21]
	v_or_b32_e32 v18, v14, v11
	v_mov_b32_e32 v49, 0xffffff82
.LBB4_4498:                             ;   in Loop: Header=BB4_3228 Depth=2
	s_or_b64 exec, exec, s[94:95]
                                        ; implicit-def: $vgpr11
.LBB4_4499:                             ;   in Loop: Header=BB4_3228 Depth=2
	s_andn2_saveexec_b64 s[20:21], s[92:93]
; %bb.4500:                             ;   in Loop: Header=BB4_3228 Depth=2
	v_or_b32_e32 v18, 0x7e, v11
; %bb.4501:                             ;   in Loop: Header=BB4_3228 Depth=2
	s_or_b64 exec, exec, s[20:21]
                                        ; implicit-def: $vgpr14
.LBB4_4502:                             ;   in Loop: Header=BB4_3228 Depth=2
	s_andn2_saveexec_b64 s[20:21], s[90:91]
; %bb.4503:                             ;   in Loop: Header=BB4_3228 Depth=2
	v_or_b32_sdwa v18, v14, s51 dst_sel:DWORD dst_unused:UNUSED_PAD src0_sel:BYTE_3 src1_sel:DWORD
; %bb.4504:                             ;   in Loop: Header=BB4_3228 Depth=2
	s_or_b64 exec, exec, s[20:21]
	v_lshrrev_b16_e32 v14, 8, v50
	v_lshrrev_b16_e32 v11, 8, v10
	v_cmp_ne_u16_e64 s[20:21], 0, v14
	s_and_b64 vcc, exec, s[18:19]
	s_mov_b64 s[90:91], -1
                                        ; implicit-def: $vgpr15
	s_cbranch_vccnz .LBB4_4518
; %bb.4505:                             ;   in Loop: Header=BB4_3228 Depth=2
	v_mov_b32_e32 v19, 0
	v_mov_b32_e32 v15, 0
	s_and_saveexec_b64 s[90:91], s[20:21]
	s_cbranch_execz .LBB4_4511
; %bb.4506:                             ;   in Loop: Header=BB4_3228 Depth=2
	v_cmp_ne_u16_e32 vcc, s49, v14
	v_bfrev_b32_e32 v15, 1
	s_and_saveexec_b64 s[92:93], vcc
	s_cbranch_execz .LBB4_4510
; %bb.4507:                             ;   in Loop: Header=BB4_3228 Depth=2
	v_and_b32_e32 v48, 0x7f, v14
	v_cmp_ne_u32_e32 vcc, s51, v48
	v_mov_b32_e32 v15, 0x7f800001
	s_and_saveexec_b64 s[94:95], vcc
	s_cbranch_execz .LBB4_4509
; %bb.4508:                             ;   in Loop: Header=BB4_3228 Depth=2
	v_and_b32_e32 v15, 7, v14
	v_ffbh_u32_e32 v34, v15
	v_lshrrev_b32_e32 v49, 3, v48
	v_cmp_gt_u32_e32 vcc, 8, v48
	v_min_u32_e32 v48, 32, v34
	v_subrev_u32_e32 v34, 28, v48
	v_lshlrev_b64 v[34:35], v34, v[14:15]
	v_sub_u32_e32 v35, 29, v48
	v_and_b32_e32 v34, 7, v34
	v_cndmask_b32_e32 v35, v49, v35, vcc
	v_cndmask_b32_e32 v15, v15, v34, vcc
	v_lshlrev_b32_e32 v34, 16, v50
	v_lshlrev_b32_e32 v15, 20, v15
	v_and_b32_e32 v34, 0x80000000, v34
	v_lshl_add_u32 v35, v35, 23, v62
	v_mov_b32_e32 v49, 0xffffff82
	v_or3_b32 v15, v34, v35, v15
.LBB4_4509:                             ;   in Loop: Header=BB4_3228 Depth=2
	s_or_b64 exec, exec, s[94:95]
.LBB4_4510:                             ;   in Loop: Header=BB4_3228 Depth=2
	s_or_b64 exec, exec, s[92:93]
.LBB4_4511:                             ;   in Loop: Header=BB4_3228 Depth=2
	s_or_b64 exec, exec, s[90:91]
	v_cmp_ne_u16_e32 vcc, 0, v11
	s_and_saveexec_b64 s[90:91], vcc
	s_cbranch_execz .LBB4_4517
; %bb.4512:                             ;   in Loop: Header=BB4_3228 Depth=2
	v_cmp_ne_u16_e32 vcc, s49, v11
	v_bfrev_b32_e32 v19, 1
	s_and_saveexec_b64 s[92:93], vcc
	s_cbranch_execz .LBB4_4516
; %bb.4513:                             ;   in Loop: Header=BB4_3228 Depth=2
	v_and_b32_e32 v48, 0x7f, v11
	v_cmp_ne_u32_e32 vcc, s51, v48
	v_mov_b32_e32 v19, 0x7f800001
	s_and_saveexec_b64 s[94:95], vcc
	s_cbranch_execz .LBB4_4515
; %bb.4514:                             ;   in Loop: Header=BB4_3228 Depth=2
	v_and_b32_e32 v19, 7, v11
	v_ffbh_u32_e32 v34, v19
	v_lshrrev_b32_e32 v49, 3, v48
	v_cmp_gt_u32_e32 vcc, 8, v48
	v_min_u32_e32 v48, 32, v34
	v_subrev_u32_e32 v34, 28, v48
	v_lshlrev_b64 v[34:35], v34, v[11:12]
	v_sub_u32_e32 v35, 29, v48
	v_and_b32_e32 v34, 7, v34
	v_cndmask_b32_e32 v35, v49, v35, vcc
	v_cndmask_b32_e32 v19, v19, v34, vcc
	v_lshlrev_b32_e32 v34, 16, v10
	v_lshlrev_b32_e32 v19, 20, v19
	v_and_b32_e32 v34, 0x80000000, v34
	v_lshl_add_u32 v35, v35, 23, v62
	v_mov_b32_e32 v49, 0xffffff82
	v_or3_b32 v19, v34, v35, v19
.LBB4_4515:                             ;   in Loop: Header=BB4_3228 Depth=2
	s_or_b64 exec, exec, s[94:95]
.LBB4_4516:                             ;   in Loop: Header=BB4_3228 Depth=2
	s_or_b64 exec, exec, s[92:93]
.LBB4_4517:                             ;   in Loop: Header=BB4_3228 Depth=2
	s_or_b64 exec, exec, s[90:91]
	v_max_f32_e32 v19, v19, v19
	v_max_f32_e32 v15, v15, v15
	;; [unrolled: 1-line block ×3, first 2 shown]
	s_mov_b64 s[90:91], 0
.LBB4_4518:                             ;   in Loop: Header=BB4_3228 Depth=2
	s_and_b64 vcc, exec, s[90:91]
	s_cbranch_vccz .LBB4_4532
; %bb.4519:                             ;   in Loop: Header=BB4_3228 Depth=2
	v_mov_b32_e32 v19, 0
	v_mov_b32_e32 v15, 0
	s_and_saveexec_b64 s[90:91], s[20:21]
	s_cbranch_execz .LBB4_4525
; %bb.4520:                             ;   in Loop: Header=BB4_3228 Depth=2
	v_cmp_ne_u16_e32 vcc, s49, v14
	v_bfrev_b32_e32 v15, 1
	s_and_saveexec_b64 s[20:21], vcc
	s_cbranch_execz .LBB4_4524
; %bb.4521:                             ;   in Loop: Header=BB4_3228 Depth=2
	v_and_b32_e32 v48, 0x7f, v14
	v_cmp_ne_u32_e32 vcc, s51, v48
	v_mov_b32_e32 v15, 0x7f800001
	s_and_saveexec_b64 s[92:93], vcc
	s_cbranch_execz .LBB4_4523
; %bb.4522:                             ;   in Loop: Header=BB4_3228 Depth=2
	v_and_b32_e32 v34, 7, v14
	v_ffbh_u32_e32 v15, v34
	v_lshrrev_b32_e32 v35, 3, v48
	v_cmp_gt_u32_e32 vcc, 8, v48
	v_min_u32_e32 v48, 32, v15
	v_subrev_u32_e32 v15, 28, v48
	v_lshlrev_b64 v[14:15], v15, v[14:15]
	v_sub_u32_e32 v15, 29, v48
	v_and_b32_e32 v14, 7, v14
	v_cndmask_b32_e32 v15, v35, v15, vcc
	v_cndmask_b32_e32 v14, v34, v14, vcc
	v_lshlrev_b32_e32 v34, 16, v50
	v_lshlrev_b32_e32 v14, 20, v14
	v_and_b32_e32 v34, 0x80000000, v34
	v_lshl_add_u32 v15, v15, 23, v62
	v_or3_b32 v15, v34, v15, v14
.LBB4_4523:                             ;   in Loop: Header=BB4_3228 Depth=2
	s_or_b64 exec, exec, s[92:93]
.LBB4_4524:                             ;   in Loop: Header=BB4_3228 Depth=2
	s_or_b64 exec, exec, s[20:21]
.LBB4_4525:                             ;   in Loop: Header=BB4_3228 Depth=2
	s_or_b64 exec, exec, s[90:91]
	v_cmp_ne_u16_e32 vcc, 0, v11
	s_and_saveexec_b64 s[20:21], vcc
	s_cbranch_execz .LBB4_4531
; %bb.4526:                             ;   in Loop: Header=BB4_3228 Depth=2
	v_cmp_ne_u16_e32 vcc, s49, v11
	v_bfrev_b32_e32 v19, 1
	s_and_saveexec_b64 s[90:91], vcc
	s_cbranch_execz .LBB4_4530
; %bb.4527:                             ;   in Loop: Header=BB4_3228 Depth=2
	v_and_b32_e32 v14, 0x7f, v11
	v_cmp_ne_u32_e32 vcc, s51, v14
	v_mov_b32_e32 v19, 0x7f800001
	s_and_saveexec_b64 s[92:93], vcc
	s_cbranch_execz .LBB4_4529
; %bb.4528:                             ;   in Loop: Header=BB4_3228 Depth=2
	v_and_b32_e32 v19, 7, v11
	v_lshrrev_b32_e32 v48, 3, v14
	v_cmp_gt_u32_e32 vcc, 8, v14
	v_ffbh_u32_e32 v14, v19
	v_min_u32_e32 v14, 32, v14
	v_subrev_u32_e32 v34, 28, v14
	v_lshlrev_b64 v[34:35], v34, v[11:12]
	v_sub_u32_e32 v11, 29, v14
	v_and_b32_e32 v14, 7, v34
	v_cndmask_b32_e32 v11, v48, v11, vcc
	v_cndmask_b32_e32 v14, v19, v14, vcc
	v_lshlrev_b32_e32 v10, 16, v10
	v_lshlrev_b32_e32 v14, 20, v14
	v_and_b32_e32 v10, 0x80000000, v10
	v_lshl_add_u32 v11, v11, 23, v62
	v_or3_b32 v19, v10, v11, v14
.LBB4_4529:                             ;   in Loop: Header=BB4_3228 Depth=2
	s_or_b64 exec, exec, s[92:93]
.LBB4_4530:                             ;   in Loop: Header=BB4_3228 Depth=2
	s_or_b64 exec, exec, s[90:91]
.LBB4_4531:                             ;   in Loop: Header=BB4_3228 Depth=2
	s_or_b64 exec, exec, s[20:21]
	v_max_f32_e32 v10, v19, v19
	v_max_f32_e32 v11, v15, v15
	v_min_f32_e32 v15, v11, v10
.LBB4_4532:                             ;   in Loop: Header=BB4_3228 Depth=2
	v_and_b32_e32 v50, 0x7f800000, v15
	v_cmp_ne_u64_e32 vcc, s[62:63], v[50:51]
                                        ; implicit-def: $vgpr19
	s_and_saveexec_b64 s[20:21], vcc
	s_xor_b64 s[90:91], exec, s[20:21]
	s_cbranch_execz .LBB4_4546
; %bb.4533:                             ;   in Loop: Header=BB4_3228 Depth=2
	v_and_b32_e32 v50, 0x7fffffff, v15
	v_cmp_gt_u64_e32 vcc, s[72:73], v[50:51]
	v_and_b32_sdwa v61, v15, s49 dst_sel:DWORD dst_unused:UNUSED_PAD src0_sel:BYTE_3 src1_sel:DWORD
                                        ; implicit-def: $vgpr19
	s_and_saveexec_b64 s[20:21], vcc
	s_xor_b64 s[92:93], exec, s[20:21]
	s_cbranch_execz .LBB4_4543
; %bb.4534:                             ;   in Loop: Header=BB4_3228 Depth=2
	v_mov_b32_e32 v19, 0
	v_cmp_ne_u32_e32 vcc, 0, v15
	s_and_saveexec_b64 s[94:95], vcc
	s_cbranch_execz .LBB4_4542
; %bb.4535:                             ;   in Loop: Header=BB4_3228 Depth=2
	v_bfe_u32 v19, v15, 23, 8
	v_cmp_gt_u32_e64 s[20:21], s53, v19
	v_sub_u32_e32 v11, 0x79, v19
	v_and_b32_e32 v10, 0x7fffff, v15
	v_cmp_eq_u32_e32 vcc, 0, v19
	v_cndmask_b32_e64 v11, 0, v11, s[20:21]
	v_mov_b32_e32 v15, 0x78
	v_or_b32_e32 v14, 0x800000, v10
	v_cndmask_b32_e32 v48, v11, v15, vcc
	v_cndmask_b32_e32 v50, v14, v10, vcc
	v_add_u32_e32 v10, 20, v48
	v_lshlrev_b64 v[10:11], v10, -1
	v_add_u32_e32 v14, 19, v48
	v_lshlrev_b64 v[14:15], v14, 1
	v_bfi_b32 v11, v11, 0, 0
	v_bfi_b32 v10, v10, 0, v50
	v_cmp_eq_u64_e64 s[20:21], v[10:11], v[14:15]
	v_lshrrev_b64 v[10:11], v48, v[50:51]
	v_mov_b32_e32 v15, v11
	v_mov_b32_e32 v14, v10
	s_and_saveexec_b64 s[30:31], s[20:21]
; %bb.4536:                             ;   in Loop: Header=BB4_3228 Depth=2
	v_bfe_u32 v11, v10, 20, 1
	v_add_co_u32_e64 v11, s[20:21], v10, v11
	v_add_co_u32_e64 v14, s[20:21], -1, v11
; %bb.4537:                             ;   in Loop: Header=BB4_3228 Depth=2
	s_or_b64 exec, exec, s[30:31]
	v_add_u32_e32 v11, 0xffffff81, v19
	v_cndmask_b32_e32 v11, v11, v49, vcc
	v_lshrrev_b32_e32 v15, 23, v10
	v_add3_u32 v19, v48, v11, v15
	v_add_u32_e32 v15, 6, v19
	v_and_b32_e32 v11, 0xfffff, v14
	v_add_u32_e32 v50, v11, v10
	v_cmp_ne_u32_e32 vcc, 0, v15
                                        ; implicit-def: $vgpr10_vgpr11
                                        ; implicit-def: $vgpr14
	s_and_saveexec_b64 s[20:21], vcc
	s_xor_b64 s[20:21], exec, s[20:21]
; %bb.4538:                             ;   in Loop: Header=BB4_3228 Depth=2
	v_cmp_lt_u64_e32 vcc, s[74:75], v[50:51]
	v_add_u32_e32 v10, 7, v19
	v_cndmask_b32_e32 v14, v15, v10, vcc
	v_cndmask_b32_e64 v10, 0, 1, vcc
	v_lshrrev_b64 v[10:11], v10, v[50:51]
; %bb.4539:                             ;   in Loop: Header=BB4_3228 Depth=2
	s_andn2_saveexec_b64 s[20:21], s[20:21]
; %bb.4540:                             ;   in Loop: Header=BB4_3228 Depth=2
	v_mov_b32_e32 v10, v50
	v_bfe_u32 v14, v50, 23, 1
	v_mov_b32_e32 v11, v51
; %bb.4541:                             ;   in Loop: Header=BB4_3228 Depth=2
	s_or_b64 exec, exec, s[20:21]
	v_lshrrev_b64 v[10:11], 20, v[10:11]
	v_cmp_gt_i32_e32 vcc, 16, v14
	v_cndmask_b32_e32 v11, 0, v11, vcc
	v_cndmask_b32_e32 v10, 7, v10, vcc
	v_cmp_eq_u64_e64 s[20:21], 0, v[10:11]
	v_min_i32_e32 v11, 15, v14
	v_lshlrev_b32_e32 v11, 3, v11
	v_cmp_eq_u32_e32 vcc, 0, v14
	v_and_b32_e32 v11, 0xf8, v11
	v_and_or_b32 v10, v10, 7, v11
	s_and_b64 s[20:21], vcc, s[20:21]
	v_cndmask_b32_e64 v10, v10, 0, s[20:21]
	v_or_b32_e32 v19, v10, v61
.LBB4_4542:                             ;   in Loop: Header=BB4_3228 Depth=2
	s_or_b64 exec, exec, s[94:95]
                                        ; implicit-def: $vgpr61
.LBB4_4543:                             ;   in Loop: Header=BB4_3228 Depth=2
	s_andn2_saveexec_b64 s[20:21], s[92:93]
; %bb.4544:                             ;   in Loop: Header=BB4_3228 Depth=2
	v_or_b32_e32 v19, 0x7e, v61
; %bb.4545:                             ;   in Loop: Header=BB4_3228 Depth=2
	s_or_b64 exec, exec, s[20:21]
                                        ; implicit-def: $vgpr15
.LBB4_4546:                             ;   in Loop: Header=BB4_3228 Depth=2
	s_andn2_saveexec_b64 s[20:21], s[90:91]
; %bb.4547:                             ;   in Loop: Header=BB4_3228 Depth=2
	v_or_b32_sdwa v19, v15, s51 dst_sel:DWORD dst_unused:UNUSED_PAD src0_sel:BYTE_3 src1_sel:DWORD
; %bb.4548:                             ;   in Loop: Header=BB4_3228 Depth=2
	s_or_b64 exec, exec, s[20:21]
	v_lshrrev_b32_e32 v11, 16, v17
	v_lshrrev_b32_e32 v10, 16, v13
	v_cmp_ne_u16_sdwa s[20:21], v11, v51 src0_sel:BYTE_0 src1_sel:DWORD
	s_and_b64 vcc, exec, s[18:19]
	s_mov_b64 s[90:91], -1
                                        ; implicit-def: $vgpr15
	s_cbranch_vccnz .LBB4_4562
; %bb.4549:                             ;   in Loop: Header=BB4_3228 Depth=2
	v_mov_b32_e32 v15, 0
	v_mov_b32_e32 v14, 0
	s_and_saveexec_b64 s[90:91], s[20:21]
	s_cbranch_execz .LBB4_4555
; %bb.4550:                             ;   in Loop: Header=BB4_3228 Depth=2
	v_cmp_ne_u16_sdwa s[94:95], v11, s49 src0_sel:BYTE_0 src1_sel:DWORD
	v_bfrev_b32_e32 v14, 1
	s_and_saveexec_b64 s[92:93], s[94:95]
	s_cbranch_execz .LBB4_4554
; %bb.4551:                             ;   in Loop: Header=BB4_3228 Depth=2
	v_bfe_u32 v48, v17, 16, 7
	v_cmp_ne_u32_e32 vcc, s51, v48
	v_mov_b32_e32 v14, 0x7f800001
	s_and_saveexec_b64 s[94:95], vcc
	s_cbranch_execz .LBB4_4553
; %bb.4552:                             ;   in Loop: Header=BB4_3228 Depth=2
	v_and_b32_e32 v14, 7, v11
	v_ffbh_u32_e32 v34, v14
	v_lshrrev_b32_e32 v49, 3, v48
	v_cmp_gt_u32_e32 vcc, 8, v48
	v_min_u32_e32 v48, 32, v34
	v_subrev_u32_e32 v34, 28, v48
	v_lshlrev_b64 v[34:35], v34, v[11:12]
	v_sub_u32_e32 v35, 29, v48
	v_and_b32_e32 v34, 7, v34
	v_cndmask_b32_e32 v35, v49, v35, vcc
	v_cndmask_b32_e32 v14, v14, v34, vcc
	v_lshlrev_b32_e32 v34, 24, v11
	v_lshlrev_b32_e32 v14, 20, v14
	v_and_b32_e32 v34, 0x80000000, v34
	v_lshl_add_u32 v35, v35, 23, v62
	v_mov_b32_e32 v49, 0xffffff82
	v_or3_b32 v14, v34, v35, v14
.LBB4_4553:                             ;   in Loop: Header=BB4_3228 Depth=2
	s_or_b64 exec, exec, s[94:95]
.LBB4_4554:                             ;   in Loop: Header=BB4_3228 Depth=2
	s_or_b64 exec, exec, s[92:93]
.LBB4_4555:                             ;   in Loop: Header=BB4_3228 Depth=2
	s_or_b64 exec, exec, s[90:91]
	v_cmp_ne_u16_sdwa s[92:93], v10, v51 src0_sel:BYTE_0 src1_sel:DWORD
	s_and_saveexec_b64 s[90:91], s[92:93]
	s_cbranch_execz .LBB4_4561
; %bb.4556:                             ;   in Loop: Header=BB4_3228 Depth=2
	v_cmp_ne_u16_sdwa s[94:95], v10, s49 src0_sel:BYTE_0 src1_sel:DWORD
	v_bfrev_b32_e32 v15, 1
	s_and_saveexec_b64 s[92:93], s[94:95]
	s_cbranch_execz .LBB4_4560
; %bb.4557:                             ;   in Loop: Header=BB4_3228 Depth=2
	v_bfe_u32 v48, v13, 16, 7
	v_cmp_ne_u32_e32 vcc, s51, v48
	v_mov_b32_e32 v15, 0x7f800001
	s_and_saveexec_b64 s[94:95], vcc
	s_cbranch_execz .LBB4_4559
; %bb.4558:                             ;   in Loop: Header=BB4_3228 Depth=2
	v_and_b32_e32 v15, 7, v10
	v_ffbh_u32_e32 v34, v15
	v_lshrrev_b32_e32 v49, 3, v48
	v_cmp_gt_u32_e32 vcc, 8, v48
	v_min_u32_e32 v48, 32, v34
	v_subrev_u32_e32 v34, 28, v48
	v_lshlrev_b64 v[34:35], v34, v[10:11]
	v_sub_u32_e32 v35, 29, v48
	v_and_b32_e32 v34, 7, v34
	v_cndmask_b32_e32 v35, v49, v35, vcc
	v_cndmask_b32_e32 v15, v15, v34, vcc
	v_lshlrev_b32_e32 v34, 24, v10
	v_lshlrev_b32_e32 v15, 20, v15
	v_and_b32_e32 v34, 0x80000000, v34
	v_lshl_add_u32 v35, v35, 23, v62
	v_mov_b32_e32 v49, 0xffffff82
	v_or3_b32 v15, v34, v35, v15
.LBB4_4559:                             ;   in Loop: Header=BB4_3228 Depth=2
	s_or_b64 exec, exec, s[94:95]
.LBB4_4560:                             ;   in Loop: Header=BB4_3228 Depth=2
	s_or_b64 exec, exec, s[92:93]
.LBB4_4561:                             ;   in Loop: Header=BB4_3228 Depth=2
	s_or_b64 exec, exec, s[90:91]
	v_max_f32_e32 v15, v15, v15
	v_max_f32_e32 v14, v14, v14
	;; [unrolled: 1-line block ×3, first 2 shown]
	s_mov_b64 s[90:91], 0
.LBB4_4562:                             ;   in Loop: Header=BB4_3228 Depth=2
	s_and_b64 vcc, exec, s[90:91]
	s_cbranch_vccz .LBB4_4576
; %bb.4563:                             ;   in Loop: Header=BB4_3228 Depth=2
	v_mov_b32_e32 v15, 0
	v_mov_b32_e32 v14, 0
	s_and_saveexec_b64 s[90:91], s[20:21]
	s_cbranch_execz .LBB4_4569
; %bb.4564:                             ;   in Loop: Header=BB4_3228 Depth=2
	v_cmp_ne_u16_sdwa s[92:93], v11, s49 src0_sel:BYTE_0 src1_sel:DWORD
	v_bfrev_b32_e32 v14, 1
	s_and_saveexec_b64 s[20:21], s[92:93]
	s_cbranch_execz .LBB4_4568
; %bb.4565:                             ;   in Loop: Header=BB4_3228 Depth=2
	v_bfe_u32 v48, v17, 16, 7
	v_cmp_ne_u32_e32 vcc, s51, v48
	v_mov_b32_e32 v14, 0x7f800001
	s_and_saveexec_b64 s[92:93], vcc
	s_cbranch_execz .LBB4_4567
; %bb.4566:                             ;   in Loop: Header=BB4_3228 Depth=2
	v_and_b32_e32 v14, 7, v11
	v_ffbh_u32_e32 v34, v14
	v_lshrrev_b32_e32 v49, 3, v48
	v_cmp_gt_u32_e32 vcc, 8, v48
	v_min_u32_e32 v48, 32, v34
	v_subrev_u32_e32 v34, 28, v48
	v_lshlrev_b64 v[34:35], v34, v[11:12]
	v_sub_u32_e32 v35, 29, v48
	v_and_b32_e32 v34, 7, v34
	v_cndmask_b32_e32 v35, v49, v35, vcc
	v_cndmask_b32_e32 v14, v14, v34, vcc
	v_lshlrev_b32_e32 v11, 24, v11
	v_lshlrev_b32_e32 v14, 20, v14
	v_and_b32_e32 v11, 0x80000000, v11
	v_lshl_add_u32 v34, v35, 23, v62
	v_mov_b32_e32 v49, 0xffffff82
	v_or3_b32 v14, v11, v34, v14
.LBB4_4567:                             ;   in Loop: Header=BB4_3228 Depth=2
	s_or_b64 exec, exec, s[92:93]
.LBB4_4568:                             ;   in Loop: Header=BB4_3228 Depth=2
	s_or_b64 exec, exec, s[20:21]
.LBB4_4569:                             ;   in Loop: Header=BB4_3228 Depth=2
	s_or_b64 exec, exec, s[90:91]
	v_cmp_ne_u16_sdwa s[90:91], v10, v51 src0_sel:BYTE_0 src1_sel:DWORD
	s_and_saveexec_b64 s[20:21], s[90:91]
	s_cbranch_execz .LBB4_4575
; %bb.4570:                             ;   in Loop: Header=BB4_3228 Depth=2
	v_cmp_ne_u16_sdwa s[92:93], v10, s49 src0_sel:BYTE_0 src1_sel:DWORD
	v_bfrev_b32_e32 v15, 1
	s_and_saveexec_b64 s[90:91], s[92:93]
	s_cbranch_execz .LBB4_4574
; %bb.4571:                             ;   in Loop: Header=BB4_3228 Depth=2
	v_bfe_u32 v11, v13, 16, 7
	v_cmp_ne_u32_e32 vcc, s51, v11
	v_mov_b32_e32 v15, 0x7f800001
	s_and_saveexec_b64 s[92:93], vcc
	s_cbranch_execz .LBB4_4573
; %bb.4572:                             ;   in Loop: Header=BB4_3228 Depth=2
	v_and_b32_e32 v15, 7, v10
	v_lshrrev_b32_e32 v48, 3, v11
	v_cmp_gt_u32_e32 vcc, 8, v11
	v_ffbh_u32_e32 v11, v15
	v_min_u32_e32 v11, 32, v11
	v_subrev_u32_e32 v34, 28, v11
	v_lshlrev_b64 v[34:35], v34, v[10:11]
	v_sub_u32_e32 v11, 29, v11
	v_and_b32_e32 v34, 7, v34
	v_cndmask_b32_e32 v11, v48, v11, vcc
	v_cndmask_b32_e32 v15, v15, v34, vcc
	v_lshlrev_b32_e32 v10, 24, v10
	v_lshlrev_b32_e32 v15, 20, v15
	v_and_b32_e32 v10, 0x80000000, v10
	v_lshl_add_u32 v11, v11, 23, v62
	v_or3_b32 v15, v10, v11, v15
.LBB4_4573:                             ;   in Loop: Header=BB4_3228 Depth=2
	s_or_b64 exec, exec, s[92:93]
.LBB4_4574:                             ;   in Loop: Header=BB4_3228 Depth=2
	s_or_b64 exec, exec, s[90:91]
.LBB4_4575:                             ;   in Loop: Header=BB4_3228 Depth=2
	s_or_b64 exec, exec, s[20:21]
	v_max_f32_e32 v10, v15, v15
	v_max_f32_e32 v11, v14, v14
	v_min_f32_e32 v15, v11, v10
.LBB4_4576:                             ;   in Loop: Header=BB4_3228 Depth=2
	v_and_b32_e32 v50, 0x7f800000, v15
	v_cmp_ne_u64_e32 vcc, s[62:63], v[50:51]
                                        ; implicit-def: $vgpr14
	s_and_saveexec_b64 s[20:21], vcc
	s_xor_b64 s[90:91], exec, s[20:21]
	s_cbranch_execz .LBB4_4590
; %bb.4577:                             ;   in Loop: Header=BB4_3228 Depth=2
	v_and_b32_e32 v50, 0x7fffffff, v15
	v_cmp_gt_u64_e32 vcc, s[72:73], v[50:51]
	v_and_b32_sdwa v61, v15, s49 dst_sel:DWORD dst_unused:UNUSED_PAD src0_sel:BYTE_3 src1_sel:DWORD
                                        ; implicit-def: $vgpr14
	s_and_saveexec_b64 s[20:21], vcc
	s_xor_b64 s[92:93], exec, s[20:21]
	s_cbranch_execz .LBB4_4587
; %bb.4578:                             ;   in Loop: Header=BB4_3228 Depth=2
	v_mov_b32_e32 v14, 0
	v_cmp_ne_u32_e32 vcc, 0, v15
	s_and_saveexec_b64 s[94:95], vcc
	s_cbranch_execz .LBB4_4586
; %bb.4579:                             ;   in Loop: Header=BB4_3228 Depth=2
	v_bfe_u32 v48, v15, 23, 8
	v_cmp_gt_u32_e64 s[20:21], s53, v48
	v_sub_u32_e32 v11, 0x79, v48
	v_and_b32_e32 v10, 0x7fffff, v15
	v_cmp_eq_u32_e32 vcc, 0, v48
	v_cndmask_b32_e64 v11, 0, v11, s[20:21]
	v_mov_b32_e32 v15, 0x78
	v_or_b32_e32 v14, 0x800000, v10
	v_cndmask_b32_e32 v49, v11, v15, vcc
	v_cndmask_b32_e32 v50, v14, v10, vcc
	v_add_u32_e32 v10, 20, v49
	v_lshlrev_b64 v[10:11], v10, -1
	v_add_u32_e32 v14, 19, v49
	v_lshlrev_b64 v[14:15], v14, 1
	v_bfi_b32 v11, v11, 0, 0
	v_bfi_b32 v10, v10, 0, v50
	v_cmp_eq_u64_e64 s[20:21], v[10:11], v[14:15]
	v_lshrrev_b64 v[10:11], v49, v[50:51]
	v_mov_b32_e32 v34, 0xffffff82
	v_mov_b32_e32 v15, v11
	;; [unrolled: 1-line block ×3, first 2 shown]
	s_and_saveexec_b64 s[30:31], s[20:21]
; %bb.4580:                             ;   in Loop: Header=BB4_3228 Depth=2
	v_bfe_u32 v11, v10, 20, 1
	v_add_co_u32_e64 v11, s[20:21], v10, v11
	v_add_co_u32_e64 v14, s[20:21], -1, v11
; %bb.4581:                             ;   in Loop: Header=BB4_3228 Depth=2
	s_or_b64 exec, exec, s[30:31]
	v_add_u32_e32 v11, 0xffffff81, v48
	v_cndmask_b32_e32 v11, v11, v34, vcc
	v_lshrrev_b32_e32 v15, 23, v10
	v_add3_u32 v48, v49, v11, v15
	v_add_u32_e32 v15, 6, v48
	v_and_b32_e32 v11, 0xfffff, v14
	v_add_u32_e32 v50, v11, v10
	v_cmp_ne_u32_e32 vcc, 0, v15
                                        ; implicit-def: $vgpr10_vgpr11
                                        ; implicit-def: $vgpr14
	s_and_saveexec_b64 s[20:21], vcc
	s_xor_b64 s[20:21], exec, s[20:21]
; %bb.4582:                             ;   in Loop: Header=BB4_3228 Depth=2
	v_cmp_lt_u64_e32 vcc, s[74:75], v[50:51]
	v_add_u32_e32 v10, 7, v48
	v_cndmask_b32_e32 v14, v15, v10, vcc
	v_cndmask_b32_e64 v10, 0, 1, vcc
	v_lshrrev_b64 v[10:11], v10, v[50:51]
; %bb.4583:                             ;   in Loop: Header=BB4_3228 Depth=2
	s_andn2_saveexec_b64 s[20:21], s[20:21]
; %bb.4584:                             ;   in Loop: Header=BB4_3228 Depth=2
	v_mov_b32_e32 v10, v50
	v_bfe_u32 v14, v50, 23, 1
	v_mov_b32_e32 v11, v51
; %bb.4585:                             ;   in Loop: Header=BB4_3228 Depth=2
	s_or_b64 exec, exec, s[20:21]
	v_lshrrev_b64 v[10:11], 20, v[10:11]
	v_cmp_gt_i32_e32 vcc, 16, v14
	v_cndmask_b32_e32 v11, 0, v11, vcc
	v_cndmask_b32_e32 v10, 7, v10, vcc
	v_cmp_eq_u64_e64 s[20:21], 0, v[10:11]
	v_min_i32_e32 v11, 15, v14
	v_lshlrev_b32_e32 v11, 3, v11
	v_cmp_eq_u32_e32 vcc, 0, v14
	v_and_b32_e32 v11, 0xf8, v11
	v_and_or_b32 v10, v10, 7, v11
	s_and_b64 s[20:21], vcc, s[20:21]
	v_cndmask_b32_e64 v10, v10, 0, s[20:21]
	v_or_b32_e32 v14, v10, v61
	v_mov_b32_e32 v49, 0xffffff82
.LBB4_4586:                             ;   in Loop: Header=BB4_3228 Depth=2
	s_or_b64 exec, exec, s[94:95]
                                        ; implicit-def: $vgpr61
.LBB4_4587:                             ;   in Loop: Header=BB4_3228 Depth=2
	s_andn2_saveexec_b64 s[20:21], s[92:93]
; %bb.4588:                             ;   in Loop: Header=BB4_3228 Depth=2
	v_or_b32_e32 v14, 0x7e, v61
; %bb.4589:                             ;   in Loop: Header=BB4_3228 Depth=2
	s_or_b64 exec, exec, s[20:21]
                                        ; implicit-def: $vgpr15
.LBB4_4590:                             ;   in Loop: Header=BB4_3228 Depth=2
	s_andn2_saveexec_b64 s[20:21], s[90:91]
; %bb.4591:                             ;   in Loop: Header=BB4_3228 Depth=2
	v_or_b32_sdwa v14, v15, s51 dst_sel:DWORD dst_unused:UNUSED_PAD src0_sel:BYTE_3 src1_sel:DWORD
; %bb.4592:                             ;   in Loop: Header=BB4_3228 Depth=2
	s_or_b64 exec, exec, s[20:21]
	v_cmp_lt_u64_e64 s[20:21], s[76:77], v[16:17]
	v_lshrrev_b32_e32 v11, 24, v17
	v_lshrrev_b32_e32 v10, 24, v13
	s_and_b64 vcc, exec, s[18:19]
	s_mov_b64 s[18:19], -1
                                        ; implicit-def: $vgpr15
	s_cbranch_vccnz .LBB4_4606
; %bb.4593:                             ;   in Loop: Header=BB4_3228 Depth=2
	v_mov_b32_e32 v16, 0
	v_mov_b32_e32 v15, 0
	s_and_saveexec_b64 s[18:19], s[20:21]
	s_cbranch_execz .LBB4_4599
; %bb.4594:                             ;   in Loop: Header=BB4_3228 Depth=2
	v_cmp_ne_u32_e32 vcc, s49, v11
	v_bfrev_b32_e32 v15, 1
	s_and_saveexec_b64 s[90:91], vcc
	s_cbranch_execz .LBB4_4598
; %bb.4595:                             ;   in Loop: Header=BB4_3228 Depth=2
	v_bfe_u32 v48, v17, 24, 7
	v_cmp_ne_u32_e32 vcc, s51, v48
	v_mov_b32_e32 v15, 0x7f800001
	s_and_saveexec_b64 s[92:93], vcc
	s_cbranch_execz .LBB4_4597
; %bb.4596:                             ;   in Loop: Header=BB4_3228 Depth=2
	v_and_b32_e32 v15, 7, v11
	v_ffbh_u32_e32 v34, v15
	v_lshrrev_b32_e32 v49, 3, v48
	v_cmp_gt_u32_e32 vcc, 8, v48
	v_min_u32_e32 v48, 32, v34
	v_subrev_u32_e32 v34, 28, v48
	v_lshlrev_b64 v[34:35], v34, v[11:12]
	v_sub_u32_e32 v35, 29, v48
	v_and_b32_e32 v34, 7, v34
	v_cndmask_b32_e32 v35, v49, v35, vcc
	v_cndmask_b32_e32 v15, v15, v34, vcc
	v_lshlrev_b32_e32 v34, 24, v11
	v_lshlrev_b32_e32 v15, 20, v15
	v_and_b32_e32 v34, 0x80000000, v34
	v_lshl_add_u32 v35, v35, 23, v62
	v_mov_b32_e32 v49, 0xffffff82
	v_or3_b32 v15, v34, v35, v15
.LBB4_4597:                             ;   in Loop: Header=BB4_3228 Depth=2
	s_or_b64 exec, exec, s[92:93]
.LBB4_4598:                             ;   in Loop: Header=BB4_3228 Depth=2
	s_or_b64 exec, exec, s[90:91]
.LBB4_4599:                             ;   in Loop: Header=BB4_3228 Depth=2
	s_or_b64 exec, exec, s[18:19]
	v_cmp_lt_u64_e32 vcc, s[76:77], v[12:13]
	s_and_saveexec_b64 s[18:19], vcc
	s_cbranch_execz .LBB4_4605
; %bb.4600:                             ;   in Loop: Header=BB4_3228 Depth=2
	v_cmp_ne_u32_e32 vcc, s49, v10
	v_bfrev_b32_e32 v16, 1
	s_and_saveexec_b64 s[90:91], vcc
	s_cbranch_execz .LBB4_4604
; %bb.4601:                             ;   in Loop: Header=BB4_3228 Depth=2
	v_bfe_u32 v48, v13, 24, 7
	v_cmp_ne_u32_e32 vcc, s51, v48
	v_mov_b32_e32 v16, 0x7f800001
	s_and_saveexec_b64 s[92:93], vcc
	s_cbranch_execz .LBB4_4603
; %bb.4602:                             ;   in Loop: Header=BB4_3228 Depth=2
	v_and_b32_e32 v16, 7, v10
	v_ffbh_u32_e32 v34, v16
	v_lshrrev_b32_e32 v49, 3, v48
	v_cmp_gt_u32_e32 vcc, 8, v48
	v_min_u32_e32 v48, 32, v34
	v_subrev_u32_e32 v34, 28, v48
	v_lshlrev_b64 v[34:35], v34, v[10:11]
	v_sub_u32_e32 v35, 29, v48
	v_and_b32_e32 v34, 7, v34
	v_cndmask_b32_e32 v35, v49, v35, vcc
	v_cndmask_b32_e32 v16, v16, v34, vcc
	v_lshlrev_b32_e32 v34, 24, v10
	v_lshlrev_b32_e32 v16, 20, v16
	v_and_b32_e32 v34, 0x80000000, v34
	v_lshl_add_u32 v35, v35, 23, v62
	v_mov_b32_e32 v49, 0xffffff82
	v_or3_b32 v16, v34, v35, v16
.LBB4_4603:                             ;   in Loop: Header=BB4_3228 Depth=2
	s_or_b64 exec, exec, s[92:93]
.LBB4_4604:                             ;   in Loop: Header=BB4_3228 Depth=2
	s_or_b64 exec, exec, s[90:91]
.LBB4_4605:                             ;   in Loop: Header=BB4_3228 Depth=2
	s_or_b64 exec, exec, s[18:19]
	v_max_f32_e32 v16, v16, v16
	v_max_f32_e32 v15, v15, v15
	;; [unrolled: 1-line block ×3, first 2 shown]
	s_mov_b64 s[18:19], 0
.LBB4_4606:                             ;   in Loop: Header=BB4_3228 Depth=2
	s_and_b64 vcc, exec, s[18:19]
	s_cbranch_vccz .LBB4_4620
; %bb.4607:                             ;   in Loop: Header=BB4_3228 Depth=2
	v_mov_b32_e32 v16, 0
	v_mov_b32_e32 v15, 0
	s_and_saveexec_b64 s[18:19], s[20:21]
	s_cbranch_execz .LBB4_4613
; %bb.4608:                             ;   in Loop: Header=BB4_3228 Depth=2
	v_cmp_ne_u32_e32 vcc, s49, v11
	v_bfrev_b32_e32 v15, 1
	s_and_saveexec_b64 s[20:21], vcc
	s_cbranch_execz .LBB4_4612
; %bb.4609:                             ;   in Loop: Header=BB4_3228 Depth=2
	v_bfe_u32 v17, v17, 24, 7
	v_cmp_ne_u32_e32 vcc, s51, v17
	v_mov_b32_e32 v15, 0x7f800001
	s_and_saveexec_b64 s[90:91], vcc
	s_cbranch_execz .LBB4_4611
; %bb.4610:                             ;   in Loop: Header=BB4_3228 Depth=2
	v_and_b32_e32 v15, 7, v11
	v_lshrrev_b32_e32 v48, 3, v17
	v_cmp_gt_u32_e32 vcc, 8, v17
	v_ffbh_u32_e32 v17, v15
	v_min_u32_e32 v17, 32, v17
	v_subrev_u32_e32 v34, 28, v17
	v_lshlrev_b64 v[34:35], v34, v[11:12]
	v_sub_u32_e32 v17, 29, v17
	v_and_b32_e32 v34, 7, v34
	v_cndmask_b32_e32 v17, v48, v17, vcc
	v_cndmask_b32_e32 v15, v15, v34, vcc
	v_lshlrev_b32_e32 v11, 24, v11
	v_lshlrev_b32_e32 v15, 20, v15
	v_and_b32_e32 v11, 0x80000000, v11
	v_lshl_add_u32 v17, v17, 23, v62
	v_or3_b32 v15, v11, v17, v15
.LBB4_4611:                             ;   in Loop: Header=BB4_3228 Depth=2
	s_or_b64 exec, exec, s[90:91]
.LBB4_4612:                             ;   in Loop: Header=BB4_3228 Depth=2
	s_or_b64 exec, exec, s[20:21]
.LBB4_4613:                             ;   in Loop: Header=BB4_3228 Depth=2
	s_or_b64 exec, exec, s[18:19]
	v_cmp_lt_u64_e32 vcc, s[76:77], v[12:13]
	s_and_saveexec_b64 s[18:19], vcc
	s_cbranch_execz .LBB4_4619
; %bb.4614:                             ;   in Loop: Header=BB4_3228 Depth=2
	v_cmp_ne_u32_e32 vcc, s49, v10
	v_bfrev_b32_e32 v16, 1
	s_and_saveexec_b64 s[20:21], vcc
	s_cbranch_execz .LBB4_4618
; %bb.4615:                             ;   in Loop: Header=BB4_3228 Depth=2
	v_bfe_u32 v11, v13, 24, 7
	v_cmp_ne_u32_e32 vcc, s51, v11
	v_mov_b32_e32 v16, 0x7f800001
	s_and_saveexec_b64 s[90:91], vcc
	s_cbranch_execz .LBB4_4617
; %bb.4616:                             ;   in Loop: Header=BB4_3228 Depth=2
	v_and_b32_e32 v13, 7, v10
	v_lshrrev_b32_e32 v16, 3, v11
	v_cmp_gt_u32_e32 vcc, 8, v11
	v_ffbh_u32_e32 v11, v13
	v_min_u32_e32 v17, 32, v11
	v_subrev_u32_e32 v11, 28, v17
	v_lshlrev_b64 v[11:12], v11, v[10:11]
	v_sub_u32_e32 v12, 29, v17
	v_and_b32_e32 v11, 7, v11
	v_cndmask_b32_e32 v12, v16, v12, vcc
	v_cndmask_b32_e32 v11, v13, v11, vcc
	v_lshlrev_b32_e32 v10, 24, v10
	v_lshlrev_b32_e32 v11, 20, v11
	v_and_b32_e32 v10, 0x80000000, v10
	v_lshl_add_u32 v12, v12, 23, v62
	v_or3_b32 v16, v10, v12, v11
.LBB4_4617:                             ;   in Loop: Header=BB4_3228 Depth=2
	s_or_b64 exec, exec, s[90:91]
.LBB4_4618:                             ;   in Loop: Header=BB4_3228 Depth=2
	s_or_b64 exec, exec, s[20:21]
.LBB4_4619:                             ;   in Loop: Header=BB4_3228 Depth=2
	s_or_b64 exec, exec, s[18:19]
	v_max_f32_e32 v10, v16, v16
	v_max_f32_e32 v11, v15, v15
	v_min_f32_e32 v15, v11, v10
.LBB4_4620:                             ;   in Loop: Header=BB4_3228 Depth=2
	v_and_b32_e32 v50, 0x7f800000, v15
	v_cmp_ne_u64_e32 vcc, s[62:63], v[50:51]
                                        ; implicit-def: $vgpr10
	s_and_saveexec_b64 s[18:19], vcc
	s_xor_b64 s[20:21], exec, s[18:19]
	s_cbranch_execz .LBB4_4634
; %bb.4621:                             ;   in Loop: Header=BB4_3228 Depth=2
	v_and_b32_e32 v50, 0x7fffffff, v15
	v_cmp_gt_u64_e32 vcc, s[72:73], v[50:51]
	v_and_b32_sdwa v13, v15, s49 dst_sel:DWORD dst_unused:UNUSED_PAD src0_sel:BYTE_3 src1_sel:DWORD
                                        ; implicit-def: $vgpr10
	s_and_saveexec_b64 s[18:19], vcc
	s_xor_b64 s[90:91], exec, s[18:19]
	s_cbranch_execz .LBB4_4631
; %bb.4622:                             ;   in Loop: Header=BB4_3228 Depth=2
	v_mov_b32_e32 v10, 0
	v_cmp_ne_u32_e32 vcc, 0, v15
	s_and_saveexec_b64 s[92:93], vcc
	s_cbranch_execz .LBB4_4630
; %bb.4623:                             ;   in Loop: Header=BB4_3228 Depth=2
	v_and_b32_e32 v10, 0x7fffff, v15
	v_bfe_u32 v15, v15, 23, 8
	v_cmp_gt_u32_e64 s[18:19], s53, v15
	v_sub_u32_e32 v11, 0x79, v15
	v_cmp_eq_u32_e32 vcc, 0, v15
	v_cndmask_b32_e64 v11, 0, v11, s[18:19]
	v_mov_b32_e32 v16, 0x78
	v_or_b32_e32 v12, 0x800000, v10
	v_cndmask_b32_e32 v16, v11, v16, vcc
	v_cndmask_b32_e32 v50, v12, v10, vcc
	v_add_u32_e32 v10, 20, v16
	v_lshlrev_b64 v[10:11], v10, -1
	v_add_u32_e32 v12, 19, v16
	v_lshlrev_b64 v[34:35], v12, 1
	v_bfi_b32 v11, v11, 0, 0
	v_bfi_b32 v10, v10, 0, v50
	v_cmp_eq_u64_e64 s[18:19], v[10:11], v[34:35]
	v_lshrrev_b64 v[10:11], v16, v[50:51]
	v_mov_b32_e32 v12, v11
	v_mov_b32_e32 v11, v10
	s_and_saveexec_b64 s[94:95], s[18:19]
; %bb.4624:                             ;   in Loop: Header=BB4_3228 Depth=2
	v_bfe_u32 v11, v10, 20, 1
	v_add_co_u32_e64 v11, s[18:19], v10, v11
	v_add_co_u32_e64 v11, s[18:19], -1, v11
; %bb.4625:                             ;   in Loop: Header=BB4_3228 Depth=2
	s_or_b64 exec, exec, s[94:95]
	v_add_u32_e32 v12, 0xffffff81, v15
	v_cndmask_b32_e32 v12, v12, v49, vcc
	v_lshrrev_b32_e32 v15, 23, v10
	v_add3_u32 v16, v16, v12, v15
	v_add_u32_e32 v15, 6, v16
	v_and_b32_e32 v11, 0xfffff, v11
	v_add_u32_e32 v50, v11, v10
	v_cmp_ne_u32_e32 vcc, 0, v15
                                        ; implicit-def: $vgpr10_vgpr11
                                        ; implicit-def: $vgpr12
	s_and_saveexec_b64 s[18:19], vcc
	s_xor_b64 s[18:19], exec, s[18:19]
; %bb.4626:                             ;   in Loop: Header=BB4_3228 Depth=2
	v_cmp_lt_u64_e32 vcc, s[74:75], v[50:51]
	v_add_u32_e32 v10, 7, v16
	v_cndmask_b32_e32 v12, v15, v10, vcc
	v_cndmask_b32_e64 v10, 0, 1, vcc
	v_lshrrev_b64 v[10:11], v10, v[50:51]
; %bb.4627:                             ;   in Loop: Header=BB4_3228 Depth=2
	s_andn2_saveexec_b64 s[18:19], s[18:19]
; %bb.4628:                             ;   in Loop: Header=BB4_3228 Depth=2
	v_mov_b32_e32 v10, v50
	v_bfe_u32 v12, v50, 23, 1
	v_mov_b32_e32 v11, v51
; %bb.4629:                             ;   in Loop: Header=BB4_3228 Depth=2
	s_or_b64 exec, exec, s[18:19]
	v_lshrrev_b64 v[10:11], 20, v[10:11]
	v_cmp_gt_i32_e32 vcc, 16, v12
	v_cndmask_b32_e32 v11, 0, v11, vcc
	v_cndmask_b32_e32 v10, 7, v10, vcc
	v_cmp_eq_u64_e64 s[18:19], 0, v[10:11]
	v_min_i32_e32 v11, 15, v12
	v_lshlrev_b32_e32 v11, 3, v11
	v_cmp_eq_u32_e32 vcc, 0, v12
	v_and_b32_e32 v11, 0xf8, v11
	v_and_or_b32 v10, v10, 7, v11
	s_and_b64 s[18:19], vcc, s[18:19]
	v_cndmask_b32_e64 v10, v10, 0, s[18:19]
	v_or_b32_e32 v10, v10, v13
.LBB4_4630:                             ;   in Loop: Header=BB4_3228 Depth=2
	s_or_b64 exec, exec, s[92:93]
                                        ; implicit-def: $vgpr13
.LBB4_4631:                             ;   in Loop: Header=BB4_3228 Depth=2
	s_andn2_saveexec_b64 s[18:19], s[90:91]
; %bb.4632:                             ;   in Loop: Header=BB4_3228 Depth=2
	v_or_b32_e32 v10, 0x7e, v13
; %bb.4633:                             ;   in Loop: Header=BB4_3228 Depth=2
	s_or_b64 exec, exec, s[18:19]
                                        ; implicit-def: $vgpr15
.LBB4_4634:                             ;   in Loop: Header=BB4_3228 Depth=2
	s_andn2_saveexec_b64 s[18:19], s[20:21]
	s_cbranch_execz .LBB4_3227
; %bb.4635:                             ;   in Loop: Header=BB4_3228 Depth=2
	v_or_b32_sdwa v10, v15, s51 dst_sel:DWORD dst_unused:UNUSED_PAD src0_sel:BYTE_3 src1_sel:DWORD
	s_branch .LBB4_3227
.LBB4_4636:                             ;   in Loop: Header=BB4_3153 Depth=1
	s_or_b64 exec, exec, s[24:25]
	buffer_load_dword v47, off, s[0:3], s33 offset:172 ; 4-byte Folded Reload
	buffer_load_dword v56, off, s[0:3], s33 offset:200 ; 4-byte Folded Reload
	;; [unrolled: 1-line block ×3, first 2 shown]
.LBB4_4637:                             ;   in Loop: Header=BB4_3153 Depth=1
	s_or_b64 exec, exec, s[22:23]
	buffer_load_dword v0, off, s[0:3], s33 offset:144 ; 4-byte Folded Reload
	s_mov_b64 s[18:19], 0
	v_mov_b32_e32 v4, 0
                                        ; implicit-def: $vgpr2
                                        ; implicit-def: $vgpr5
	s_waitcnt vmcnt(0)
	v_and_b32_e32 v1, 0x3ffff800, v0
	v_cmp_ne_u32_e32 vcc, v0, v1
	s_and_saveexec_b64 s[90:91], vcc
	s_cbranch_execz .LBB4_5347
; %bb.4638:                             ;   in Loop: Header=BB4_3153 Depth=1
	buffer_load_dword v13, off, s[0:3], s33 offset:144 ; 4-byte Folded Reload
	buffer_load_dword v3, off, s[0:3], s33 offset:208 ; 4-byte Folded Reload
	v_lshlrev_b32_e32 v2, 6, v41
	s_waitcnt vmcnt(1)
	v_and_b32_e32 v0, 0x7ff, v13
	s_waitcnt vmcnt(0)
	v_sub_u32_e32 v2, v3, v2
	v_ashrrev_i32_e32 v3, 31, v2
	v_lshrrev_b32_e32 v3, 26, v3
	v_add_u32_e32 v3, v2, v3
	v_ashrrev_i32_e32 v11, 6, v3
	v_and_b32_e32 v3, 0xffffffc0, v3
	v_sub_u32_e32 v3, v2, v3
	v_lshlrev_b32_e32 v2, 4, v3
	v_lshl_add_u32 v10, v11, 10, v2
	v_and_b32_e32 v2, 0x3ff, v13
	v_bfe_u32 v12, v13, 10, 1
	v_cmp_lt_u32_e64 s[18:19], 15, v2
	v_sub_u32_e32 v0, v0, v10
	v_addc_co_u32_e64 v12, vcc, 0, v12, s[18:19]
	v_sub_u32_e32 v29, v12, v11
	v_cmp_lt_i32_e32 vcc, 15, v0
	s_and_saveexec_b64 s[92:93], vcc
	s_cbranch_execz .LBB4_5346
; %bb.4639:                             ;   in Loop: Header=BB4_3153 Depth=1
	v_add_u32_e32 v1, v10, v1
	s_trap 2
	ds_read_b64 v[10:11], v0
	buffer_load_dword v13, off, s[0:3], s33 offset:164 ; 4-byte Folded Reload
	buffer_load_dword v14, off, s[0:3], s33 offset:168 ; 4-byte Folded Reload
	v_ashrrev_i32_e32 v12, 31, v1
	s_bitcmp1_b32 s64, 0
	s_mov_b64 s[94:95], 0
	s_cselect_b64 s[30:31], -1, 0
	s_waitcnt vmcnt(1)
	v_add_co_u32_e32 v18, vcc, v1, v13
	s_waitcnt vmcnt(0)
	v_addc_co_u32_e32 v19, vcc, v12, v14, vcc
	s_waitcnt lgkmcnt(0)
	v_add_co_u32_e32 v20, vcc, v10, v1
	v_addc_co_u32_e32 v21, vcc, v11, v12, vcc
	v_add_co_u32_e32 v22, vcc, v1, v56
	v_addc_co_u32_e32 v23, vcc, v12, v57, vcc
	s_branch .LBB4_4641
.LBB4_4640:                             ;   in Loop: Header=BB4_4641 Depth=2
	s_or_b64 exec, exec, s[20:21]
	v_lshl_or_b32 v11, v40, 8, v55
	v_lshlrev_b32_e32 v12, 16, v31
	v_lshlrev_b32_e32 v13, 24, v41
	v_or3_b32 v12, v11, v12, v13
	v_lshl_or_b32 v11, v34, 8, v30
	v_lshlrev_b32_e32 v13, 16, v35
	v_lshlrev_b32_e32 v15, 24, v27
	v_or3_b32 v11, v11, v13, v15
	;; [unrolled: 4-line block ×3, first 2 shown]
	v_lshlrev_b32_e32 v1, 24, v10
	v_lshlrev_b32_e32 v10, 16, v14
	v_lshl_or_b32 v14, v25, 8, v24
	v_or3_b32 v14, v14, v10, v1
	buffer_load_dword v1, off, s[0:3], s33 offset:100 ; 4-byte Folded Reload
	s_waitcnt vmcnt(0)
	v_add_co_u32_e32 v18, vcc, v18, v1
	v_addc_co_u32_e32 v19, vcc, 0, v19, vcc
	v_add_co_u32_e32 v20, vcc, v20, v1
	v_addc_co_u32_e32 v21, vcc, 0, v21, vcc
	global_store_dwordx4 v[22:23], v[11:14], off glc slc
	v_add_co_u32_e32 v22, vcc, v22, v1
	v_sub_u32_e32 v0, v0, v1
	buffer_load_dword v1, off, s[0:3], s33 offset:76 ; 4-byte Folded Reload
	v_addc_co_u32_e32 v23, vcc, 0, v23, vcc
	v_cmp_gt_i32_e32 vcc, 16, v0
	s_or_b64 s[94:95], vcc, s[94:95]
	s_waitcnt vmcnt(0)
	v_sub_u32_e32 v29, v29, v1
	s_andn2_b64 exec, exec, s[94:95]
	s_cbranch_execz .LBB4_5345
.LBB4_4641:                             ;   Parent Loop BB4_3153 Depth=1
                                        ; =>  This Inner Loop Header: Depth=2
	global_load_dwordx4 v[10:13], v[18:19], off glc slc
	global_load_dwordx4 v[14:17], v[20:21], off glc slc
	s_mov_b64 s[24:25], -1
	s_waitcnt vmcnt(1)
	v_cmp_ne_u16_sdwa s[22:23], v10, v51 src0_sel:BYTE_0 src1_sel:DWORD
	s_waitcnt vmcnt(0)
	v_and_b32_e32 v1, 7, v14
	v_ffbh_u32_e32 v1, v1
	v_and_b32_e32 v24, 0x7f, v14
	v_min_u32_e32 v1, 32, v1
	v_cmp_eq_u32_e64 s[20:21], s51, v24
	v_cmp_gt_u32_e32 vcc, 8, v24
	v_subrev_u32_e32 v24, 28, v1
	v_bfe_u32 v25, v14, 3, 4
	v_sub_u32_e32 v1, 29, v1
	v_cndmask_b32_e32 v24, 0, v24, vcc
	v_cndmask_b32_e32 v1, v25, v1, vcc
	v_lshlrev_b64 v[24:25], v24, v[14:15]
	v_lshlrev_b32_e32 v25, 24, v14
	v_lshlrev_b32_e32 v24, 20, v24
	v_and_b32_e32 v24, 0x700000, v24
	v_and_b32_e32 v25, 0x80000000, v25
	v_lshl_add_u32 v1, v1, 23, v62
	v_or3_b32 v1, v25, v1, v24
	s_and_b64 vcc, exec, s[30:31]
                                        ; implicit-def: $vgpr24
	s_cbranch_vccz .LBB4_4655
; %bb.4642:                             ;   in Loop: Header=BB4_4641 Depth=2
	v_mov_b32_e32 v24, 0
	s_and_saveexec_b64 s[24:25], s[22:23]
	s_cbranch_execz .LBB4_4648
; %bb.4643:                             ;   in Loop: Header=BB4_4641 Depth=2
	v_cmp_ne_u16_sdwa vcc, v10, s49 src0_sel:BYTE_0 src1_sel:DWORD
	v_bfrev_b32_e32 v24, 1
	s_and_saveexec_b64 s[26:27], vcc
	s_cbranch_execz .LBB4_4647
; %bb.4644:                             ;   in Loop: Header=BB4_4641 Depth=2
	v_and_b32_e32 v25, 0x7f, v10
	v_cmp_ne_u32_e32 vcc, s51, v25
	v_mov_b32_e32 v24, 0x7f800001
	s_and_saveexec_b64 s[34:35], vcc
	s_cbranch_execz .LBB4_4646
; %bb.4645:                             ;   in Loop: Header=BB4_4641 Depth=2
	v_and_b32_e32 v24, 7, v10
	v_ffbh_u32_e32 v24, v24
	v_min_u32_e32 v24, 32, v24
	v_lshrrev_b32_e32 v26, 3, v25
	v_cmp_gt_u32_e32 vcc, 8, v25
	v_subrev_u32_e32 v25, 28, v24
	v_sub_u32_e32 v24, 29, v24
	v_cndmask_b32_e32 v26, v26, v24, vcc
	v_cndmask_b32_e32 v24, 0, v25, vcc
	v_lshlrev_b64 v[24:25], v24, v[10:11]
	v_lshlrev_b32_e32 v25, 24, v10
	v_lshlrev_b32_e32 v24, 20, v24
	v_and_b32_e32 v24, 0x700000, v24
	v_and_b32_e32 v25, 0x80000000, v25
	v_lshl_add_u32 v26, v26, 23, v62
	v_or3_b32 v24, v25, v26, v24
.LBB4_4646:                             ;   in Loop: Header=BB4_4641 Depth=2
	s_or_b64 exec, exec, s[34:35]
.LBB4_4647:                             ;   in Loop: Header=BB4_4641 Depth=2
	s_or_b64 exec, exec, s[26:27]
.LBB4_4648:                             ;   in Loop: Header=BB4_4641 Depth=2
	s_or_b64 exec, exec, s[24:25]
	v_cmp_gt_i16_sdwa s[26:27], v14, s51 src0_sel:BYTE_0 src1_sel:DWORD
	s_mov_b64 s[24:25], 0
	s_and_saveexec_b64 vcc, s[26:27]
	s_xor_b64 s[26:27], exec, vcc
	s_cbranch_execz .LBB4_5297
; %bb.4649:                             ;   in Loop: Header=BB4_4641 Depth=2
	v_cmp_eq_u16_sdwa s[34:35], v14, s49 src0_sel:BYTE_0 src1_sel:DWORD
	s_mov_b64 s[24:25], -1
	s_and_saveexec_b64 vcc, s[34:35]
; %bb.4650:                             ;   in Loop: Header=BB4_4641 Depth=2
	s_xor_b64 s[24:25], exec, -1
; %bb.4651:                             ;   in Loop: Header=BB4_4641 Depth=2
	s_or_b64 exec, exec, vcc
	s_and_b64 s[24:25], s[24:25], exec
	s_or_saveexec_b64 s[26:27], s[26:27]
	v_bfrev_b32_e32 v25, 1
	s_xor_b64 exec, exec, s[26:27]
	s_cbranch_execnz .LBB4_5298
.LBB4_4652:                             ;   in Loop: Header=BB4_4641 Depth=2
	s_or_b64 exec, exec, s[26:27]
	s_and_saveexec_b64 s[26:27], s[24:25]
.LBB4_4653:                             ;   in Loop: Header=BB4_4641 Depth=2
	v_mov_b32_e32 v25, 0x7f800001
	v_cndmask_b32_e64 v25, v1, v25, s[20:21]
.LBB4_4654:                             ;   in Loop: Header=BB4_4641 Depth=2
	s_or_b64 exec, exec, s[26:27]
	v_max_f32_e32 v25, v25, v25
	v_max_f32_e32 v24, v24, v24
	;; [unrolled: 1-line block ×3, first 2 shown]
	s_mov_b64 s[24:25], 0
.LBB4_4655:                             ;   in Loop: Header=BB4_4641 Depth=2
	s_and_b64 vcc, exec, s[24:25]
	s_cbranch_vccz .LBB4_4669
; %bb.4656:                             ;   in Loop: Header=BB4_4641 Depth=2
	v_mov_b32_e32 v24, 0
	s_and_saveexec_b64 s[24:25], s[22:23]
	s_cbranch_execz .LBB4_4662
; %bb.4657:                             ;   in Loop: Header=BB4_4641 Depth=2
	v_cmp_ne_u16_sdwa s[26:27], v10, s49 src0_sel:BYTE_0 src1_sel:DWORD
	v_bfrev_b32_e32 v24, 1
	s_and_saveexec_b64 s[22:23], s[26:27]
	s_cbranch_execz .LBB4_4661
; %bb.4658:                             ;   in Loop: Header=BB4_4641 Depth=2
	v_and_b32_e32 v25, 0x7f, v10
	v_cmp_ne_u32_e32 vcc, s51, v25
	v_mov_b32_e32 v24, 0x7f800001
	s_and_saveexec_b64 s[26:27], vcc
	s_cbranch_execz .LBB4_4660
; %bb.4659:                             ;   in Loop: Header=BB4_4641 Depth=2
	v_and_b32_e32 v24, 7, v10
	v_ffbh_u32_e32 v24, v24
	v_min_u32_e32 v24, 32, v24
	v_lshrrev_b32_e32 v26, 3, v25
	v_cmp_gt_u32_e32 vcc, 8, v25
	v_subrev_u32_e32 v25, 28, v24
	v_sub_u32_e32 v24, 29, v24
	v_cndmask_b32_e32 v26, v26, v24, vcc
	v_cndmask_b32_e32 v24, 0, v25, vcc
	v_lshlrev_b64 v[24:25], v24, v[10:11]
	v_lshlrev_b32_e32 v25, 24, v10
	v_lshlrev_b32_e32 v24, 20, v24
	v_and_b32_e32 v24, 0x700000, v24
	v_and_b32_e32 v25, 0x80000000, v25
	v_lshl_add_u32 v26, v26, 23, v62
	v_or3_b32 v24, v25, v26, v24
.LBB4_4660:                             ;   in Loop: Header=BB4_4641 Depth=2
	s_or_b64 exec, exec, s[26:27]
.LBB4_4661:                             ;   in Loop: Header=BB4_4641 Depth=2
	s_or_b64 exec, exec, s[22:23]
.LBB4_4662:                             ;   in Loop: Header=BB4_4641 Depth=2
	s_or_b64 exec, exec, s[24:25]
	v_cmp_gt_i16_sdwa s[24:25], v14, s51 src0_sel:BYTE_0 src1_sel:DWORD
	s_mov_b64 s[22:23], 0
	s_and_saveexec_b64 s[26:27], s[24:25]
	s_xor_b64 s[24:25], exec, s[26:27]
	s_cbranch_execz .LBB4_5299
; %bb.4663:                             ;   in Loop: Header=BB4_4641 Depth=2
	v_cmp_eq_u16_sdwa vcc, v14, s49 src0_sel:BYTE_0 src1_sel:DWORD
	s_mov_b64 s[22:23], -1
	s_and_saveexec_b64 s[26:27], vcc
; %bb.4664:                             ;   in Loop: Header=BB4_4641 Depth=2
	s_xor_b64 s[22:23], exec, -1
; %bb.4665:                             ;   in Loop: Header=BB4_4641 Depth=2
	s_or_b64 exec, exec, s[26:27]
	s_and_b64 s[22:23], s[22:23], exec
	s_or_saveexec_b64 s[24:25], s[24:25]
	v_bfrev_b32_e32 v25, 1
	s_xor_b64 exec, exec, s[24:25]
	s_cbranch_execnz .LBB4_5300
.LBB4_4666:                             ;   in Loop: Header=BB4_4641 Depth=2
	s_or_b64 exec, exec, s[24:25]
	s_and_saveexec_b64 s[24:25], s[22:23]
.LBB4_4667:                             ;   in Loop: Header=BB4_4641 Depth=2
	v_mov_b32_e32 v25, 0x7f800001
	v_cndmask_b32_e64 v25, v1, v25, s[20:21]
.LBB4_4668:                             ;   in Loop: Header=BB4_4641 Depth=2
	s_or_b64 exec, exec, s[24:25]
	v_max_f32_e32 v1, v25, v25
	v_max_f32_e32 v24, v24, v24
	v_min_f32_e32 v24, v24, v1
.LBB4_4669:                             ;   in Loop: Header=BB4_4641 Depth=2
	v_and_b32_e32 v50, 0x7f800000, v24
	v_cmp_ne_u64_e32 vcc, s[62:63], v[50:51]
                                        ; implicit-def: $vgpr30
	s_and_saveexec_b64 s[20:21], vcc
	s_xor_b64 s[22:23], exec, s[20:21]
	s_cbranch_execz .LBB4_4683
; %bb.4670:                             ;   in Loop: Header=BB4_4641 Depth=2
	v_and_b32_e32 v50, 0x7fffffff, v24
	v_cmp_gt_u64_e32 vcc, s[72:73], v[50:51]
	v_and_b32_sdwa v1, v24, s49 dst_sel:DWORD dst_unused:UNUSED_PAD src0_sel:BYTE_3 src1_sel:DWORD
                                        ; implicit-def: $vgpr30
	s_and_saveexec_b64 s[20:21], vcc
	s_xor_b64 s[24:25], exec, s[20:21]
	s_cbranch_execz .LBB4_4680
; %bb.4671:                             ;   in Loop: Header=BB4_4641 Depth=2
	v_mov_b32_e32 v30, 0
	v_cmp_ne_u32_e32 vcc, 0, v24
	s_and_saveexec_b64 s[26:27], vcc
	s_cbranch_execz .LBB4_4679
; %bb.4672:                             ;   in Loop: Header=BB4_4641 Depth=2
	v_bfe_u32 v26, v24, 23, 8
	v_and_b32_e32 v25, 0x7fffff, v24
	v_cmp_gt_u32_e64 s[20:21], s53, v26
	v_sub_u32_e32 v24, 0x79, v26
	v_cmp_eq_u32_e32 vcc, 0, v26
	v_cndmask_b32_e64 v24, 0, v24, s[20:21]
	v_mov_b32_e32 v27, 0x78
	v_cndmask_b32_e32 v27, v24, v27, vcc
	v_or_b32_e32 v30, 0x800000, v25
	v_add_u32_e32 v24, 20, v27
	v_cndmask_b32_e32 v50, v30, v25, vcc
	v_lshlrev_b64 v[24:25], v24, -1
	v_add_u32_e32 v30, 19, v27
	v_lshlrev_b64 v[30:31], v30, 1
	v_bfi_b32 v25, v25, 0, 0
	v_bfi_b32 v24, v24, 0, v50
	v_cmp_eq_u64_e64 s[20:21], v[24:25], v[30:31]
	v_lshrrev_b64 v[24:25], v27, v[50:51]
	v_mov_b32_e32 v45, v25
	v_mov_b32_e32 v44, v24
	s_and_saveexec_b64 s[34:35], s[20:21]
; %bb.4673:                             ;   in Loop: Header=BB4_4641 Depth=2
	v_bfe_u32 v25, v24, 20, 1
	v_add_co_u32_e64 v25, s[20:21], v24, v25
	v_add_co_u32_e64 v44, s[20:21], -1, v25
; %bb.4674:                             ;   in Loop: Header=BB4_4641 Depth=2
	s_or_b64 exec, exec, s[34:35]
	v_add_u32_e32 v25, 0xffffff81, v26
	v_cndmask_b32_e32 v25, v25, v49, vcc
	v_lshrrev_b32_e32 v26, 23, v24
	v_add3_u32 v30, v27, v25, v26
	v_add_u32_e32 v27, 6, v30
	v_and_b32_e32 v25, 0xfffff, v44
	v_add_u32_e32 v50, v25, v24
	v_cmp_ne_u32_e32 vcc, 0, v27
                                        ; implicit-def: $vgpr24_vgpr25
                                        ; implicit-def: $vgpr26
	s_and_saveexec_b64 s[20:21], vcc
	s_xor_b64 s[20:21], exec, s[20:21]
; %bb.4675:                             ;   in Loop: Header=BB4_4641 Depth=2
	v_cmp_lt_u64_e32 vcc, s[74:75], v[50:51]
	v_add_u32_e32 v24, 7, v30
	v_cndmask_b32_e32 v26, v27, v24, vcc
	v_cndmask_b32_e64 v24, 0, 1, vcc
	v_lshrrev_b64 v[24:25], v24, v[50:51]
; %bb.4676:                             ;   in Loop: Header=BB4_4641 Depth=2
	s_andn2_saveexec_b64 s[20:21], s[20:21]
; %bb.4677:                             ;   in Loop: Header=BB4_4641 Depth=2
	v_mov_b32_e32 v24, v50
	v_bfe_u32 v26, v50, 23, 1
	v_mov_b32_e32 v25, v51
; %bb.4678:                             ;   in Loop: Header=BB4_4641 Depth=2
	s_or_b64 exec, exec, s[20:21]
	v_lshrrev_b64 v[24:25], 20, v[24:25]
	v_cmp_gt_i32_e32 vcc, 16, v26
	v_cndmask_b32_e32 v25, 0, v25, vcc
	v_cndmask_b32_e32 v24, 7, v24, vcc
	v_cmp_eq_u64_e64 s[20:21], 0, v[24:25]
	v_min_i32_e32 v25, 15, v26
	v_lshlrev_b32_e32 v25, 3, v25
	v_cmp_eq_u32_e32 vcc, 0, v26
	v_and_b32_e32 v25, 0xf8, v25
	v_and_or_b32 v24, v24, 7, v25
	s_and_b64 s[20:21], vcc, s[20:21]
	v_cndmask_b32_e64 v24, v24, 0, s[20:21]
	v_or_b32_e32 v30, v24, v1
.LBB4_4679:                             ;   in Loop: Header=BB4_4641 Depth=2
	s_or_b64 exec, exec, s[26:27]
                                        ; implicit-def: $vgpr1
.LBB4_4680:                             ;   in Loop: Header=BB4_4641 Depth=2
	s_andn2_saveexec_b64 s[20:21], s[24:25]
; %bb.4681:                             ;   in Loop: Header=BB4_4641 Depth=2
	v_or_b32_e32 v30, 0x7e, v1
; %bb.4682:                             ;   in Loop: Header=BB4_4641 Depth=2
	s_or_b64 exec, exec, s[20:21]
                                        ; implicit-def: $vgpr24
.LBB4_4683:                             ;   in Loop: Header=BB4_4641 Depth=2
	s_andn2_saveexec_b64 s[20:21], s[22:23]
; %bb.4684:                             ;   in Loop: Header=BB4_4641 Depth=2
	v_or_b32_sdwa v30, v24, s51 dst_sel:DWORD dst_unused:UNUSED_PAD src0_sel:BYTE_3 src1_sel:DWORD
; %bb.4685:                             ;   in Loop: Header=BB4_4641 Depth=2
	s_or_b64 exec, exec, s[20:21]
	v_lshrrev_b16_e32 v50, 8, v14
	v_and_b32_e32 v1, 7, v50
	v_and_b32_e32 v24, 0x7f, v50
	v_cmp_eq_u32_e64 s[20:21], s51, v24
	v_cmp_gt_u32_e32 vcc, 8, v24
	v_ffbh_u32_e32 v24, v1
	v_min_u32_e32 v27, 32, v24
	v_subrev_u32_e32 v24, 28, v27
	v_lshlrev_b64 v[24:25], v24, v[50:51]
	v_bfe_u32 v26, v50, 3, 4
	v_sub_u32_e32 v25, 29, v27
	v_and_b32_e32 v24, 7, v24
	v_cndmask_b32_e32 v25, v26, v25, vcc
	v_cndmask_b32_e32 v1, v1, v24, vcc
	v_lshlrev_b32_e32 v24, 24, v50
	v_lshlrev_b32_e32 v1, 20, v1
	v_and_b32_e32 v24, 0x80000000, v24
	v_lshl_add_u32 v25, v25, 23, v62
	v_or3_b32 v1, v24, v25, v1
	v_lshrrev_b16_e32 v24, 8, v10
	v_cmp_ne_u16_e64 s[22:23], 0, v24
	s_mov_b64 s[24:25], -1
	s_and_b64 vcc, exec, s[30:31]
                                        ; implicit-def: $vgpr25
	s_cbranch_vccz .LBB4_4699
; %bb.4686:                             ;   in Loop: Header=BB4_4641 Depth=2
	v_mov_b32_e32 v25, 0
	s_and_saveexec_b64 s[24:25], s[22:23]
	s_cbranch_execz .LBB4_4692
; %bb.4687:                             ;   in Loop: Header=BB4_4641 Depth=2
	v_cmp_ne_u16_e32 vcc, s49, v24
	v_bfrev_b32_e32 v25, 1
	s_and_saveexec_b64 s[26:27], vcc
	s_cbranch_execz .LBB4_4691
; %bb.4688:                             ;   in Loop: Header=BB4_4641 Depth=2
	v_and_b32_e32 v26, 0x7f, v24
	v_cmp_ne_u32_e32 vcc, s51, v26
	v_mov_b32_e32 v25, 0x7f800001
	s_and_saveexec_b64 s[34:35], vcc
	s_cbranch_execz .LBB4_4690
; %bb.4689:                             ;   in Loop: Header=BB4_4641 Depth=2
	v_and_b32_e32 v27, 7, v24
	v_ffbh_u32_e32 v25, v27
	v_min_u32_e32 v34, 32, v25
	v_subrev_u32_e32 v25, 28, v34
	v_lshrrev_b32_e32 v31, 3, v26
	v_cmp_gt_u32_e32 vcc, 8, v26
	v_lshlrev_b64 v[25:26], v25, v[24:25]
	v_sub_u32_e32 v26, 29, v34
	v_and_b32_e32 v25, 7, v25
	v_cndmask_b32_e32 v26, v31, v26, vcc
	v_cndmask_b32_e32 v25, v27, v25, vcc
	v_lshlrev_b32_e32 v27, 16, v10
	v_lshlrev_b32_e32 v25, 20, v25
	v_and_b32_e32 v27, 0x80000000, v27
	v_lshl_add_u32 v26, v26, 23, v62
	v_or3_b32 v25, v27, v26, v25
.LBB4_4690:                             ;   in Loop: Header=BB4_4641 Depth=2
	s_or_b64 exec, exec, s[34:35]
.LBB4_4691:                             ;   in Loop: Header=BB4_4641 Depth=2
	s_or_b64 exec, exec, s[26:27]
.LBB4_4692:                             ;   in Loop: Header=BB4_4641 Depth=2
	s_or_b64 exec, exec, s[24:25]
	v_cmp_lt_i16_e32 vcc, s51, v50
	s_mov_b64 s[24:25], 0
	s_and_saveexec_b64 s[26:27], vcc
	s_xor_b64 s[26:27], exec, s[26:27]
	s_cbranch_execz .LBB4_5301
; %bb.4693:                             ;   in Loop: Header=BB4_4641 Depth=2
	v_cmp_eq_u16_e32 vcc, s49, v50
	s_mov_b64 s[24:25], -1
	s_and_saveexec_b64 s[34:35], vcc
; %bb.4694:                             ;   in Loop: Header=BB4_4641 Depth=2
	s_xor_b64 s[24:25], exec, -1
; %bb.4695:                             ;   in Loop: Header=BB4_4641 Depth=2
	s_or_b64 exec, exec, s[34:35]
	s_and_b64 s[24:25], s[24:25], exec
	s_or_saveexec_b64 s[26:27], s[26:27]
	v_bfrev_b32_e32 v26, 1
	s_xor_b64 exec, exec, s[26:27]
	s_cbranch_execnz .LBB4_5302
.LBB4_4696:                             ;   in Loop: Header=BB4_4641 Depth=2
	s_or_b64 exec, exec, s[26:27]
	s_and_saveexec_b64 s[26:27], s[24:25]
.LBB4_4697:                             ;   in Loop: Header=BB4_4641 Depth=2
	v_mov_b32_e32 v26, 0x7f800001
	v_cndmask_b32_e64 v26, v1, v26, s[20:21]
.LBB4_4698:                             ;   in Loop: Header=BB4_4641 Depth=2
	s_or_b64 exec, exec, s[26:27]
	v_max_f32_e32 v26, v26, v26
	v_max_f32_e32 v25, v25, v25
	;; [unrolled: 1-line block ×3, first 2 shown]
	s_mov_b64 s[24:25], 0
.LBB4_4699:                             ;   in Loop: Header=BB4_4641 Depth=2
	s_and_b64 vcc, exec, s[24:25]
	s_cbranch_vccz .LBB4_4713
; %bb.4700:                             ;   in Loop: Header=BB4_4641 Depth=2
	v_mov_b32_e32 v25, 0
	s_and_saveexec_b64 s[24:25], s[22:23]
	s_cbranch_execz .LBB4_4706
; %bb.4701:                             ;   in Loop: Header=BB4_4641 Depth=2
	v_cmp_ne_u16_e32 vcc, s49, v24
	v_bfrev_b32_e32 v25, 1
	s_and_saveexec_b64 s[22:23], vcc
	s_cbranch_execz .LBB4_4705
; %bb.4702:                             ;   in Loop: Header=BB4_4641 Depth=2
	v_and_b32_e32 v26, 0x7f, v24
	v_cmp_ne_u32_e32 vcc, s51, v26
	v_mov_b32_e32 v25, 0x7f800001
	s_and_saveexec_b64 s[26:27], vcc
	s_cbranch_execz .LBB4_4704
; %bb.4703:                             ;   in Loop: Header=BB4_4641 Depth=2
	v_and_b32_e32 v27, 7, v24
	v_ffbh_u32_e32 v25, v27
	v_lshrrev_b32_e32 v31, 3, v26
	v_cmp_gt_u32_e32 vcc, 8, v26
	v_min_u32_e32 v26, 32, v25
	v_subrev_u32_e32 v25, 28, v26
	v_lshlrev_b64 v[24:25], v25, v[24:25]
	v_sub_u32_e32 v25, 29, v26
	v_and_b32_e32 v24, 7, v24
	v_cndmask_b32_e32 v25, v31, v25, vcc
	v_cndmask_b32_e32 v24, v27, v24, vcc
	v_lshlrev_b32_e32 v26, 16, v10
	v_lshlrev_b32_e32 v24, 20, v24
	v_and_b32_e32 v26, 0x80000000, v26
	v_lshl_add_u32 v25, v25, 23, v62
	v_or3_b32 v25, v26, v25, v24
.LBB4_4704:                             ;   in Loop: Header=BB4_4641 Depth=2
	s_or_b64 exec, exec, s[26:27]
.LBB4_4705:                             ;   in Loop: Header=BB4_4641 Depth=2
	s_or_b64 exec, exec, s[22:23]
.LBB4_4706:                             ;   in Loop: Header=BB4_4641 Depth=2
	s_or_b64 exec, exec, s[24:25]
	v_cmp_lt_i16_e32 vcc, s51, v50
	s_mov_b64 s[22:23], 0
	s_and_saveexec_b64 s[24:25], vcc
	s_xor_b64 s[24:25], exec, s[24:25]
	s_cbranch_execz .LBB4_5303
; %bb.4707:                             ;   in Loop: Header=BB4_4641 Depth=2
	v_cmp_eq_u16_e32 vcc, s49, v50
	s_mov_b64 s[22:23], -1
	s_and_saveexec_b64 s[26:27], vcc
; %bb.4708:                             ;   in Loop: Header=BB4_4641 Depth=2
	s_xor_b64 s[22:23], exec, -1
; %bb.4709:                             ;   in Loop: Header=BB4_4641 Depth=2
	s_or_b64 exec, exec, s[26:27]
	s_and_b64 s[22:23], s[22:23], exec
	s_or_saveexec_b64 s[24:25], s[24:25]
	v_bfrev_b32_e32 v24, 1
	s_xor_b64 exec, exec, s[24:25]
	s_cbranch_execnz .LBB4_5304
.LBB4_4710:                             ;   in Loop: Header=BB4_4641 Depth=2
	s_or_b64 exec, exec, s[24:25]
	s_and_saveexec_b64 s[24:25], s[22:23]
.LBB4_4711:                             ;   in Loop: Header=BB4_4641 Depth=2
	v_mov_b32_e32 v24, 0x7f800001
	v_cndmask_b32_e64 v24, v1, v24, s[20:21]
.LBB4_4712:                             ;   in Loop: Header=BB4_4641 Depth=2
	s_or_b64 exec, exec, s[24:25]
	v_max_f32_e32 v1, v24, v24
	v_max_f32_e32 v24, v25, v25
	v_min_f32_e32 v25, v24, v1
.LBB4_4713:                             ;   in Loop: Header=BB4_4641 Depth=2
	v_and_b32_e32 v50, 0x7f800000, v25
	v_cmp_ne_u64_e32 vcc, s[62:63], v[50:51]
                                        ; implicit-def: $vgpr34
	s_and_saveexec_b64 s[20:21], vcc
	s_xor_b64 s[22:23], exec, s[20:21]
	s_cbranch_execz .LBB4_4727
; %bb.4714:                             ;   in Loop: Header=BB4_4641 Depth=2
	v_and_b32_e32 v50, 0x7fffffff, v25
	v_cmp_gt_u64_e32 vcc, s[72:73], v[50:51]
	v_and_b32_sdwa v1, v25, s49 dst_sel:DWORD dst_unused:UNUSED_PAD src0_sel:BYTE_3 src1_sel:DWORD
                                        ; implicit-def: $vgpr34
	s_and_saveexec_b64 s[20:21], vcc
	s_xor_b64 s[24:25], exec, s[20:21]
	s_cbranch_execz .LBB4_4724
; %bb.4715:                             ;   in Loop: Header=BB4_4641 Depth=2
	v_mov_b32_e32 v34, 0
	v_cmp_ne_u32_e32 vcc, 0, v25
	s_and_saveexec_b64 s[26:27], vcc
	s_cbranch_execz .LBB4_4723
; %bb.4716:                             ;   in Loop: Header=BB4_4641 Depth=2
	v_bfe_u32 v26, v25, 23, 8
	v_and_b32_e32 v24, 0x7fffff, v25
	v_cmp_gt_u32_e64 s[20:21], s53, v26
	v_sub_u32_e32 v25, 0x79, v26
	v_cmp_eq_u32_e32 vcc, 0, v26
	v_cndmask_b32_e64 v25, 0, v25, s[20:21]
	v_mov_b32_e32 v27, 0x78
	v_or_b32_e32 v31, 0x800000, v24
	v_cndmask_b32_e32 v27, v25, v27, vcc
	v_cndmask_b32_e32 v50, v31, v24, vcc
	v_add_u32_e32 v24, 20, v27
	v_lshlrev_b64 v[24:25], v24, -1
	v_add_u32_e32 v31, 19, v27
	v_lshlrev_b64 v[34:35], v31, 1
	v_bfi_b32 v25, v25, 0, 0
	v_bfi_b32 v24, v24, 0, v50
	v_cmp_eq_u64_e64 s[20:21], v[24:25], v[34:35]
	v_lshrrev_b64 v[24:25], v27, v[50:51]
	v_mov_b32_e32 v45, v25
	v_mov_b32_e32 v44, v24
	s_and_saveexec_b64 s[34:35], s[20:21]
; %bb.4717:                             ;   in Loop: Header=BB4_4641 Depth=2
	v_bfe_u32 v25, v24, 20, 1
	v_add_co_u32_e64 v25, s[20:21], v24, v25
	v_add_co_u32_e64 v44, s[20:21], -1, v25
; %bb.4718:                             ;   in Loop: Header=BB4_4641 Depth=2
	s_or_b64 exec, exec, s[34:35]
	v_add_u32_e32 v25, 0xffffff81, v26
	v_cndmask_b32_e32 v25, v25, v49, vcc
	v_lshrrev_b32_e32 v26, 23, v24
	v_add3_u32 v31, v27, v25, v26
	v_add_u32_e32 v27, 6, v31
	v_and_b32_e32 v25, 0xfffff, v44
	v_add_u32_e32 v50, v25, v24
	v_cmp_ne_u32_e32 vcc, 0, v27
                                        ; implicit-def: $vgpr24_vgpr25
                                        ; implicit-def: $vgpr26
	s_and_saveexec_b64 s[20:21], vcc
	s_xor_b64 s[20:21], exec, s[20:21]
; %bb.4719:                             ;   in Loop: Header=BB4_4641 Depth=2
	v_cmp_lt_u64_e32 vcc, s[74:75], v[50:51]
	v_add_u32_e32 v24, 7, v31
	v_cndmask_b32_e32 v26, v27, v24, vcc
	v_cndmask_b32_e64 v24, 0, 1, vcc
	v_lshrrev_b64 v[24:25], v24, v[50:51]
; %bb.4720:                             ;   in Loop: Header=BB4_4641 Depth=2
	s_andn2_saveexec_b64 s[20:21], s[20:21]
; %bb.4721:                             ;   in Loop: Header=BB4_4641 Depth=2
	v_mov_b32_e32 v24, v50
	v_bfe_u32 v26, v50, 23, 1
	v_mov_b32_e32 v25, v51
; %bb.4722:                             ;   in Loop: Header=BB4_4641 Depth=2
	s_or_b64 exec, exec, s[20:21]
	v_lshrrev_b64 v[24:25], 20, v[24:25]
	v_cmp_gt_i32_e32 vcc, 16, v26
	v_cndmask_b32_e32 v25, 0, v25, vcc
	v_cndmask_b32_e32 v24, 7, v24, vcc
	v_cmp_eq_u64_e64 s[20:21], 0, v[24:25]
	v_min_i32_e32 v25, 15, v26
	v_lshlrev_b32_e32 v25, 3, v25
	v_cmp_eq_u32_e32 vcc, 0, v26
	v_and_b32_e32 v25, 0xf8, v25
	v_and_or_b32 v24, v24, 7, v25
	s_and_b64 s[20:21], vcc, s[20:21]
	v_cndmask_b32_e64 v24, v24, 0, s[20:21]
	v_or_b32_e32 v34, v24, v1
.LBB4_4723:                             ;   in Loop: Header=BB4_4641 Depth=2
	s_or_b64 exec, exec, s[26:27]
                                        ; implicit-def: $vgpr1
.LBB4_4724:                             ;   in Loop: Header=BB4_4641 Depth=2
	s_andn2_saveexec_b64 s[20:21], s[24:25]
; %bb.4725:                             ;   in Loop: Header=BB4_4641 Depth=2
	v_or_b32_e32 v34, 0x7e, v1
; %bb.4726:                             ;   in Loop: Header=BB4_4641 Depth=2
	s_or_b64 exec, exec, s[20:21]
                                        ; implicit-def: $vgpr25
.LBB4_4727:                             ;   in Loop: Header=BB4_4641 Depth=2
	s_andn2_saveexec_b64 s[20:21], s[22:23]
; %bb.4728:                             ;   in Loop: Header=BB4_4641 Depth=2
	v_or_b32_sdwa v34, v25, s51 dst_sel:DWORD dst_unused:UNUSED_PAD src0_sel:BYTE_3 src1_sel:DWORD
; %bb.4729:                             ;   in Loop: Header=BB4_4641 Depth=2
	s_or_b64 exec, exec, s[20:21]
	v_bfe_u32 v1, v14, 16, 3
	v_bfe_u32 v25, v14, 16, 7
	v_cmp_eq_u32_e64 s[20:21], s51, v25
	v_cmp_gt_u32_e32 vcc, 8, v25
	v_ffbh_u32_e32 v25, v1
	v_min_u32_e32 v31, 32, v25
	v_lshrrev_b32_e32 v24, 16, v14
	v_subrev_u32_e32 v25, 28, v31
	v_lshlrev_b64 v[25:26], v25, v[24:25]
	v_bfe_u32 v27, v24, 3, 4
	v_sub_u32_e32 v26, 29, v31
	v_and_b32_e32 v25, 7, v25
	v_cndmask_b32_e32 v26, v27, v26, vcc
	v_cndmask_b32_e32 v1, v1, v25, vcc
	v_lshlrev_b32_e32 v25, 8, v14
	v_lshlrev_b32_e32 v1, 20, v1
	v_and_b32_e32 v25, 0x80000000, v25
	v_lshl_add_u32 v26, v26, 23, v62
	v_or3_b32 v1, v25, v26, v1
	v_lshrrev_b32_e32 v25, 16, v10
	v_cmp_ne_u16_sdwa s[22:23], v25, v51 src0_sel:BYTE_0 src1_sel:DWORD
	s_mov_b64 s[24:25], -1
	s_and_b64 vcc, exec, s[30:31]
                                        ; implicit-def: $vgpr26
	s_cbranch_vccz .LBB4_4743
; %bb.4730:                             ;   in Loop: Header=BB4_4641 Depth=2
	v_mov_b32_e32 v26, 0
	s_and_saveexec_b64 s[24:25], s[22:23]
	s_cbranch_execz .LBB4_4736
; %bb.4731:                             ;   in Loop: Header=BB4_4641 Depth=2
	v_cmp_ne_u16_sdwa vcc, v25, s49 src0_sel:BYTE_0 src1_sel:DWORD
	v_bfrev_b32_e32 v26, 1
	s_and_saveexec_b64 s[26:27], vcc
	s_cbranch_execz .LBB4_4735
; %bb.4732:                             ;   in Loop: Header=BB4_4641 Depth=2
	v_bfe_u32 v27, v10, 16, 7
	v_cmp_ne_u32_e32 vcc, s51, v27
	v_mov_b32_e32 v26, 0x7f800001
	s_and_saveexec_b64 s[34:35], vcc
	s_cbranch_execz .LBB4_4734
; %bb.4733:                             ;   in Loop: Header=BB4_4641 Depth=2
	v_and_b32_e32 v31, 7, v25
	v_ffbh_u32_e32 v26, v31
	v_min_u32_e32 v36, 32, v26
	v_subrev_u32_e32 v26, 28, v36
	v_lshrrev_b32_e32 v35, 3, v27
	v_cmp_gt_u32_e32 vcc, 8, v27
	v_lshlrev_b64 v[26:27], v26, v[25:26]
	v_sub_u32_e32 v27, 29, v36
	v_and_b32_e32 v26, 7, v26
	v_cndmask_b32_e32 v27, v35, v27, vcc
	v_cndmask_b32_e32 v26, v31, v26, vcc
	v_lshlrev_b32_e32 v31, 24, v25
	v_lshlrev_b32_e32 v26, 20, v26
	v_and_b32_e32 v31, 0x80000000, v31
	v_lshl_add_u32 v27, v27, 23, v62
	v_or3_b32 v26, v31, v27, v26
.LBB4_4734:                             ;   in Loop: Header=BB4_4641 Depth=2
	s_or_b64 exec, exec, s[34:35]
.LBB4_4735:                             ;   in Loop: Header=BB4_4641 Depth=2
	s_or_b64 exec, exec, s[26:27]
.LBB4_4736:                             ;   in Loop: Header=BB4_4641 Depth=2
	s_or_b64 exec, exec, s[24:25]
	v_cmp_gt_i16_sdwa s[26:27], v24, s51 src0_sel:BYTE_0 src1_sel:DWORD
	s_mov_b64 s[24:25], 0
	s_and_saveexec_b64 vcc, s[26:27]
	s_xor_b64 s[26:27], exec, vcc
	s_cbranch_execz .LBB4_5305
; %bb.4737:                             ;   in Loop: Header=BB4_4641 Depth=2
	v_cmp_eq_u16_sdwa s[34:35], v24, s49 src0_sel:BYTE_0 src1_sel:DWORD
	s_mov_b64 s[24:25], -1
	s_and_saveexec_b64 vcc, s[34:35]
; %bb.4738:                             ;   in Loop: Header=BB4_4641 Depth=2
	s_xor_b64 s[24:25], exec, -1
; %bb.4739:                             ;   in Loop: Header=BB4_4641 Depth=2
	s_or_b64 exec, exec, vcc
	s_and_b64 s[24:25], s[24:25], exec
	s_or_saveexec_b64 s[26:27], s[26:27]
	v_bfrev_b32_e32 v27, 1
	s_xor_b64 exec, exec, s[26:27]
	s_cbranch_execnz .LBB4_5306
.LBB4_4740:                             ;   in Loop: Header=BB4_4641 Depth=2
	s_or_b64 exec, exec, s[26:27]
	s_and_saveexec_b64 s[26:27], s[24:25]
.LBB4_4741:                             ;   in Loop: Header=BB4_4641 Depth=2
	v_mov_b32_e32 v27, 0x7f800001
	v_cndmask_b32_e64 v27, v1, v27, s[20:21]
.LBB4_4742:                             ;   in Loop: Header=BB4_4641 Depth=2
	s_or_b64 exec, exec, s[26:27]
	v_max_f32_e32 v27, v27, v27
	v_max_f32_e32 v26, v26, v26
	v_max_f32_e32 v26, v26, v27
	s_mov_b64 s[24:25], 0
.LBB4_4743:                             ;   in Loop: Header=BB4_4641 Depth=2
	s_and_b64 vcc, exec, s[24:25]
	s_cbranch_vccz .LBB4_4757
; %bb.4744:                             ;   in Loop: Header=BB4_4641 Depth=2
	v_mov_b32_e32 v26, 0
	s_and_saveexec_b64 s[24:25], s[22:23]
	s_cbranch_execz .LBB4_4750
; %bb.4745:                             ;   in Loop: Header=BB4_4641 Depth=2
	v_cmp_ne_u16_sdwa s[26:27], v25, s49 src0_sel:BYTE_0 src1_sel:DWORD
	v_bfrev_b32_e32 v26, 1
	s_and_saveexec_b64 s[22:23], s[26:27]
	s_cbranch_execz .LBB4_4749
; %bb.4746:                             ;   in Loop: Header=BB4_4641 Depth=2
	v_bfe_u32 v27, v10, 16, 7
	v_cmp_ne_u32_e32 vcc, s51, v27
	v_mov_b32_e32 v26, 0x7f800001
	s_and_saveexec_b64 s[26:27], vcc
	s_cbranch_execz .LBB4_4748
; %bb.4747:                             ;   in Loop: Header=BB4_4641 Depth=2
	v_and_b32_e32 v31, 7, v25
	v_ffbh_u32_e32 v26, v31
	v_min_u32_e32 v36, 32, v26
	v_subrev_u32_e32 v26, 28, v36
	v_lshrrev_b32_e32 v35, 3, v27
	v_cmp_gt_u32_e32 vcc, 8, v27
	v_lshlrev_b64 v[26:27], v26, v[25:26]
	v_sub_u32_e32 v27, 29, v36
	v_and_b32_e32 v26, 7, v26
	v_cndmask_b32_e32 v27, v35, v27, vcc
	v_cndmask_b32_e32 v26, v31, v26, vcc
	v_lshlrev_b32_e32 v25, 24, v25
	v_lshlrev_b32_e32 v26, 20, v26
	v_and_b32_e32 v25, 0x80000000, v25
	v_lshl_add_u32 v27, v27, 23, v62
	v_or3_b32 v26, v25, v27, v26
.LBB4_4748:                             ;   in Loop: Header=BB4_4641 Depth=2
	s_or_b64 exec, exec, s[26:27]
.LBB4_4749:                             ;   in Loop: Header=BB4_4641 Depth=2
	s_or_b64 exec, exec, s[22:23]
.LBB4_4750:                             ;   in Loop: Header=BB4_4641 Depth=2
	s_or_b64 exec, exec, s[24:25]
	v_cmp_gt_i16_sdwa s[24:25], v24, s51 src0_sel:BYTE_0 src1_sel:DWORD
	s_mov_b64 s[22:23], 0
	s_and_saveexec_b64 s[26:27], s[24:25]
	s_xor_b64 s[24:25], exec, s[26:27]
	s_cbranch_execz .LBB4_5307
; %bb.4751:                             ;   in Loop: Header=BB4_4641 Depth=2
	v_cmp_eq_u16_sdwa vcc, v24, s49 src0_sel:BYTE_0 src1_sel:DWORD
	s_mov_b64 s[22:23], -1
	s_and_saveexec_b64 s[26:27], vcc
; %bb.4752:                             ;   in Loop: Header=BB4_4641 Depth=2
	s_xor_b64 s[22:23], exec, -1
; %bb.4753:                             ;   in Loop: Header=BB4_4641 Depth=2
	s_or_b64 exec, exec, s[26:27]
	s_and_b64 s[22:23], s[22:23], exec
                                        ; implicit-def: $vgpr24
	s_or_saveexec_b64 s[24:25], s[24:25]
	v_bfrev_b32_e32 v25, 1
	s_xor_b64 exec, exec, s[24:25]
	s_cbranch_execnz .LBB4_5308
.LBB4_4754:                             ;   in Loop: Header=BB4_4641 Depth=2
	s_or_b64 exec, exec, s[24:25]
	s_and_saveexec_b64 s[24:25], s[22:23]
.LBB4_4755:                             ;   in Loop: Header=BB4_4641 Depth=2
	v_mov_b32_e32 v24, 0x7f800001
	v_cndmask_b32_e64 v25, v1, v24, s[20:21]
.LBB4_4756:                             ;   in Loop: Header=BB4_4641 Depth=2
	s_or_b64 exec, exec, s[24:25]
	v_max_f32_e32 v1, v25, v25
	v_max_f32_e32 v24, v26, v26
	v_min_f32_e32 v26, v24, v1
.LBB4_4757:                             ;   in Loop: Header=BB4_4641 Depth=2
	v_and_b32_e32 v50, 0x7f800000, v26
	v_cmp_ne_u64_e32 vcc, s[62:63], v[50:51]
                                        ; implicit-def: $vgpr35
	s_and_saveexec_b64 s[20:21], vcc
	s_xor_b64 s[22:23], exec, s[20:21]
	s_cbranch_execz .LBB4_4771
; %bb.4758:                             ;   in Loop: Header=BB4_4641 Depth=2
	v_and_b32_e32 v50, 0x7fffffff, v26
	v_cmp_gt_u64_e32 vcc, s[72:73], v[50:51]
	v_and_b32_sdwa v1, v26, s49 dst_sel:DWORD dst_unused:UNUSED_PAD src0_sel:BYTE_3 src1_sel:DWORD
                                        ; implicit-def: $vgpr35
	s_and_saveexec_b64 s[20:21], vcc
	s_xor_b64 s[24:25], exec, s[20:21]
	s_cbranch_execz .LBB4_4768
; %bb.4759:                             ;   in Loop: Header=BB4_4641 Depth=2
	v_mov_b32_e32 v35, 0
	v_cmp_ne_u32_e32 vcc, 0, v26
	s_and_saveexec_b64 s[26:27], vcc
	s_cbranch_execz .LBB4_4767
; %bb.4760:                             ;   in Loop: Header=BB4_4641 Depth=2
	v_and_b32_e32 v24, 0x7fffff, v26
	v_bfe_u32 v26, v26, 23, 8
	v_cmp_gt_u32_e64 s[20:21], s53, v26
	v_sub_u32_e32 v25, 0x79, v26
	v_cmp_eq_u32_e32 vcc, 0, v26
	v_cndmask_b32_e64 v25, 0, v25, s[20:21]
	v_mov_b32_e32 v27, 0x78
	v_or_b32_e32 v31, 0x800000, v24
	v_cndmask_b32_e32 v27, v25, v27, vcc
	v_cndmask_b32_e32 v50, v31, v24, vcc
	v_add_u32_e32 v24, 20, v27
	v_lshlrev_b64 v[24:25], v24, -1
	v_add_u32_e32 v31, 19, v27
	v_lshlrev_b64 v[35:36], v31, 1
	v_bfi_b32 v25, v25, 0, 0
	v_bfi_b32 v24, v24, 0, v50
	v_cmp_eq_u64_e64 s[20:21], v[24:25], v[35:36]
	v_lshrrev_b64 v[24:25], v27, v[50:51]
	v_mov_b32_e32 v45, v25
	v_mov_b32_e32 v44, v24
	s_and_saveexec_b64 s[34:35], s[20:21]
; %bb.4761:                             ;   in Loop: Header=BB4_4641 Depth=2
	v_bfe_u32 v25, v24, 20, 1
	v_add_co_u32_e64 v25, s[20:21], v24, v25
	v_add_co_u32_e64 v44, s[20:21], -1, v25
; %bb.4762:                             ;   in Loop: Header=BB4_4641 Depth=2
	s_or_b64 exec, exec, s[34:35]
	v_add_u32_e32 v25, 0xffffff81, v26
	v_cndmask_b32_e32 v25, v25, v49, vcc
	v_lshrrev_b32_e32 v26, 23, v24
	v_add3_u32 v31, v27, v25, v26
	v_add_u32_e32 v27, 6, v31
	v_and_b32_e32 v25, 0xfffff, v44
	v_add_u32_e32 v50, v25, v24
	v_cmp_ne_u32_e32 vcc, 0, v27
                                        ; implicit-def: $vgpr24_vgpr25
                                        ; implicit-def: $vgpr26
	s_and_saveexec_b64 s[20:21], vcc
	s_xor_b64 s[20:21], exec, s[20:21]
; %bb.4763:                             ;   in Loop: Header=BB4_4641 Depth=2
	v_cmp_lt_u64_e32 vcc, s[74:75], v[50:51]
	v_add_u32_e32 v24, 7, v31
	v_cndmask_b32_e32 v26, v27, v24, vcc
	v_cndmask_b32_e64 v24, 0, 1, vcc
	v_lshrrev_b64 v[24:25], v24, v[50:51]
; %bb.4764:                             ;   in Loop: Header=BB4_4641 Depth=2
	s_andn2_saveexec_b64 s[20:21], s[20:21]
; %bb.4765:                             ;   in Loop: Header=BB4_4641 Depth=2
	v_mov_b32_e32 v24, v50
	v_bfe_u32 v26, v50, 23, 1
	v_mov_b32_e32 v25, v51
; %bb.4766:                             ;   in Loop: Header=BB4_4641 Depth=2
	s_or_b64 exec, exec, s[20:21]
	v_lshrrev_b64 v[24:25], 20, v[24:25]
	v_cmp_gt_i32_e32 vcc, 16, v26
	v_cndmask_b32_e32 v25, 0, v25, vcc
	v_cndmask_b32_e32 v24, 7, v24, vcc
	v_cmp_eq_u64_e64 s[20:21], 0, v[24:25]
	v_min_i32_e32 v25, 15, v26
	v_lshlrev_b32_e32 v25, 3, v25
	v_cmp_eq_u32_e32 vcc, 0, v26
	v_and_b32_e32 v25, 0xf8, v25
	v_and_or_b32 v24, v24, 7, v25
	s_and_b64 s[20:21], vcc, s[20:21]
	v_cndmask_b32_e64 v24, v24, 0, s[20:21]
	v_or_b32_e32 v35, v24, v1
.LBB4_4767:                             ;   in Loop: Header=BB4_4641 Depth=2
	s_or_b64 exec, exec, s[26:27]
                                        ; implicit-def: $vgpr1
.LBB4_4768:                             ;   in Loop: Header=BB4_4641 Depth=2
	s_andn2_saveexec_b64 s[20:21], s[24:25]
; %bb.4769:                             ;   in Loop: Header=BB4_4641 Depth=2
	v_or_b32_e32 v35, 0x7e, v1
; %bb.4770:                             ;   in Loop: Header=BB4_4641 Depth=2
	s_or_b64 exec, exec, s[20:21]
                                        ; implicit-def: $vgpr26
.LBB4_4771:                             ;   in Loop: Header=BB4_4641 Depth=2
	s_andn2_saveexec_b64 s[20:21], s[22:23]
; %bb.4772:                             ;   in Loop: Header=BB4_4641 Depth=2
	v_or_b32_sdwa v35, v26, s51 dst_sel:DWORD dst_unused:UNUSED_PAD src0_sel:BYTE_3 src1_sel:DWORD
; %bb.4773:                             ;   in Loop: Header=BB4_4641 Depth=2
	s_or_b64 exec, exec, s[20:21]
	v_bfe_u32 v27, v14, 24, 3
	v_bfe_u32 v25, v14, 24, 7
	v_cmp_eq_u32_e64 s[24:25], s51, v25
	v_cmp_gt_u32_e32 vcc, 8, v25
	v_ffbh_u32_e32 v25, v27
	v_min_u32_e32 v36, 32, v25
	v_lshrrev_b32_e32 v1, 24, v14
	v_subrev_u32_e32 v25, 28, v36
	v_lshlrev_b64 v[25:26], v25, v[1:2]
	v_bfe_u32 v31, v1, 3, 4
	v_cmp_eq_u32_e64 s[22:23], s49, v1
	v_sub_u32_e32 v1, 29, v36
	v_and_b32_e32 v25, 7, v25
	v_cndmask_b32_e32 v1, v31, v1, vcc
	v_cndmask_b32_e32 v25, v27, v25, vcc
	v_lshlrev_b32_e32 v25, 20, v25
	v_and_b32_e32 v26, 0x80000000, v14
	v_lshl_add_u32 v1, v1, 23, v62
	v_lshrrev_b32_e32 v24, 24, v10
	v_cmp_gt_u32_e64 s[20:21], s57, v14
	v_or3_b32 v1, v26, v1, v25
	v_cmp_lt_u32_e64 s[26:27], s77, v10
	s_mov_b64 s[34:35], -1
	s_and_b64 vcc, exec, s[30:31]
                                        ; implicit-def: $vgpr25
	s_cbranch_vccz .LBB4_4781
; %bb.4774:                             ;   in Loop: Header=BB4_4641 Depth=2
	v_mov_b32_e32 v25, 0
	s_and_saveexec_b64 s[34:35], s[26:27]
	s_cbranch_execz .LBB4_4780
; %bb.4775:                             ;   in Loop: Header=BB4_4641 Depth=2
	v_cmp_ne_u32_e32 vcc, s49, v24
	v_bfrev_b32_e32 v25, 1
	s_and_saveexec_b64 s[36:37], vcc
	s_cbranch_execz .LBB4_4779
; %bb.4776:                             ;   in Loop: Header=BB4_4641 Depth=2
	v_bfe_u32 v26, v10, 24, 7
	v_cmp_ne_u32_e32 vcc, s51, v26
	v_mov_b32_e32 v25, 0x7f800001
	s_and_saveexec_b64 s[38:39], vcc
	s_cbranch_execz .LBB4_4778
; %bb.4777:                             ;   in Loop: Header=BB4_4641 Depth=2
	v_and_b32_e32 v27, 7, v24
	v_ffbh_u32_e32 v25, v27
	v_min_u32_e32 v36, 32, v25
	v_subrev_u32_e32 v25, 28, v36
	v_lshrrev_b32_e32 v31, 3, v26
	v_cmp_gt_u32_e32 vcc, 8, v26
	v_lshlrev_b64 v[25:26], v25, v[24:25]
	v_sub_u32_e32 v26, 29, v36
	v_and_b32_e32 v25, 7, v25
	v_cndmask_b32_e32 v26, v31, v26, vcc
	v_cndmask_b32_e32 v25, v27, v25, vcc
	v_lshlrev_b32_e32 v27, 24, v24
	v_lshlrev_b32_e32 v25, 20, v25
	v_and_b32_e32 v27, 0x80000000, v27
	v_lshl_add_u32 v26, v26, 23, v62
	v_or3_b32 v25, v27, v26, v25
.LBB4_4778:                             ;   in Loop: Header=BB4_4641 Depth=2
	s_or_b64 exec, exec, s[38:39]
.LBB4_4779:                             ;   in Loop: Header=BB4_4641 Depth=2
	s_or_b64 exec, exec, s[36:37]
.LBB4_4780:                             ;   in Loop: Header=BB4_4641 Depth=2
	s_or_b64 exec, exec, s[34:35]
	v_mov_b32_e32 v26, 0x7f800001
	v_cndmask_b32_e64 v26, v1, v26, s[24:25]
	v_bfrev_b32_e32 v27, 1
	v_cndmask_b32_e64 v26, v26, v27, s[22:23]
	v_cndmask_b32_e64 v26, v26, 0, s[20:21]
	v_max_f32_e32 v26, v26, v26
	v_max_f32_e32 v25, v25, v25
	;; [unrolled: 1-line block ×3, first 2 shown]
	s_mov_b64 s[34:35], 0
.LBB4_4781:                             ;   in Loop: Header=BB4_4641 Depth=2
	s_and_b64 vcc, exec, s[34:35]
	s_cbranch_vccz .LBB4_4789
; %bb.4782:                             ;   in Loop: Header=BB4_4641 Depth=2
	v_mov_b32_e32 v25, 0
	s_and_saveexec_b64 s[34:35], s[26:27]
	s_cbranch_execz .LBB4_4788
; %bb.4783:                             ;   in Loop: Header=BB4_4641 Depth=2
	v_cmp_ne_u32_e32 vcc, s49, v24
	v_bfrev_b32_e32 v25, 1
	s_and_saveexec_b64 s[26:27], vcc
	s_cbranch_execz .LBB4_4787
; %bb.4784:                             ;   in Loop: Header=BB4_4641 Depth=2
	v_bfe_u32 v26, v10, 24, 7
	v_cmp_ne_u32_e32 vcc, s51, v26
	v_mov_b32_e32 v25, 0x7f800001
	s_and_saveexec_b64 s[36:37], vcc
	s_cbranch_execz .LBB4_4786
; %bb.4785:                             ;   in Loop: Header=BB4_4641 Depth=2
	v_and_b32_e32 v27, 7, v24
	v_ffbh_u32_e32 v25, v27
	v_min_u32_e32 v36, 32, v25
	v_subrev_u32_e32 v25, 28, v36
	v_lshrrev_b32_e32 v31, 3, v26
	v_cmp_gt_u32_e32 vcc, 8, v26
	v_lshlrev_b64 v[25:26], v25, v[24:25]
	v_sub_u32_e32 v26, 29, v36
	v_and_b32_e32 v25, 7, v25
	v_cndmask_b32_e32 v26, v31, v26, vcc
	v_cndmask_b32_e32 v25, v27, v25, vcc
	v_lshlrev_b32_e32 v24, 24, v24
	v_lshlrev_b32_e32 v25, 20, v25
	v_and_b32_e32 v24, 0x80000000, v24
	v_lshl_add_u32 v26, v26, 23, v62
	v_or3_b32 v25, v24, v26, v25
.LBB4_4786:                             ;   in Loop: Header=BB4_4641 Depth=2
	s_or_b64 exec, exec, s[36:37]
.LBB4_4787:                             ;   in Loop: Header=BB4_4641 Depth=2
	s_or_b64 exec, exec, s[26:27]
.LBB4_4788:                             ;   in Loop: Header=BB4_4641 Depth=2
	s_or_b64 exec, exec, s[34:35]
	v_mov_b32_e32 v24, 0x7f800001
	v_cndmask_b32_e64 v1, v1, v24, s[24:25]
	v_bfrev_b32_e32 v24, 1
	v_cndmask_b32_e64 v1, v1, v24, s[22:23]
	v_cndmask_b32_e64 v1, v1, 0, s[20:21]
	v_max_f32_e32 v1, v1, v1
	v_max_f32_e32 v24, v25, v25
	v_min_f32_e32 v25, v24, v1
.LBB4_4789:                             ;   in Loop: Header=BB4_4641 Depth=2
	v_and_b32_e32 v50, 0x7f800000, v25
	v_cmp_ne_u64_e32 vcc, s[62:63], v[50:51]
                                        ; implicit-def: $vgpr27
	s_and_saveexec_b64 s[20:21], vcc
	s_xor_b64 s[22:23], exec, s[20:21]
	s_cbranch_execz .LBB4_4803
; %bb.4790:                             ;   in Loop: Header=BB4_4641 Depth=2
	v_and_b32_e32 v50, 0x7fffffff, v25
	v_cmp_gt_u64_e32 vcc, s[72:73], v[50:51]
	v_and_b32_sdwa v1, v25, s49 dst_sel:DWORD dst_unused:UNUSED_PAD src0_sel:BYTE_3 src1_sel:DWORD
                                        ; implicit-def: $vgpr27
	s_and_saveexec_b64 s[20:21], vcc
	s_xor_b64 s[24:25], exec, s[20:21]
	s_cbranch_execz .LBB4_4800
; %bb.4791:                             ;   in Loop: Header=BB4_4641 Depth=2
	v_mov_b32_e32 v27, 0
	v_cmp_ne_u32_e32 vcc, 0, v25
	s_and_saveexec_b64 s[26:27], vcc
	s_cbranch_execz .LBB4_4799
; %bb.4792:                             ;   in Loop: Header=BB4_4641 Depth=2
	v_bfe_u32 v26, v25, 23, 8
	v_and_b32_e32 v24, 0x7fffff, v25
	v_cmp_gt_u32_e64 s[20:21], s53, v26
	v_sub_u32_e32 v25, 0x79, v26
	v_cmp_eq_u32_e32 vcc, 0, v26
	v_cndmask_b32_e64 v25, 0, v25, s[20:21]
	v_mov_b32_e32 v27, 0x78
	v_or_b32_e32 v31, 0x800000, v24
	v_cndmask_b32_e32 v27, v25, v27, vcc
	v_cndmask_b32_e32 v50, v31, v24, vcc
	v_add_u32_e32 v24, 20, v27
	v_lshlrev_b64 v[24:25], v24, -1
	v_add_u32_e32 v31, 19, v27
	v_lshlrev_b64 v[36:37], v31, 1
	v_bfi_b32 v25, v25, 0, 0
	v_bfi_b32 v24, v24, 0, v50
	v_cmp_eq_u64_e64 s[20:21], v[24:25], v[36:37]
	v_lshrrev_b64 v[24:25], v27, v[50:51]
	v_mov_b32_e32 v45, v25
	v_mov_b32_e32 v44, v24
	s_and_saveexec_b64 s[34:35], s[20:21]
; %bb.4793:                             ;   in Loop: Header=BB4_4641 Depth=2
	v_bfe_u32 v25, v24, 20, 1
	v_add_co_u32_e64 v25, s[20:21], v24, v25
	v_add_co_u32_e64 v44, s[20:21], -1, v25
; %bb.4794:                             ;   in Loop: Header=BB4_4641 Depth=2
	s_or_b64 exec, exec, s[34:35]
	v_add_u32_e32 v25, 0xffffff81, v26
	v_cndmask_b32_e32 v25, v25, v49, vcc
	v_lshrrev_b32_e32 v26, 23, v24
	v_add3_u32 v31, v27, v25, v26
	v_add_u32_e32 v27, 6, v31
	v_and_b32_e32 v25, 0xfffff, v44
	v_add_u32_e32 v50, v25, v24
	v_cmp_ne_u32_e32 vcc, 0, v27
                                        ; implicit-def: $vgpr24_vgpr25
                                        ; implicit-def: $vgpr26
	s_and_saveexec_b64 s[20:21], vcc
	s_xor_b64 s[20:21], exec, s[20:21]
; %bb.4795:                             ;   in Loop: Header=BB4_4641 Depth=2
	v_cmp_lt_u64_e32 vcc, s[74:75], v[50:51]
	v_add_u32_e32 v24, 7, v31
	v_cndmask_b32_e32 v26, v27, v24, vcc
	v_cndmask_b32_e64 v24, 0, 1, vcc
	v_lshrrev_b64 v[24:25], v24, v[50:51]
; %bb.4796:                             ;   in Loop: Header=BB4_4641 Depth=2
	s_andn2_saveexec_b64 s[20:21], s[20:21]
; %bb.4797:                             ;   in Loop: Header=BB4_4641 Depth=2
	v_mov_b32_e32 v24, v50
	v_bfe_u32 v26, v50, 23, 1
	v_mov_b32_e32 v25, v51
; %bb.4798:                             ;   in Loop: Header=BB4_4641 Depth=2
	s_or_b64 exec, exec, s[20:21]
	v_lshrrev_b64 v[24:25], 20, v[24:25]
	v_cmp_gt_i32_e32 vcc, 16, v26
	v_cndmask_b32_e32 v25, 0, v25, vcc
	v_cndmask_b32_e32 v24, 7, v24, vcc
	v_cmp_eq_u64_e64 s[20:21], 0, v[24:25]
	v_min_i32_e32 v25, 15, v26
	v_lshlrev_b32_e32 v25, 3, v25
	v_cmp_eq_u32_e32 vcc, 0, v26
	v_and_b32_e32 v25, 0xf8, v25
	v_and_or_b32 v24, v24, 7, v25
	s_and_b64 s[20:21], vcc, s[20:21]
	v_cndmask_b32_e64 v24, v24, 0, s[20:21]
	v_or_b32_e32 v27, v24, v1
.LBB4_4799:                             ;   in Loop: Header=BB4_4641 Depth=2
	s_or_b64 exec, exec, s[26:27]
                                        ; implicit-def: $vgpr1
.LBB4_4800:                             ;   in Loop: Header=BB4_4641 Depth=2
	s_andn2_saveexec_b64 s[20:21], s[24:25]
; %bb.4801:                             ;   in Loop: Header=BB4_4641 Depth=2
	v_or_b32_e32 v27, 0x7e, v1
; %bb.4802:                             ;   in Loop: Header=BB4_4641 Depth=2
	s_or_b64 exec, exec, s[20:21]
                                        ; implicit-def: $vgpr25
.LBB4_4803:                             ;   in Loop: Header=BB4_4641 Depth=2
	s_andn2_saveexec_b64 s[20:21], s[22:23]
; %bb.4804:                             ;   in Loop: Header=BB4_4641 Depth=2
	v_or_b32_sdwa v27, v25, s51 dst_sel:DWORD dst_unused:UNUSED_PAD src0_sel:BYTE_3 src1_sel:DWORD
; %bb.4805:                             ;   in Loop: Header=BB4_4641 Depth=2
	s_or_b64 exec, exec, s[20:21]
	v_and_b32_e32 v1, 7, v15
	v_ffbh_u32_e32 v1, v1
	v_and_b32_e32 v24, 0x7f, v15
	v_min_u32_e32 v1, 32, v1
	v_cmp_eq_u32_e64 s[20:21], s51, v24
	v_cmp_gt_u32_e32 vcc, 8, v24
	v_subrev_u32_e32 v24, 28, v1
	v_mov_b32_e32 v50, v15
	v_bfe_u32 v25, v15, 3, 4
	v_sub_u32_e32 v1, 29, v1
	v_cndmask_b32_e32 v24, 0, v24, vcc
	v_cndmask_b32_e32 v1, v25, v1, vcc
	v_lshlrev_b64 v[24:25], v24, v[50:51]
	v_lshlrev_b32_e32 v25, 24, v15
	v_lshlrev_b32_e32 v24, 20, v24
	v_and_b32_e32 v24, 0x700000, v24
	v_and_b32_e32 v25, 0x80000000, v25
	v_lshl_add_u32 v1, v1, 23, v62
	v_or3_b32 v1, v25, v1, v24
	v_mov_b32_e32 v24, v11
	v_mov_b32_e32 v25, v51
	v_cmp_ne_u16_sdwa s[22:23], v11, v51 src0_sel:BYTE_0 src1_sel:DWORD
	s_mov_b64 s[24:25], -1
	s_and_b64 vcc, exec, s[30:31]
                                        ; implicit-def: $vgpr26
	s_cbranch_vccz .LBB4_4819
; %bb.4806:                             ;   in Loop: Header=BB4_4641 Depth=2
	v_mov_b32_e32 v26, 0
	s_and_saveexec_b64 s[24:25], s[22:23]
	s_cbranch_execz .LBB4_4812
; %bb.4807:                             ;   in Loop: Header=BB4_4641 Depth=2
	v_cmp_ne_u16_sdwa vcc, v11, s49 src0_sel:BYTE_0 src1_sel:DWORD
	v_bfrev_b32_e32 v26, 1
	s_and_saveexec_b64 s[26:27], vcc
	s_cbranch_execz .LBB4_4811
; %bb.4808:                             ;   in Loop: Header=BB4_4641 Depth=2
	v_and_b32_e32 v31, 0x7f, v11
	v_cmp_ne_u32_e32 vcc, s51, v31
	v_mov_b32_e32 v26, 0x7f800001
	s_and_saveexec_b64 s[34:35], vcc
	s_cbranch_execz .LBB4_4810
; %bb.4809:                             ;   in Loop: Header=BB4_4641 Depth=2
	v_and_b32_e32 v26, 7, v11
	v_ffbh_u32_e32 v26, v26
	v_min_u32_e32 v26, 32, v26
	v_lshrrev_b32_e32 v36, 3, v31
	v_cmp_gt_u32_e32 vcc, 8, v31
	v_subrev_u32_e32 v31, 28, v26
	v_sub_u32_e32 v26, 29, v26
	v_cndmask_b32_e32 v31, 0, v31, vcc
	v_cndmask_b32_e32 v26, v36, v26, vcc
	v_lshlrev_b64 v[36:37], v31, v[24:25]
	v_lshl_add_u32 v26, v26, 23, v62
	v_lshlrev_b32_e32 v31, 20, v36
	v_lshlrev_b32_e32 v36, 24, v24
	v_and_b32_e32 v31, 0x700000, v31
	v_and_b32_e32 v36, 0x80000000, v36
	v_or3_b32 v26, v36, v26, v31
.LBB4_4810:                             ;   in Loop: Header=BB4_4641 Depth=2
	s_or_b64 exec, exec, s[34:35]
.LBB4_4811:                             ;   in Loop: Header=BB4_4641 Depth=2
	s_or_b64 exec, exec, s[26:27]
.LBB4_4812:                             ;   in Loop: Header=BB4_4641 Depth=2
	s_or_b64 exec, exec, s[24:25]
	v_cmp_gt_i16_sdwa s[26:27], v15, s51 src0_sel:BYTE_0 src1_sel:DWORD
	s_mov_b64 s[24:25], 0
	s_and_saveexec_b64 vcc, s[26:27]
	s_xor_b64 s[26:27], exec, vcc
	s_cbranch_execz .LBB4_5309
; %bb.4813:                             ;   in Loop: Header=BB4_4641 Depth=2
	v_cmp_eq_u16_sdwa s[34:35], v15, s49 src0_sel:BYTE_0 src1_sel:DWORD
	s_mov_b64 s[24:25], -1
	s_and_saveexec_b64 vcc, s[34:35]
; %bb.4814:                             ;   in Loop: Header=BB4_4641 Depth=2
	s_xor_b64 s[24:25], exec, -1
; %bb.4815:                             ;   in Loop: Header=BB4_4641 Depth=2
	s_or_b64 exec, exec, vcc
	s_and_b64 s[24:25], s[24:25], exec
	s_or_saveexec_b64 s[26:27], s[26:27]
	v_bfrev_b32_e32 v31, 1
	s_xor_b64 exec, exec, s[26:27]
	s_cbranch_execnz .LBB4_5310
.LBB4_4816:                             ;   in Loop: Header=BB4_4641 Depth=2
	s_or_b64 exec, exec, s[26:27]
	s_and_saveexec_b64 s[26:27], s[24:25]
.LBB4_4817:                             ;   in Loop: Header=BB4_4641 Depth=2
	v_mov_b32_e32 v31, 0x7f800001
	v_cndmask_b32_e64 v31, v1, v31, s[20:21]
.LBB4_4818:                             ;   in Loop: Header=BB4_4641 Depth=2
	s_or_b64 exec, exec, s[26:27]
	v_max_f32_e32 v31, v31, v31
	v_max_f32_e32 v26, v26, v26
	;; [unrolled: 1-line block ×3, first 2 shown]
	s_mov_b64 s[24:25], 0
.LBB4_4819:                             ;   in Loop: Header=BB4_4641 Depth=2
	s_and_b64 vcc, exec, s[24:25]
	s_cbranch_vccz .LBB4_4833
; %bb.4820:                             ;   in Loop: Header=BB4_4641 Depth=2
	v_mov_b32_e32 v26, 0
	s_and_saveexec_b64 s[24:25], s[22:23]
	s_cbranch_execz .LBB4_4826
; %bb.4821:                             ;   in Loop: Header=BB4_4641 Depth=2
	v_cmp_ne_u16_sdwa s[26:27], v11, s49 src0_sel:BYTE_0 src1_sel:DWORD
	v_bfrev_b32_e32 v26, 1
	s_and_saveexec_b64 s[22:23], s[26:27]
	s_cbranch_execz .LBB4_4825
; %bb.4822:                             ;   in Loop: Header=BB4_4641 Depth=2
	v_and_b32_e32 v31, 0x7f, v11
	v_cmp_ne_u32_e32 vcc, s51, v31
	v_mov_b32_e32 v26, 0x7f800001
	s_and_saveexec_b64 s[26:27], vcc
	s_cbranch_execz .LBB4_4824
; %bb.4823:                             ;   in Loop: Header=BB4_4641 Depth=2
	v_and_b32_e32 v26, 7, v11
	v_ffbh_u32_e32 v26, v26
	v_min_u32_e32 v26, 32, v26
	v_lshrrev_b32_e32 v36, 3, v31
	v_cmp_gt_u32_e32 vcc, 8, v31
	v_subrev_u32_e32 v31, 28, v26
	v_sub_u32_e32 v26, 29, v26
	v_cndmask_b32_e32 v36, v36, v26, vcc
	v_cndmask_b32_e32 v26, 0, v31, vcc
	v_lshlrev_b64 v[25:26], v26, v[24:25]
	v_lshlrev_b32_e32 v26, 24, v24
	v_lshlrev_b32_e32 v25, 20, v25
	v_and_b32_e32 v25, 0x700000, v25
	v_and_b32_e32 v26, 0x80000000, v26
	v_lshl_add_u32 v31, v36, 23, v62
	v_or3_b32 v26, v26, v31, v25
.LBB4_4824:                             ;   in Loop: Header=BB4_4641 Depth=2
	s_or_b64 exec, exec, s[26:27]
.LBB4_4825:                             ;   in Loop: Header=BB4_4641 Depth=2
	s_or_b64 exec, exec, s[22:23]
.LBB4_4826:                             ;   in Loop: Header=BB4_4641 Depth=2
	s_or_b64 exec, exec, s[24:25]
	v_cmp_gt_i16_sdwa s[24:25], v15, s51 src0_sel:BYTE_0 src1_sel:DWORD
	s_mov_b64 s[22:23], 0
	s_and_saveexec_b64 s[26:27], s[24:25]
	s_xor_b64 s[24:25], exec, s[26:27]
	s_cbranch_execz .LBB4_5311
; %bb.4827:                             ;   in Loop: Header=BB4_4641 Depth=2
	v_cmp_eq_u16_sdwa vcc, v15, s49 src0_sel:BYTE_0 src1_sel:DWORD
	s_mov_b64 s[22:23], -1
	s_and_saveexec_b64 s[26:27], vcc
; %bb.4828:                             ;   in Loop: Header=BB4_4641 Depth=2
	s_xor_b64 s[22:23], exec, -1
; %bb.4829:                             ;   in Loop: Header=BB4_4641 Depth=2
	s_or_b64 exec, exec, s[26:27]
	s_and_b64 s[22:23], s[22:23], exec
	s_or_saveexec_b64 s[24:25], s[24:25]
	v_bfrev_b32_e32 v25, 1
	s_xor_b64 exec, exec, s[24:25]
	s_cbranch_execnz .LBB4_5312
.LBB4_4830:                             ;   in Loop: Header=BB4_4641 Depth=2
	s_or_b64 exec, exec, s[24:25]
	s_and_saveexec_b64 s[24:25], s[22:23]
.LBB4_4831:                             ;   in Loop: Header=BB4_4641 Depth=2
	v_mov_b32_e32 v25, 0x7f800001
	v_cndmask_b32_e64 v25, v1, v25, s[20:21]
.LBB4_4832:                             ;   in Loop: Header=BB4_4641 Depth=2
	s_or_b64 exec, exec, s[24:25]
	v_max_f32_e32 v1, v25, v25
	v_max_f32_e32 v25, v26, v26
	v_min_f32_e32 v26, v25, v1
.LBB4_4833:                             ;   in Loop: Header=BB4_4641 Depth=2
	v_and_b32_e32 v36, 0x7f800000, v26
	v_mov_b32_e32 v37, v51
	v_cmp_ne_u64_e32 vcc, s[62:63], v[36:37]
                                        ; implicit-def: $vgpr55
	s_and_saveexec_b64 s[20:21], vcc
	s_xor_b64 s[22:23], exec, s[20:21]
	s_cbranch_execz .LBB4_4847
; %bb.4834:                             ;   in Loop: Header=BB4_4641 Depth=2
	v_and_b32_e32 v36, 0x7fffffff, v26
	v_mov_b32_e32 v37, v51
	v_cmp_gt_u64_e32 vcc, s[72:73], v[36:37]
	v_and_b32_sdwa v1, v26, s49 dst_sel:DWORD dst_unused:UNUSED_PAD src0_sel:BYTE_3 src1_sel:DWORD
                                        ; implicit-def: $vgpr55
	s_and_saveexec_b64 s[20:21], vcc
	s_xor_b64 s[24:25], exec, s[20:21]
	s_cbranch_execz .LBB4_4844
; %bb.4835:                             ;   in Loop: Header=BB4_4641 Depth=2
	v_mov_b32_e32 v55, 0
	v_cmp_ne_u32_e32 vcc, 0, v26
	s_and_saveexec_b64 s[26:27], vcc
	s_cbranch_execz .LBB4_4843
; %bb.4836:                             ;   in Loop: Header=BB4_4641 Depth=2
	v_bfe_u32 v25, v26, 23, 8
	v_and_b32_e32 v31, 0x7fffff, v26
	v_cmp_gt_u32_e64 s[20:21], s53, v25
	v_sub_u32_e32 v26, 0x79, v25
	v_cmp_eq_u32_e32 vcc, 0, v25
	v_cndmask_b32_e64 v26, 0, v26, s[20:21]
	v_mov_b32_e32 v37, 0x78
	v_or_b32_e32 v36, 0x800000, v31
	v_cndmask_b32_e32 v26, v26, v37, vcc
	v_cndmask_b32_e32 v36, v36, v31, vcc
	v_add_u32_e32 v31, 20, v26
	v_mov_b32_e32 v37, v51
	v_lshlrev_b64 v[48:49], v31, -1
	v_add_u32_e32 v31, 19, v26
	v_lshlrev_b64 v[54:55], v31, 1
	v_lshrrev_b64 v[44:45], v26, v[36:37]
	v_bfi_b32 v49, v49, 0, 0
	v_bfi_b32 v48, v48, 0, v36
	v_cmp_eq_u64_e64 s[20:21], v[48:49], v[54:55]
	v_mov_b32_e32 v46, v45
	v_mov_b32_e32 v45, v44
	s_and_saveexec_b64 s[34:35], s[20:21]
; %bb.4837:                             ;   in Loop: Header=BB4_4641 Depth=2
	v_bfe_u32 v31, v44, 20, 1
	v_add_co_u32_e64 v31, s[20:21], v44, v31
	v_add_co_u32_e64 v45, s[20:21], -1, v31
; %bb.4838:                             ;   in Loop: Header=BB4_4641 Depth=2
	s_or_b64 exec, exec, s[34:35]
	v_add_u32_e32 v25, 0xffffff81, v25
	v_mov_b32_e32 v49, 0xffffff82
	v_cndmask_b32_e32 v25, v25, v49, vcc
	v_lshrrev_b32_e32 v31, 23, v44
	v_add3_u32 v31, v26, v25, v31
	v_add_u32_e32 v26, 6, v31
	v_and_b32_e32 v25, 0xfffff, v45
	v_add_u32_e32 v44, v25, v44
	v_mov_b32_e32 v45, v51
	v_cmp_ne_u32_e32 vcc, 0, v26
                                        ; implicit-def: $vgpr25
	s_and_saveexec_b64 s[20:21], vcc
	s_xor_b64 s[20:21], exec, s[20:21]
; %bb.4839:                             ;   in Loop: Header=BB4_4641 Depth=2
	v_cmp_lt_u64_e32 vcc, s[74:75], v[44:45]
	v_add_u32_e32 v25, 7, v31
	v_cndmask_b32_e32 v25, v26, v25, vcc
	v_cndmask_b32_e64 v26, 0, 1, vcc
	v_lshrrev_b64 v[44:45], v26, v[44:45]
; %bb.4840:                             ;   in Loop: Header=BB4_4641 Depth=2
	s_andn2_saveexec_b64 s[20:21], s[20:21]
; %bb.4841:                             ;   in Loop: Header=BB4_4641 Depth=2
	v_bfe_u32 v25, v44, 23, 1
; %bb.4842:                             ;   in Loop: Header=BB4_4641 Depth=2
	s_or_b64 exec, exec, s[20:21]
	v_lshrrev_b64 v[36:37], 20, v[44:45]
	v_cmp_gt_i32_e32 vcc, 16, v25
	v_cndmask_b32_e32 v37, 0, v37, vcc
	v_cndmask_b32_e32 v36, 7, v36, vcc
	v_cmp_eq_u32_e32 vcc, 0, v25
	v_min_i32_e32 v25, 15, v25
	v_cmp_eq_u64_e64 s[20:21], 0, v[36:37]
	v_lshlrev_b32_e32 v25, 3, v25
	v_and_b32_e32 v25, 0xf8, v25
	v_and_or_b32 v25, v36, 7, v25
	s_and_b64 s[20:21], vcc, s[20:21]
	v_cndmask_b32_e64 v25, v25, 0, s[20:21]
	v_or_b32_e32 v55, v25, v1
.LBB4_4843:                             ;   in Loop: Header=BB4_4641 Depth=2
	s_or_b64 exec, exec, s[26:27]
                                        ; implicit-def: $vgpr1
.LBB4_4844:                             ;   in Loop: Header=BB4_4641 Depth=2
	s_andn2_saveexec_b64 s[20:21], s[24:25]
; %bb.4845:                             ;   in Loop: Header=BB4_4641 Depth=2
	v_or_b32_e32 v55, 0x7e, v1
; %bb.4846:                             ;   in Loop: Header=BB4_4641 Depth=2
	s_or_b64 exec, exec, s[20:21]
                                        ; implicit-def: $vgpr26
.LBB4_4847:                             ;   in Loop: Header=BB4_4641 Depth=2
	s_andn2_saveexec_b64 s[20:21], s[22:23]
; %bb.4848:                             ;   in Loop: Header=BB4_4641 Depth=2
	v_or_b32_sdwa v55, v26, s51 dst_sel:DWORD dst_unused:UNUSED_PAD src0_sel:BYTE_3 src1_sel:DWORD
; %bb.4849:                             ;   in Loop: Header=BB4_4641 Depth=2
	s_or_b64 exec, exec, s[20:21]
	v_lshrrev_b16_e32 v50, 8, v50
	v_and_b32_e32 v1, 7, v50
	v_and_b32_e32 v26, 0x7f, v50
	v_cmp_eq_u32_e64 s[20:21], s51, v26
	v_cmp_gt_u32_e32 vcc, 8, v26
	v_ffbh_u32_e32 v26, v1
	v_min_u32_e32 v26, 32, v26
	v_subrev_u32_e32 v36, 28, v26
	v_lshlrev_b64 v[36:37], v36, v[50:51]
	v_bfe_u32 v31, v50, 3, 4
	v_sub_u32_e32 v26, 29, v26
	v_and_b32_e32 v36, 7, v36
	v_cndmask_b32_e32 v26, v31, v26, vcc
	v_cndmask_b32_e32 v1, v1, v36, vcc
	v_lshlrev_b32_e32 v31, 24, v50
	v_lshrrev_b16_e32 v25, 8, v24
	v_lshlrev_b32_e32 v1, 20, v1
	v_and_b32_e32 v31, 0x80000000, v31
	v_lshl_add_u32 v26, v26, 23, v62
	v_or3_b32 v1, v31, v26, v1
	v_cmp_ne_u16_e64 s[22:23], 0, v25
	s_mov_b64 s[24:25], -1
	s_and_b64 vcc, exec, s[30:31]
                                        ; implicit-def: $vgpr26
	s_cbranch_vccz .LBB4_4863
; %bb.4850:                             ;   in Loop: Header=BB4_4641 Depth=2
	v_mov_b32_e32 v26, 0
	s_and_saveexec_b64 s[24:25], s[22:23]
	s_cbranch_execz .LBB4_4856
; %bb.4851:                             ;   in Loop: Header=BB4_4641 Depth=2
	v_cmp_ne_u16_e32 vcc, s49, v25
	v_bfrev_b32_e32 v26, 1
	s_and_saveexec_b64 s[26:27], vcc
	s_cbranch_execz .LBB4_4855
; %bb.4852:                             ;   in Loop: Header=BB4_4641 Depth=2
	v_and_b32_e32 v31, 0x7f, v25
	v_cmp_ne_u32_e32 vcc, s51, v31
	v_mov_b32_e32 v26, 0x7f800001
	s_and_saveexec_b64 s[34:35], vcc
	s_cbranch_execz .LBB4_4854
; %bb.4853:                             ;   in Loop: Header=BB4_4641 Depth=2
	v_and_b32_e32 v26, 7, v25
	v_lshrrev_b32_e32 v48, 3, v31
	v_cmp_gt_u32_e32 vcc, 8, v31
	v_ffbh_u32_e32 v31, v26
	v_min_u32_e32 v31, 32, v31
	v_subrev_u32_e32 v36, 28, v31
	v_lshlrev_b64 v[36:37], v36, v[25:26]
	v_sub_u32_e32 v31, 29, v31
	v_and_b32_e32 v36, 7, v36
	v_cndmask_b32_e32 v31, v48, v31, vcc
	v_cndmask_b32_e32 v26, v26, v36, vcc
	v_lshlrev_b32_e32 v36, 16, v24
	v_lshlrev_b32_e32 v26, 20, v26
	v_and_b32_e32 v36, 0x80000000, v36
	v_lshl_add_u32 v31, v31, 23, v62
	v_or3_b32 v26, v36, v31, v26
.LBB4_4854:                             ;   in Loop: Header=BB4_4641 Depth=2
	s_or_b64 exec, exec, s[34:35]
.LBB4_4855:                             ;   in Loop: Header=BB4_4641 Depth=2
	s_or_b64 exec, exec, s[26:27]
.LBB4_4856:                             ;   in Loop: Header=BB4_4641 Depth=2
	s_or_b64 exec, exec, s[24:25]
	v_cmp_lt_i16_e32 vcc, s51, v50
	s_mov_b64 s[24:25], 0
	s_and_saveexec_b64 s[26:27], vcc
	s_xor_b64 s[26:27], exec, s[26:27]
	s_cbranch_execz .LBB4_5313
; %bb.4857:                             ;   in Loop: Header=BB4_4641 Depth=2
	v_cmp_eq_u16_e32 vcc, s49, v50
	s_mov_b64 s[24:25], -1
	s_and_saveexec_b64 s[34:35], vcc
; %bb.4858:                             ;   in Loop: Header=BB4_4641 Depth=2
	s_xor_b64 s[24:25], exec, -1
; %bb.4859:                             ;   in Loop: Header=BB4_4641 Depth=2
	s_or_b64 exec, exec, s[34:35]
	s_and_b64 s[24:25], s[24:25], exec
	s_or_saveexec_b64 s[26:27], s[26:27]
	v_bfrev_b32_e32 v31, 1
	s_xor_b64 exec, exec, s[26:27]
	s_cbranch_execnz .LBB4_5314
.LBB4_4860:                             ;   in Loop: Header=BB4_4641 Depth=2
	s_or_b64 exec, exec, s[26:27]
	s_and_saveexec_b64 s[26:27], s[24:25]
.LBB4_4861:                             ;   in Loop: Header=BB4_4641 Depth=2
	v_mov_b32_e32 v31, 0x7f800001
	v_cndmask_b32_e64 v31, v1, v31, s[20:21]
.LBB4_4862:                             ;   in Loop: Header=BB4_4641 Depth=2
	s_or_b64 exec, exec, s[26:27]
	v_max_f32_e32 v31, v31, v31
	v_max_f32_e32 v26, v26, v26
	;; [unrolled: 1-line block ×3, first 2 shown]
	s_mov_b64 s[24:25], 0
.LBB4_4863:                             ;   in Loop: Header=BB4_4641 Depth=2
	s_and_b64 vcc, exec, s[24:25]
	s_cbranch_vccz .LBB4_4877
; %bb.4864:                             ;   in Loop: Header=BB4_4641 Depth=2
	v_mov_b32_e32 v26, 0
	s_and_saveexec_b64 s[24:25], s[22:23]
	s_cbranch_execz .LBB4_4870
; %bb.4865:                             ;   in Loop: Header=BB4_4641 Depth=2
	v_cmp_ne_u16_e32 vcc, s49, v25
	v_bfrev_b32_e32 v26, 1
	s_and_saveexec_b64 s[22:23], vcc
	s_cbranch_execz .LBB4_4869
; %bb.4866:                             ;   in Loop: Header=BB4_4641 Depth=2
	v_and_b32_e32 v31, 0x7f, v25
	v_cmp_ne_u32_e32 vcc, s51, v31
	v_mov_b32_e32 v26, 0x7f800001
	s_and_saveexec_b64 s[26:27], vcc
	s_cbranch_execz .LBB4_4868
; %bb.4867:                             ;   in Loop: Header=BB4_4641 Depth=2
	v_and_b32_e32 v36, 7, v25
	v_ffbh_u32_e32 v26, v36
	v_lshrrev_b32_e32 v37, 3, v31
	v_cmp_gt_u32_e32 vcc, 8, v31
	v_min_u32_e32 v31, 32, v26
	v_subrev_u32_e32 v26, 28, v31
	v_lshlrev_b64 v[25:26], v26, v[25:26]
	v_sub_u32_e32 v26, 29, v31
	v_and_b32_e32 v25, 7, v25
	v_cndmask_b32_e32 v26, v37, v26, vcc
	v_cndmask_b32_e32 v25, v36, v25, vcc
	v_lshlrev_b32_e32 v24, 16, v24
	v_lshlrev_b32_e32 v25, 20, v25
	v_and_b32_e32 v24, 0x80000000, v24
	v_lshl_add_u32 v26, v26, 23, v62
	v_or3_b32 v26, v24, v26, v25
.LBB4_4868:                             ;   in Loop: Header=BB4_4641 Depth=2
	s_or_b64 exec, exec, s[26:27]
.LBB4_4869:                             ;   in Loop: Header=BB4_4641 Depth=2
	s_or_b64 exec, exec, s[22:23]
.LBB4_4870:                             ;   in Loop: Header=BB4_4641 Depth=2
	s_or_b64 exec, exec, s[24:25]
	v_cmp_lt_i16_e32 vcc, s51, v50
	s_mov_b64 s[22:23], 0
	s_and_saveexec_b64 s[24:25], vcc
	s_xor_b64 s[24:25], exec, s[24:25]
	s_cbranch_execz .LBB4_5315
; %bb.4871:                             ;   in Loop: Header=BB4_4641 Depth=2
	v_cmp_eq_u16_e32 vcc, s49, v50
	s_mov_b64 s[22:23], -1
	s_and_saveexec_b64 s[26:27], vcc
; %bb.4872:                             ;   in Loop: Header=BB4_4641 Depth=2
	s_xor_b64 s[22:23], exec, -1
; %bb.4873:                             ;   in Loop: Header=BB4_4641 Depth=2
	s_or_b64 exec, exec, s[26:27]
	s_and_b64 s[22:23], s[22:23], exec
	s_or_saveexec_b64 s[24:25], s[24:25]
	v_bfrev_b32_e32 v24, 1
	s_xor_b64 exec, exec, s[24:25]
	s_cbranch_execnz .LBB4_5316
.LBB4_4874:                             ;   in Loop: Header=BB4_4641 Depth=2
	s_or_b64 exec, exec, s[24:25]
	s_and_saveexec_b64 s[24:25], s[22:23]
.LBB4_4875:                             ;   in Loop: Header=BB4_4641 Depth=2
	v_mov_b32_e32 v24, 0x7f800001
	v_cndmask_b32_e64 v24, v1, v24, s[20:21]
.LBB4_4876:                             ;   in Loop: Header=BB4_4641 Depth=2
	s_or_b64 exec, exec, s[24:25]
	v_max_f32_e32 v1, v24, v24
	v_max_f32_e32 v24, v26, v26
	v_min_f32_e32 v26, v24, v1
.LBB4_4877:                             ;   in Loop: Header=BB4_4641 Depth=2
	v_and_b32_e32 v50, 0x7f800000, v26
	v_cmp_ne_u64_e32 vcc, s[62:63], v[50:51]
                                        ; implicit-def: $vgpr40
	s_and_saveexec_b64 s[20:21], vcc
	s_xor_b64 s[22:23], exec, s[20:21]
	s_cbranch_execz .LBB4_4891
; %bb.4878:                             ;   in Loop: Header=BB4_4641 Depth=2
	v_and_b32_e32 v50, 0x7fffffff, v26
	v_cmp_gt_u64_e32 vcc, s[72:73], v[50:51]
	v_and_b32_sdwa v1, v26, s49 dst_sel:DWORD dst_unused:UNUSED_PAD src0_sel:BYTE_3 src1_sel:DWORD
                                        ; implicit-def: $vgpr40
	s_and_saveexec_b64 s[20:21], vcc
	s_xor_b64 s[24:25], exec, s[20:21]
	s_cbranch_execz .LBB4_4888
; %bb.4879:                             ;   in Loop: Header=BB4_4641 Depth=2
	v_mov_b32_e32 v40, 0
	v_cmp_ne_u32_e32 vcc, 0, v26
	s_and_saveexec_b64 s[26:27], vcc
	s_cbranch_execz .LBB4_4887
; %bb.4880:                             ;   in Loop: Header=BB4_4641 Depth=2
	v_and_b32_e32 v24, 0x7fffff, v26
	v_bfe_u32 v26, v26, 23, 8
	v_cmp_gt_u32_e64 s[20:21], s53, v26
	v_sub_u32_e32 v25, 0x79, v26
	v_cmp_eq_u32_e32 vcc, 0, v26
	v_cndmask_b32_e64 v25, 0, v25, s[20:21]
	v_mov_b32_e32 v31, 0x78
	v_or_b32_e32 v36, 0x800000, v24
	v_cndmask_b32_e32 v31, v25, v31, vcc
	v_cndmask_b32_e32 v50, v36, v24, vcc
	v_add_u32_e32 v24, 20, v31
	v_lshlrev_b64 v[24:25], v24, -1
	v_add_u32_e32 v36, 19, v31
	v_lshlrev_b64 v[36:37], v36, 1
	v_bfi_b32 v25, v25, 0, 0
	v_bfi_b32 v24, v24, 0, v50
	v_cmp_eq_u64_e64 s[20:21], v[24:25], v[36:37]
	v_lshrrev_b64 v[24:25], v31, v[50:51]
	v_mov_b32_e32 v45, v25
	v_mov_b32_e32 v44, v24
	s_and_saveexec_b64 s[34:35], s[20:21]
; %bb.4881:                             ;   in Loop: Header=BB4_4641 Depth=2
	v_bfe_u32 v25, v24, 20, 1
	v_add_co_u32_e64 v25, s[20:21], v24, v25
	v_add_co_u32_e64 v44, s[20:21], -1, v25
; %bb.4882:                             ;   in Loop: Header=BB4_4641 Depth=2
	s_or_b64 exec, exec, s[34:35]
	v_add_u32_e32 v25, 0xffffff81, v26
	v_cndmask_b32_e32 v25, v25, v49, vcc
	v_lshrrev_b32_e32 v26, 23, v24
	v_add3_u32 v48, v31, v25, v26
	v_add_u32_e32 v31, 6, v48
	v_and_b32_e32 v25, 0xfffff, v44
	v_add_u32_e32 v50, v25, v24
	v_cmp_ne_u32_e32 vcc, 0, v31
                                        ; implicit-def: $vgpr24_vgpr25
                                        ; implicit-def: $vgpr26
	s_and_saveexec_b64 s[20:21], vcc
	s_xor_b64 s[20:21], exec, s[20:21]
; %bb.4883:                             ;   in Loop: Header=BB4_4641 Depth=2
	v_cmp_lt_u64_e32 vcc, s[74:75], v[50:51]
	v_add_u32_e32 v24, 7, v48
	v_cndmask_b32_e32 v26, v31, v24, vcc
	v_cndmask_b32_e64 v24, 0, 1, vcc
	v_lshrrev_b64 v[24:25], v24, v[50:51]
; %bb.4884:                             ;   in Loop: Header=BB4_4641 Depth=2
	s_andn2_saveexec_b64 s[20:21], s[20:21]
; %bb.4885:                             ;   in Loop: Header=BB4_4641 Depth=2
	v_mov_b32_e32 v24, v50
	v_bfe_u32 v26, v50, 23, 1
	v_mov_b32_e32 v25, v51
; %bb.4886:                             ;   in Loop: Header=BB4_4641 Depth=2
	s_or_b64 exec, exec, s[20:21]
	v_lshrrev_b64 v[24:25], 20, v[24:25]
	v_cmp_gt_i32_e32 vcc, 16, v26
	v_cndmask_b32_e32 v25, 0, v25, vcc
	v_cndmask_b32_e32 v24, 7, v24, vcc
	v_cmp_eq_u64_e64 s[20:21], 0, v[24:25]
	v_min_i32_e32 v25, 15, v26
	v_lshlrev_b32_e32 v25, 3, v25
	v_cmp_eq_u32_e32 vcc, 0, v26
	v_and_b32_e32 v25, 0xf8, v25
	v_and_or_b32 v24, v24, 7, v25
	s_and_b64 s[20:21], vcc, s[20:21]
	v_cndmask_b32_e64 v24, v24, 0, s[20:21]
	v_or_b32_e32 v40, v24, v1
.LBB4_4887:                             ;   in Loop: Header=BB4_4641 Depth=2
	s_or_b64 exec, exec, s[26:27]
                                        ; implicit-def: $vgpr1
.LBB4_4888:                             ;   in Loop: Header=BB4_4641 Depth=2
	s_andn2_saveexec_b64 s[20:21], s[24:25]
; %bb.4889:                             ;   in Loop: Header=BB4_4641 Depth=2
	v_or_b32_e32 v40, 0x7e, v1
; %bb.4890:                             ;   in Loop: Header=BB4_4641 Depth=2
	s_or_b64 exec, exec, s[20:21]
                                        ; implicit-def: $vgpr26
.LBB4_4891:                             ;   in Loop: Header=BB4_4641 Depth=2
	s_andn2_saveexec_b64 s[20:21], s[22:23]
; %bb.4892:                             ;   in Loop: Header=BB4_4641 Depth=2
	v_or_b32_sdwa v40, v26, s51 dst_sel:DWORD dst_unused:UNUSED_PAD src0_sel:BYTE_3 src1_sel:DWORD
; %bb.4893:                             ;   in Loop: Header=BB4_4641 Depth=2
	s_or_b64 exec, exec, s[20:21]
	v_bfe_u32 v1, v15, 16, 3
	v_bfe_u32 v25, v15, 16, 7
	v_cmp_eq_u32_e64 s[20:21], s51, v25
	v_cmp_gt_u32_e32 vcc, 8, v25
	v_ffbh_u32_e32 v25, v1
	v_min_u32_e32 v36, 32, v25
	v_lshrrev_b32_e32 v24, 16, v15
	v_subrev_u32_e32 v25, 28, v36
	v_lshlrev_b64 v[25:26], v25, v[24:25]
	v_bfe_u32 v31, v24, 3, 4
	v_sub_u32_e32 v26, 29, v36
	v_and_b32_e32 v25, 7, v25
	v_cndmask_b32_e32 v26, v31, v26, vcc
	v_cndmask_b32_e32 v1, v1, v25, vcc
	v_lshlrev_b32_e32 v25, 8, v15
	v_lshlrev_b32_e32 v1, 20, v1
	v_and_b32_e32 v25, 0x80000000, v25
	v_lshl_add_u32 v26, v26, 23, v62
	v_or3_b32 v1, v25, v26, v1
	v_lshrrev_b32_e32 v25, 16, v11
	v_cmp_ne_u16_sdwa s[22:23], v25, v51 src0_sel:BYTE_0 src1_sel:DWORD
	s_mov_b64 s[24:25], -1
	s_and_b64 vcc, exec, s[30:31]
                                        ; implicit-def: $vgpr26
	s_cbranch_vccz .LBB4_4907
; %bb.4894:                             ;   in Loop: Header=BB4_4641 Depth=2
	v_mov_b32_e32 v26, 0
	s_and_saveexec_b64 s[24:25], s[22:23]
	s_cbranch_execz .LBB4_4900
; %bb.4895:                             ;   in Loop: Header=BB4_4641 Depth=2
	v_cmp_ne_u16_sdwa vcc, v25, s49 src0_sel:BYTE_0 src1_sel:DWORD
	v_bfrev_b32_e32 v26, 1
	s_and_saveexec_b64 s[26:27], vcc
	s_cbranch_execz .LBB4_4899
; %bb.4896:                             ;   in Loop: Header=BB4_4641 Depth=2
	v_bfe_u32 v31, v11, 16, 7
	v_cmp_ne_u32_e32 vcc, s51, v31
	v_mov_b32_e32 v26, 0x7f800001
	s_and_saveexec_b64 s[34:35], vcc
	s_cbranch_execz .LBB4_4898
; %bb.4897:                             ;   in Loop: Header=BB4_4641 Depth=2
	v_and_b32_e32 v26, 7, v25
	v_lshrrev_b32_e32 v48, 3, v31
	v_cmp_gt_u32_e32 vcc, 8, v31
	v_ffbh_u32_e32 v31, v26
	v_min_u32_e32 v31, 32, v31
	v_subrev_u32_e32 v36, 28, v31
	v_lshlrev_b64 v[36:37], v36, v[25:26]
	v_sub_u32_e32 v31, 29, v31
	v_and_b32_e32 v36, 7, v36
	v_cndmask_b32_e32 v31, v48, v31, vcc
	v_cndmask_b32_e32 v26, v26, v36, vcc
	v_lshlrev_b32_e32 v36, 24, v25
	v_lshlrev_b32_e32 v26, 20, v26
	v_and_b32_e32 v36, 0x80000000, v36
	v_lshl_add_u32 v31, v31, 23, v62
	v_or3_b32 v26, v36, v31, v26
.LBB4_4898:                             ;   in Loop: Header=BB4_4641 Depth=2
	s_or_b64 exec, exec, s[34:35]
.LBB4_4899:                             ;   in Loop: Header=BB4_4641 Depth=2
	s_or_b64 exec, exec, s[26:27]
.LBB4_4900:                             ;   in Loop: Header=BB4_4641 Depth=2
	s_or_b64 exec, exec, s[24:25]
	v_cmp_gt_i16_sdwa s[26:27], v24, s51 src0_sel:BYTE_0 src1_sel:DWORD
	s_mov_b64 s[24:25], 0
	s_and_saveexec_b64 vcc, s[26:27]
	s_xor_b64 s[26:27], exec, vcc
	s_cbranch_execz .LBB4_5317
; %bb.4901:                             ;   in Loop: Header=BB4_4641 Depth=2
	v_cmp_eq_u16_sdwa s[34:35], v24, s49 src0_sel:BYTE_0 src1_sel:DWORD
	s_mov_b64 s[24:25], -1
	s_and_saveexec_b64 vcc, s[34:35]
; %bb.4902:                             ;   in Loop: Header=BB4_4641 Depth=2
	s_xor_b64 s[24:25], exec, -1
; %bb.4903:                             ;   in Loop: Header=BB4_4641 Depth=2
	s_or_b64 exec, exec, vcc
	s_and_b64 s[24:25], s[24:25], exec
	s_or_saveexec_b64 s[26:27], s[26:27]
	v_bfrev_b32_e32 v31, 1
	s_xor_b64 exec, exec, s[26:27]
	s_cbranch_execnz .LBB4_5318
.LBB4_4904:                             ;   in Loop: Header=BB4_4641 Depth=2
	s_or_b64 exec, exec, s[26:27]
	s_and_saveexec_b64 s[26:27], s[24:25]
.LBB4_4905:                             ;   in Loop: Header=BB4_4641 Depth=2
	v_mov_b32_e32 v31, 0x7f800001
	v_cndmask_b32_e64 v31, v1, v31, s[20:21]
.LBB4_4906:                             ;   in Loop: Header=BB4_4641 Depth=2
	s_or_b64 exec, exec, s[26:27]
	v_max_f32_e32 v31, v31, v31
	v_max_f32_e32 v26, v26, v26
	v_max_f32_e32 v26, v26, v31
	s_mov_b64 s[24:25], 0
.LBB4_4907:                             ;   in Loop: Header=BB4_4641 Depth=2
	s_and_b64 vcc, exec, s[24:25]
	s_cbranch_vccz .LBB4_4921
; %bb.4908:                             ;   in Loop: Header=BB4_4641 Depth=2
	v_mov_b32_e32 v26, 0
	s_and_saveexec_b64 s[24:25], s[22:23]
	s_cbranch_execz .LBB4_4914
; %bb.4909:                             ;   in Loop: Header=BB4_4641 Depth=2
	v_cmp_ne_u16_sdwa s[26:27], v25, s49 src0_sel:BYTE_0 src1_sel:DWORD
	v_bfrev_b32_e32 v26, 1
	s_and_saveexec_b64 s[22:23], s[26:27]
	s_cbranch_execz .LBB4_4913
; %bb.4910:                             ;   in Loop: Header=BB4_4641 Depth=2
	v_bfe_u32 v31, v11, 16, 7
	v_cmp_ne_u32_e32 vcc, s51, v31
	v_mov_b32_e32 v26, 0x7f800001
	s_and_saveexec_b64 s[26:27], vcc
	s_cbranch_execz .LBB4_4912
; %bb.4911:                             ;   in Loop: Header=BB4_4641 Depth=2
	v_and_b32_e32 v26, 7, v25
	v_lshrrev_b32_e32 v48, 3, v31
	v_cmp_gt_u32_e32 vcc, 8, v31
	v_ffbh_u32_e32 v31, v26
	v_min_u32_e32 v31, 32, v31
	v_subrev_u32_e32 v36, 28, v31
	v_lshlrev_b64 v[36:37], v36, v[25:26]
	v_sub_u32_e32 v31, 29, v31
	v_and_b32_e32 v36, 7, v36
	v_cndmask_b32_e32 v31, v48, v31, vcc
	v_cndmask_b32_e32 v26, v26, v36, vcc
	v_lshlrev_b32_e32 v25, 24, v25
	v_lshlrev_b32_e32 v26, 20, v26
	v_and_b32_e32 v25, 0x80000000, v25
	v_lshl_add_u32 v31, v31, 23, v62
	v_or3_b32 v26, v25, v31, v26
.LBB4_4912:                             ;   in Loop: Header=BB4_4641 Depth=2
	s_or_b64 exec, exec, s[26:27]
.LBB4_4913:                             ;   in Loop: Header=BB4_4641 Depth=2
	s_or_b64 exec, exec, s[22:23]
.LBB4_4914:                             ;   in Loop: Header=BB4_4641 Depth=2
	s_or_b64 exec, exec, s[24:25]
	v_cmp_gt_i16_sdwa s[24:25], v24, s51 src0_sel:BYTE_0 src1_sel:DWORD
	s_mov_b64 s[22:23], 0
	s_and_saveexec_b64 s[26:27], s[24:25]
	s_xor_b64 s[24:25], exec, s[26:27]
	s_cbranch_execz .LBB4_5319
; %bb.4915:                             ;   in Loop: Header=BB4_4641 Depth=2
	v_cmp_eq_u16_sdwa vcc, v24, s49 src0_sel:BYTE_0 src1_sel:DWORD
	s_mov_b64 s[22:23], -1
	s_and_saveexec_b64 s[26:27], vcc
; %bb.4916:                             ;   in Loop: Header=BB4_4641 Depth=2
	s_xor_b64 s[22:23], exec, -1
; %bb.4917:                             ;   in Loop: Header=BB4_4641 Depth=2
	s_or_b64 exec, exec, s[26:27]
	s_and_b64 s[22:23], s[22:23], exec
                                        ; implicit-def: $vgpr24
	s_or_saveexec_b64 s[24:25], s[24:25]
	v_bfrev_b32_e32 v25, 1
	s_xor_b64 exec, exec, s[24:25]
	s_cbranch_execnz .LBB4_5320
.LBB4_4918:                             ;   in Loop: Header=BB4_4641 Depth=2
	s_or_b64 exec, exec, s[24:25]
	s_and_saveexec_b64 s[24:25], s[22:23]
.LBB4_4919:                             ;   in Loop: Header=BB4_4641 Depth=2
	v_mov_b32_e32 v24, 0x7f800001
	v_cndmask_b32_e64 v25, v1, v24, s[20:21]
.LBB4_4920:                             ;   in Loop: Header=BB4_4641 Depth=2
	s_or_b64 exec, exec, s[24:25]
	v_max_f32_e32 v1, v25, v25
	v_max_f32_e32 v24, v26, v26
	v_min_f32_e32 v26, v24, v1
.LBB4_4921:                             ;   in Loop: Header=BB4_4641 Depth=2
	v_and_b32_e32 v50, 0x7f800000, v26
	v_cmp_ne_u64_e32 vcc, s[62:63], v[50:51]
                                        ; implicit-def: $vgpr31
	s_and_saveexec_b64 s[20:21], vcc
	s_xor_b64 s[22:23], exec, s[20:21]
	s_cbranch_execz .LBB4_4935
; %bb.4922:                             ;   in Loop: Header=BB4_4641 Depth=2
	v_and_b32_e32 v50, 0x7fffffff, v26
	v_cmp_gt_u64_e32 vcc, s[72:73], v[50:51]
	v_and_b32_sdwa v1, v26, s49 dst_sel:DWORD dst_unused:UNUSED_PAD src0_sel:BYTE_3 src1_sel:DWORD
                                        ; implicit-def: $vgpr31
	s_and_saveexec_b64 s[20:21], vcc
	s_xor_b64 s[24:25], exec, s[20:21]
	s_cbranch_execz .LBB4_4932
; %bb.4923:                             ;   in Loop: Header=BB4_4641 Depth=2
	v_mov_b32_e32 v31, 0
	v_cmp_ne_u32_e32 vcc, 0, v26
	s_and_saveexec_b64 s[26:27], vcc
	s_cbranch_execz .LBB4_4931
; %bb.4924:                             ;   in Loop: Header=BB4_4641 Depth=2
	v_and_b32_e32 v24, 0x7fffff, v26
	v_bfe_u32 v26, v26, 23, 8
	v_cmp_gt_u32_e64 s[20:21], s53, v26
	v_sub_u32_e32 v25, 0x79, v26
	v_cmp_eq_u32_e32 vcc, 0, v26
	v_cndmask_b32_e64 v25, 0, v25, s[20:21]
	v_mov_b32_e32 v31, 0x78
	v_or_b32_e32 v36, 0x800000, v24
	v_cndmask_b32_e32 v31, v25, v31, vcc
	v_cndmask_b32_e32 v50, v36, v24, vcc
	v_add_u32_e32 v24, 20, v31
	v_lshlrev_b64 v[24:25], v24, -1
	v_add_u32_e32 v36, 19, v31
	v_lshlrev_b64 v[36:37], v36, 1
	v_bfi_b32 v25, v25, 0, 0
	v_bfi_b32 v24, v24, 0, v50
	v_cmp_eq_u64_e64 s[20:21], v[24:25], v[36:37]
	v_lshrrev_b64 v[24:25], v31, v[50:51]
	v_mov_b32_e32 v45, v25
	v_mov_b32_e32 v44, v24
	s_and_saveexec_b64 s[34:35], s[20:21]
; %bb.4925:                             ;   in Loop: Header=BB4_4641 Depth=2
	v_bfe_u32 v25, v24, 20, 1
	v_add_co_u32_e64 v25, s[20:21], v24, v25
	v_add_co_u32_e64 v44, s[20:21], -1, v25
; %bb.4926:                             ;   in Loop: Header=BB4_4641 Depth=2
	s_or_b64 exec, exec, s[34:35]
	v_add_u32_e32 v25, 0xffffff81, v26
	v_cndmask_b32_e32 v25, v25, v49, vcc
	v_lshrrev_b32_e32 v26, 23, v24
	v_add3_u32 v48, v31, v25, v26
	v_add_u32_e32 v31, 6, v48
	v_and_b32_e32 v25, 0xfffff, v44
	v_add_u32_e32 v50, v25, v24
	v_cmp_ne_u32_e32 vcc, 0, v31
                                        ; implicit-def: $vgpr24_vgpr25
                                        ; implicit-def: $vgpr26
	s_and_saveexec_b64 s[20:21], vcc
	s_xor_b64 s[20:21], exec, s[20:21]
; %bb.4927:                             ;   in Loop: Header=BB4_4641 Depth=2
	v_cmp_lt_u64_e32 vcc, s[74:75], v[50:51]
	v_add_u32_e32 v24, 7, v48
	v_cndmask_b32_e32 v26, v31, v24, vcc
	v_cndmask_b32_e64 v24, 0, 1, vcc
	v_lshrrev_b64 v[24:25], v24, v[50:51]
; %bb.4928:                             ;   in Loop: Header=BB4_4641 Depth=2
	s_andn2_saveexec_b64 s[20:21], s[20:21]
; %bb.4929:                             ;   in Loop: Header=BB4_4641 Depth=2
	v_mov_b32_e32 v24, v50
	v_bfe_u32 v26, v50, 23, 1
	v_mov_b32_e32 v25, v51
; %bb.4930:                             ;   in Loop: Header=BB4_4641 Depth=2
	s_or_b64 exec, exec, s[20:21]
	v_lshrrev_b64 v[24:25], 20, v[24:25]
	v_cmp_gt_i32_e32 vcc, 16, v26
	v_cndmask_b32_e32 v25, 0, v25, vcc
	v_cndmask_b32_e32 v24, 7, v24, vcc
	v_cmp_eq_u64_e64 s[20:21], 0, v[24:25]
	v_min_i32_e32 v25, 15, v26
	v_lshlrev_b32_e32 v25, 3, v25
	v_cmp_eq_u32_e32 vcc, 0, v26
	v_and_b32_e32 v25, 0xf8, v25
	v_and_or_b32 v24, v24, 7, v25
	s_and_b64 s[20:21], vcc, s[20:21]
	v_cndmask_b32_e64 v24, v24, 0, s[20:21]
	v_or_b32_e32 v31, v24, v1
.LBB4_4931:                             ;   in Loop: Header=BB4_4641 Depth=2
	s_or_b64 exec, exec, s[26:27]
                                        ; implicit-def: $vgpr1
.LBB4_4932:                             ;   in Loop: Header=BB4_4641 Depth=2
	s_andn2_saveexec_b64 s[20:21], s[24:25]
; %bb.4933:                             ;   in Loop: Header=BB4_4641 Depth=2
	v_or_b32_e32 v31, 0x7e, v1
; %bb.4934:                             ;   in Loop: Header=BB4_4641 Depth=2
	s_or_b64 exec, exec, s[20:21]
                                        ; implicit-def: $vgpr26
.LBB4_4935:                             ;   in Loop: Header=BB4_4641 Depth=2
	s_andn2_saveexec_b64 s[20:21], s[22:23]
; %bb.4936:                             ;   in Loop: Header=BB4_4641 Depth=2
	v_or_b32_sdwa v31, v26, s51 dst_sel:DWORD dst_unused:UNUSED_PAD src0_sel:BYTE_3 src1_sel:DWORD
; %bb.4937:                             ;   in Loop: Header=BB4_4641 Depth=2
	s_or_b64 exec, exec, s[20:21]
	v_cmp_gt_u64_e64 s[20:21], s[56:57], v[14:15]
	v_bfe_u32 v14, v15, 24, 3
	v_bfe_u32 v25, v15, 24, 7
	v_cmp_eq_u32_e64 s[24:25], s51, v25
	v_cmp_gt_u32_e32 vcc, 8, v25
	v_ffbh_u32_e32 v25, v14
	v_min_u32_e32 v37, 32, v25
	v_lshrrev_b32_e32 v1, 24, v15
	v_subrev_u32_e32 v25, 28, v37
	v_lshlrev_b64 v[25:26], v25, v[1:2]
	v_bfe_u32 v36, v1, 3, 4
	v_cmp_eq_u32_e64 s[22:23], s49, v1
	v_sub_u32_e32 v1, 29, v37
	v_and_b32_e32 v25, 7, v25
	v_cndmask_b32_e32 v1, v36, v1, vcc
	v_cndmask_b32_e32 v14, v14, v25, vcc
	v_lshlrev_b32_e32 v14, 20, v14
	v_and_b32_e32 v15, 0x80000000, v15
	v_lshl_add_u32 v1, v1, 23, v62
	v_cmp_lt_u64_e64 s[26:27], s[76:77], v[10:11]
	v_lshrrev_b32_e32 v24, 24, v11
	v_or3_b32 v1, v15, v1, v14
	s_mov_b64 s[34:35], -1
	s_and_b64 vcc, exec, s[30:31]
                                        ; implicit-def: $vgpr10
	s_cbranch_vccz .LBB4_4945
; %bb.4938:                             ;   in Loop: Header=BB4_4641 Depth=2
	v_mov_b32_e32 v10, 0
	s_and_saveexec_b64 s[34:35], s[26:27]
	s_cbranch_execz .LBB4_4944
; %bb.4939:                             ;   in Loop: Header=BB4_4641 Depth=2
	v_cmp_ne_u32_e32 vcc, s49, v24
	v_bfrev_b32_e32 v10, 1
	s_and_saveexec_b64 s[36:37], vcc
	s_cbranch_execz .LBB4_4943
; %bb.4940:                             ;   in Loop: Header=BB4_4641 Depth=2
	v_bfe_u32 v14, v11, 24, 7
	v_cmp_ne_u32_e32 vcc, s51, v14
	v_mov_b32_e32 v10, 0x7f800001
	s_and_saveexec_b64 s[38:39], vcc
	s_cbranch_execz .LBB4_4942
; %bb.4941:                             ;   in Loop: Header=BB4_4641 Depth=2
	v_and_b32_e32 v10, 7, v24
	v_lshrrev_b32_e32 v25, 3, v14
	v_cmp_gt_u32_e32 vcc, 8, v14
	v_ffbh_u32_e32 v14, v10
	v_min_u32_e32 v26, 32, v14
	v_subrev_u32_e32 v14, 28, v26
	v_lshlrev_b64 v[14:15], v14, v[24:25]
	v_sub_u32_e32 v15, 29, v26
	v_and_b32_e32 v14, 7, v14
	v_cndmask_b32_e32 v15, v25, v15, vcc
	v_cndmask_b32_e32 v10, v10, v14, vcc
	v_lshlrev_b32_e32 v14, 24, v24
	v_lshlrev_b32_e32 v10, 20, v10
	v_and_b32_e32 v14, 0x80000000, v14
	v_lshl_add_u32 v15, v15, 23, v62
	v_or3_b32 v10, v14, v15, v10
.LBB4_4942:                             ;   in Loop: Header=BB4_4641 Depth=2
	s_or_b64 exec, exec, s[38:39]
.LBB4_4943:                             ;   in Loop: Header=BB4_4641 Depth=2
	s_or_b64 exec, exec, s[36:37]
.LBB4_4944:                             ;   in Loop: Header=BB4_4641 Depth=2
	s_or_b64 exec, exec, s[34:35]
	v_mov_b32_e32 v14, 0x7f800001
	v_cndmask_b32_e64 v14, v1, v14, s[24:25]
	v_bfrev_b32_e32 v15, 1
	v_cndmask_b32_e64 v14, v14, v15, s[22:23]
	v_cndmask_b32_e64 v14, v14, 0, s[20:21]
	v_max_f32_e32 v14, v14, v14
	v_max_f32_e32 v10, v10, v10
	v_max_f32_e32 v10, v10, v14
	s_mov_b64 s[34:35], 0
.LBB4_4945:                             ;   in Loop: Header=BB4_4641 Depth=2
	s_and_b64 vcc, exec, s[34:35]
	s_cbranch_vccz .LBB4_4953
; %bb.4946:                             ;   in Loop: Header=BB4_4641 Depth=2
	v_mov_b32_e32 v10, 0
	s_and_saveexec_b64 s[34:35], s[26:27]
	s_cbranch_execz .LBB4_4952
; %bb.4947:                             ;   in Loop: Header=BB4_4641 Depth=2
	v_cmp_ne_u32_e32 vcc, s49, v24
	v_bfrev_b32_e32 v10, 1
	s_and_saveexec_b64 s[26:27], vcc
	s_cbranch_execz .LBB4_4951
; %bb.4948:                             ;   in Loop: Header=BB4_4641 Depth=2
	v_bfe_u32 v11, v11, 24, 7
	v_cmp_ne_u32_e32 vcc, s51, v11
	v_mov_b32_e32 v10, 0x7f800001
	s_and_saveexec_b64 s[36:37], vcc
	s_cbranch_execz .LBB4_4950
; %bb.4949:                             ;   in Loop: Header=BB4_4641 Depth=2
	v_and_b32_e32 v14, 7, v24
	v_ffbh_u32_e32 v10, v14
	v_min_u32_e32 v25, 32, v10
	v_subrev_u32_e32 v10, 28, v25
	v_lshrrev_b32_e32 v15, 3, v11
	v_cmp_gt_u32_e32 vcc, 8, v11
	v_lshlrev_b64 v[10:11], v10, v[24:25]
	v_sub_u32_e32 v11, 29, v25
	v_and_b32_e32 v10, 7, v10
	v_cndmask_b32_e32 v11, v15, v11, vcc
	v_cndmask_b32_e32 v10, v14, v10, vcc
	v_lshlrev_b32_e32 v14, 24, v24
	v_lshlrev_b32_e32 v10, 20, v10
	v_and_b32_e32 v14, 0x80000000, v14
	v_lshl_add_u32 v11, v11, 23, v62
	v_or3_b32 v10, v14, v11, v10
.LBB4_4950:                             ;   in Loop: Header=BB4_4641 Depth=2
	s_or_b64 exec, exec, s[36:37]
.LBB4_4951:                             ;   in Loop: Header=BB4_4641 Depth=2
	s_or_b64 exec, exec, s[26:27]
.LBB4_4952:                             ;   in Loop: Header=BB4_4641 Depth=2
	s_or_b64 exec, exec, s[34:35]
	v_mov_b32_e32 v11, 0x7f800001
	v_cndmask_b32_e64 v1, v1, v11, s[24:25]
	v_bfrev_b32_e32 v11, 1
	v_cndmask_b32_e64 v1, v1, v11, s[22:23]
	v_cndmask_b32_e64 v1, v1, 0, s[20:21]
	v_max_f32_e32 v1, v1, v1
	v_max_f32_e32 v10, v10, v10
	v_min_f32_e32 v10, v10, v1
.LBB4_4953:                             ;   in Loop: Header=BB4_4641 Depth=2
	v_and_b32_e32 v50, 0x7f800000, v10
	v_cmp_ne_u64_e32 vcc, s[62:63], v[50:51]
                                        ; implicit-def: $vgpr41
	s_and_saveexec_b64 s[20:21], vcc
	s_xor_b64 s[22:23], exec, s[20:21]
	s_cbranch_execz .LBB4_4967
; %bb.4954:                             ;   in Loop: Header=BB4_4641 Depth=2
	v_and_b32_e32 v50, 0x7fffffff, v10
	v_cmp_gt_u64_e32 vcc, s[72:73], v[50:51]
	v_and_b32_sdwa v1, v10, s49 dst_sel:DWORD dst_unused:UNUSED_PAD src0_sel:BYTE_3 src1_sel:DWORD
                                        ; implicit-def: $vgpr41
	s_and_saveexec_b64 s[20:21], vcc
	s_xor_b64 s[24:25], exec, s[20:21]
	s_cbranch_execz .LBB4_4964
; %bb.4955:                             ;   in Loop: Header=BB4_4641 Depth=2
	v_mov_b32_e32 v41, 0
	v_cmp_ne_u32_e32 vcc, 0, v10
	s_and_saveexec_b64 s[26:27], vcc
	s_cbranch_execz .LBB4_4963
; %bb.4956:                             ;   in Loop: Header=BB4_4641 Depth=2
	v_bfe_u32 v24, v10, 23, 8
	v_and_b32_e32 v11, 0x7fffff, v10
	v_cmp_gt_u32_e64 s[20:21], s53, v24
	v_sub_u32_e32 v10, 0x79, v24
	v_cmp_eq_u32_e32 vcc, 0, v24
	v_cndmask_b32_e64 v10, 0, v10, s[20:21]
	v_mov_b32_e32 v15, 0x78
	v_cndmask_b32_e32 v25, v10, v15, vcc
	v_or_b32_e32 v14, 0x800000, v11
	v_add_u32_e32 v10, 20, v25
	v_cndmask_b32_e32 v50, v14, v11, vcc
	v_lshlrev_b64 v[10:11], v10, -1
	v_add_u32_e32 v14, 19, v25
	v_lshlrev_b64 v[14:15], v14, 1
	v_bfi_b32 v11, v11, 0, 0
	v_bfi_b32 v10, v10, 0, v50
	v_cmp_eq_u64_e64 s[20:21], v[10:11], v[14:15]
	v_lshrrev_b64 v[10:11], v25, v[50:51]
	v_mov_b32_e32 v15, v11
	v_mov_b32_e32 v14, v10
	s_and_saveexec_b64 s[34:35], s[20:21]
; %bb.4957:                             ;   in Loop: Header=BB4_4641 Depth=2
	v_bfe_u32 v11, v10, 20, 1
	v_add_co_u32_e64 v11, s[20:21], v10, v11
	v_add_co_u32_e64 v14, s[20:21], -1, v11
; %bb.4958:                             ;   in Loop: Header=BB4_4641 Depth=2
	s_or_b64 exec, exec, s[34:35]
	v_add_u32_e32 v11, 0xffffff81, v24
	v_cndmask_b32_e32 v11, v11, v49, vcc
	v_lshrrev_b32_e32 v15, 23, v10
	v_add3_u32 v24, v25, v11, v15
	v_add_u32_e32 v15, 6, v24
	v_and_b32_e32 v11, 0xfffff, v14
	v_add_u32_e32 v50, v11, v10
	v_cmp_ne_u32_e32 vcc, 0, v15
                                        ; implicit-def: $vgpr10_vgpr11
                                        ; implicit-def: $vgpr14
	s_and_saveexec_b64 s[20:21], vcc
	s_xor_b64 s[20:21], exec, s[20:21]
; %bb.4959:                             ;   in Loop: Header=BB4_4641 Depth=2
	v_cmp_lt_u64_e32 vcc, s[74:75], v[50:51]
	v_add_u32_e32 v10, 7, v24
	v_cndmask_b32_e32 v14, v15, v10, vcc
	v_cndmask_b32_e64 v10, 0, 1, vcc
	v_lshrrev_b64 v[10:11], v10, v[50:51]
; %bb.4960:                             ;   in Loop: Header=BB4_4641 Depth=2
	s_andn2_saveexec_b64 s[20:21], s[20:21]
; %bb.4961:                             ;   in Loop: Header=BB4_4641 Depth=2
	v_mov_b32_e32 v10, v50
	v_bfe_u32 v14, v50, 23, 1
	v_mov_b32_e32 v11, v51
; %bb.4962:                             ;   in Loop: Header=BB4_4641 Depth=2
	s_or_b64 exec, exec, s[20:21]
	v_lshrrev_b64 v[10:11], 20, v[10:11]
	v_cmp_gt_i32_e32 vcc, 16, v14
	v_cndmask_b32_e32 v11, 0, v11, vcc
	v_cndmask_b32_e32 v10, 7, v10, vcc
	v_cmp_eq_u64_e64 s[20:21], 0, v[10:11]
	v_min_i32_e32 v11, 15, v14
	v_lshlrev_b32_e32 v11, 3, v11
	v_cmp_eq_u32_e32 vcc, 0, v14
	v_and_b32_e32 v11, 0xf8, v11
	v_and_or_b32 v10, v10, 7, v11
	s_and_b64 s[20:21], vcc, s[20:21]
	v_cndmask_b32_e64 v10, v10, 0, s[20:21]
	v_or_b32_e32 v41, v10, v1
.LBB4_4963:                             ;   in Loop: Header=BB4_4641 Depth=2
	s_or_b64 exec, exec, s[26:27]
                                        ; implicit-def: $vgpr1
.LBB4_4964:                             ;   in Loop: Header=BB4_4641 Depth=2
	s_andn2_saveexec_b64 s[20:21], s[24:25]
; %bb.4965:                             ;   in Loop: Header=BB4_4641 Depth=2
	v_or_b32_e32 v41, 0x7e, v1
; %bb.4966:                             ;   in Loop: Header=BB4_4641 Depth=2
	s_or_b64 exec, exec, s[20:21]
                                        ; implicit-def: $vgpr10
.LBB4_4967:                             ;   in Loop: Header=BB4_4641 Depth=2
	s_andn2_saveexec_b64 s[20:21], s[22:23]
; %bb.4968:                             ;   in Loop: Header=BB4_4641 Depth=2
	v_or_b32_sdwa v41, v10, s51 dst_sel:DWORD dst_unused:UNUSED_PAD src0_sel:BYTE_3 src1_sel:DWORD
; %bb.4969:                             ;   in Loop: Header=BB4_4641 Depth=2
	s_or_b64 exec, exec, s[20:21]
	v_and_b32_e32 v1, 7, v16
	v_ffbh_u32_e32 v1, v1
	v_and_b32_e32 v10, 0x7f, v16
	v_min_u32_e32 v1, 32, v1
	v_cmp_eq_u32_e64 s[20:21], s51, v10
	v_cmp_gt_u32_e32 vcc, 8, v10
	v_subrev_u32_e32 v10, 28, v1
	v_bfe_u32 v11, v16, 3, 4
	v_sub_u32_e32 v1, 29, v1
	v_cndmask_b32_e32 v10, 0, v10, vcc
	v_cndmask_b32_e32 v1, v11, v1, vcc
	v_lshlrev_b64 v[10:11], v10, v[16:17]
	v_lshlrev_b32_e32 v11, 24, v16
	v_lshlrev_b32_e32 v10, 20, v10
	v_and_b32_e32 v10, 0x700000, v10
	v_and_b32_e32 v11, 0x80000000, v11
	v_lshl_add_u32 v1, v1, 23, v62
	v_or3_b32 v1, v11, v1, v10
	v_cmp_ne_u16_sdwa s[22:23], v12, v51 src0_sel:BYTE_0 src1_sel:DWORD
	s_mov_b64 s[24:25], -1
	s_and_b64 vcc, exec, s[30:31]
                                        ; implicit-def: $vgpr10
	s_cbranch_vccz .LBB4_4983
; %bb.4970:                             ;   in Loop: Header=BB4_4641 Depth=2
	v_mov_b32_e32 v10, 0
	s_and_saveexec_b64 s[24:25], s[22:23]
	s_cbranch_execz .LBB4_4976
; %bb.4971:                             ;   in Loop: Header=BB4_4641 Depth=2
	v_cmp_ne_u16_sdwa vcc, v12, s49 src0_sel:BYTE_0 src1_sel:DWORD
	v_bfrev_b32_e32 v10, 1
	s_and_saveexec_b64 s[26:27], vcc
	s_cbranch_execz .LBB4_4975
; %bb.4972:                             ;   in Loop: Header=BB4_4641 Depth=2
	v_and_b32_e32 v11, 0x7f, v12
	v_cmp_ne_u32_e32 vcc, s51, v11
	v_mov_b32_e32 v10, 0x7f800001
	s_and_saveexec_b64 s[34:35], vcc
	s_cbranch_execz .LBB4_4974
; %bb.4973:                             ;   in Loop: Header=BB4_4641 Depth=2
	v_and_b32_e32 v10, 7, v12
	v_ffbh_u32_e32 v10, v10
	v_min_u32_e32 v10, 32, v10
	v_lshrrev_b32_e32 v14, 3, v11
	v_cmp_gt_u32_e32 vcc, 8, v11
	v_subrev_u32_e32 v11, 28, v10
	v_sub_u32_e32 v10, 29, v10
	v_cndmask_b32_e32 v14, v14, v10, vcc
	v_cndmask_b32_e32 v10, 0, v11, vcc
	v_lshlrev_b64 v[10:11], v10, v[12:13]
	v_lshlrev_b32_e32 v11, 24, v12
	v_lshlrev_b32_e32 v10, 20, v10
	v_and_b32_e32 v10, 0x700000, v10
	v_and_b32_e32 v11, 0x80000000, v11
	v_lshl_add_u32 v14, v14, 23, v62
	v_or3_b32 v10, v11, v14, v10
.LBB4_4974:                             ;   in Loop: Header=BB4_4641 Depth=2
	s_or_b64 exec, exec, s[34:35]
.LBB4_4975:                             ;   in Loop: Header=BB4_4641 Depth=2
	s_or_b64 exec, exec, s[26:27]
.LBB4_4976:                             ;   in Loop: Header=BB4_4641 Depth=2
	s_or_b64 exec, exec, s[24:25]
	v_cmp_gt_i16_sdwa s[26:27], v16, s51 src0_sel:BYTE_0 src1_sel:DWORD
	s_mov_b64 s[24:25], 0
	s_and_saveexec_b64 vcc, s[26:27]
	s_xor_b64 s[26:27], exec, vcc
	s_cbranch_execz .LBB4_5321
; %bb.4977:                             ;   in Loop: Header=BB4_4641 Depth=2
	v_cmp_eq_u16_sdwa s[34:35], v16, s49 src0_sel:BYTE_0 src1_sel:DWORD
	s_mov_b64 s[24:25], -1
	s_and_saveexec_b64 vcc, s[34:35]
; %bb.4978:                             ;   in Loop: Header=BB4_4641 Depth=2
	s_xor_b64 s[24:25], exec, -1
; %bb.4979:                             ;   in Loop: Header=BB4_4641 Depth=2
	s_or_b64 exec, exec, vcc
	s_and_b64 s[24:25], s[24:25], exec
	s_or_saveexec_b64 s[26:27], s[26:27]
	v_bfrev_b32_e32 v11, 1
	s_xor_b64 exec, exec, s[26:27]
	s_cbranch_execnz .LBB4_5322
.LBB4_4980:                             ;   in Loop: Header=BB4_4641 Depth=2
	s_or_b64 exec, exec, s[26:27]
	s_and_saveexec_b64 s[26:27], s[24:25]
.LBB4_4981:                             ;   in Loop: Header=BB4_4641 Depth=2
	v_mov_b32_e32 v11, 0x7f800001
	v_cndmask_b32_e64 v11, v1, v11, s[20:21]
.LBB4_4982:                             ;   in Loop: Header=BB4_4641 Depth=2
	s_or_b64 exec, exec, s[26:27]
	v_max_f32_e32 v11, v11, v11
	v_max_f32_e32 v10, v10, v10
	;; [unrolled: 1-line block ×3, first 2 shown]
	s_mov_b64 s[24:25], 0
.LBB4_4983:                             ;   in Loop: Header=BB4_4641 Depth=2
	s_and_b64 vcc, exec, s[24:25]
	s_cbranch_vccz .LBB4_4997
; %bb.4984:                             ;   in Loop: Header=BB4_4641 Depth=2
	v_mov_b32_e32 v10, 0
	s_and_saveexec_b64 s[24:25], s[22:23]
	s_cbranch_execz .LBB4_4990
; %bb.4985:                             ;   in Loop: Header=BB4_4641 Depth=2
	v_cmp_ne_u16_sdwa s[26:27], v12, s49 src0_sel:BYTE_0 src1_sel:DWORD
	v_bfrev_b32_e32 v10, 1
	s_and_saveexec_b64 s[22:23], s[26:27]
	s_cbranch_execz .LBB4_4989
; %bb.4986:                             ;   in Loop: Header=BB4_4641 Depth=2
	v_and_b32_e32 v11, 0x7f, v12
	v_cmp_ne_u32_e32 vcc, s51, v11
	v_mov_b32_e32 v10, 0x7f800001
	s_and_saveexec_b64 s[26:27], vcc
	s_cbranch_execz .LBB4_4988
; %bb.4987:                             ;   in Loop: Header=BB4_4641 Depth=2
	v_and_b32_e32 v10, 7, v12
	v_ffbh_u32_e32 v10, v10
	v_min_u32_e32 v10, 32, v10
	v_lshrrev_b32_e32 v14, 3, v11
	v_cmp_gt_u32_e32 vcc, 8, v11
	v_subrev_u32_e32 v11, 28, v10
	v_sub_u32_e32 v10, 29, v10
	v_cndmask_b32_e32 v14, v14, v10, vcc
	v_cndmask_b32_e32 v10, 0, v11, vcc
	v_lshlrev_b64 v[10:11], v10, v[12:13]
	v_lshlrev_b32_e32 v11, 24, v12
	v_lshlrev_b32_e32 v10, 20, v10
	v_and_b32_e32 v10, 0x700000, v10
	v_and_b32_e32 v11, 0x80000000, v11
	v_lshl_add_u32 v14, v14, 23, v62
	v_or3_b32 v10, v11, v14, v10
.LBB4_4988:                             ;   in Loop: Header=BB4_4641 Depth=2
	s_or_b64 exec, exec, s[26:27]
.LBB4_4989:                             ;   in Loop: Header=BB4_4641 Depth=2
	s_or_b64 exec, exec, s[22:23]
.LBB4_4990:                             ;   in Loop: Header=BB4_4641 Depth=2
	s_or_b64 exec, exec, s[24:25]
	v_cmp_gt_i16_sdwa s[24:25], v16, s51 src0_sel:BYTE_0 src1_sel:DWORD
	s_mov_b64 s[22:23], 0
	s_and_saveexec_b64 s[26:27], s[24:25]
	s_xor_b64 s[24:25], exec, s[26:27]
	s_cbranch_execz .LBB4_5323
; %bb.4991:                             ;   in Loop: Header=BB4_4641 Depth=2
	v_cmp_eq_u16_sdwa vcc, v16, s49 src0_sel:BYTE_0 src1_sel:DWORD
	s_mov_b64 s[22:23], -1
	s_and_saveexec_b64 s[26:27], vcc
; %bb.4992:                             ;   in Loop: Header=BB4_4641 Depth=2
	s_xor_b64 s[22:23], exec, -1
; %bb.4993:                             ;   in Loop: Header=BB4_4641 Depth=2
	s_or_b64 exec, exec, s[26:27]
	s_and_b64 s[22:23], s[22:23], exec
	s_or_saveexec_b64 s[24:25], s[24:25]
	v_bfrev_b32_e32 v11, 1
	s_xor_b64 exec, exec, s[24:25]
	s_cbranch_execnz .LBB4_5324
.LBB4_4994:                             ;   in Loop: Header=BB4_4641 Depth=2
	s_or_b64 exec, exec, s[24:25]
	s_and_saveexec_b64 s[24:25], s[22:23]
.LBB4_4995:                             ;   in Loop: Header=BB4_4641 Depth=2
	v_mov_b32_e32 v11, 0x7f800001
	v_cndmask_b32_e64 v11, v1, v11, s[20:21]
.LBB4_4996:                             ;   in Loop: Header=BB4_4641 Depth=2
	s_or_b64 exec, exec, s[24:25]
	v_max_f32_e32 v1, v11, v11
	v_max_f32_e32 v10, v10, v10
	v_min_f32_e32 v10, v10, v1
.LBB4_4997:                             ;   in Loop: Header=BB4_4641 Depth=2
	v_and_b32_e32 v50, 0x7f800000, v10
	v_cmp_ne_u64_e32 vcc, s[62:63], v[50:51]
                                        ; implicit-def: $vgpr26
	s_and_saveexec_b64 s[20:21], vcc
	s_xor_b64 s[22:23], exec, s[20:21]
	s_cbranch_execz .LBB4_5011
; %bb.4998:                             ;   in Loop: Header=BB4_4641 Depth=2
	v_and_b32_e32 v50, 0x7fffffff, v10
	v_cmp_gt_u64_e32 vcc, s[72:73], v[50:51]
	v_and_b32_sdwa v1, v10, s49 dst_sel:DWORD dst_unused:UNUSED_PAD src0_sel:BYTE_3 src1_sel:DWORD
                                        ; implicit-def: $vgpr26
	s_and_saveexec_b64 s[20:21], vcc
	s_xor_b64 s[24:25], exec, s[20:21]
	s_cbranch_execz .LBB4_5008
; %bb.4999:                             ;   in Loop: Header=BB4_4641 Depth=2
	v_mov_b32_e32 v26, 0
	v_cmp_ne_u32_e32 vcc, 0, v10
	s_and_saveexec_b64 s[26:27], vcc
	s_cbranch_execz .LBB4_5007
; %bb.5000:                             ;   in Loop: Header=BB4_4641 Depth=2
	v_bfe_u32 v24, v10, 23, 8
	v_and_b32_e32 v11, 0x7fffff, v10
	v_cmp_gt_u32_e64 s[20:21], s53, v24
	v_sub_u32_e32 v10, 0x79, v24
	v_cmp_eq_u32_e32 vcc, 0, v24
	v_cndmask_b32_e64 v10, 0, v10, s[20:21]
	v_mov_b32_e32 v15, 0x78
	v_cndmask_b32_e32 v25, v10, v15, vcc
	v_or_b32_e32 v14, 0x800000, v11
	v_add_u32_e32 v10, 20, v25
	v_cndmask_b32_e32 v50, v14, v11, vcc
	v_lshlrev_b64 v[10:11], v10, -1
	v_add_u32_e32 v14, 19, v25
	v_lshlrev_b64 v[14:15], v14, 1
	v_bfi_b32 v11, v11, 0, 0
	v_bfi_b32 v10, v10, 0, v50
	v_cmp_eq_u64_e64 s[20:21], v[10:11], v[14:15]
	v_lshrrev_b64 v[10:11], v25, v[50:51]
	v_mov_b32_e32 v15, v11
	v_mov_b32_e32 v14, v10
	s_and_saveexec_b64 s[34:35], s[20:21]
; %bb.5001:                             ;   in Loop: Header=BB4_4641 Depth=2
	v_bfe_u32 v11, v10, 20, 1
	v_add_co_u32_e64 v11, s[20:21], v10, v11
	v_add_co_u32_e64 v14, s[20:21], -1, v11
; %bb.5002:                             ;   in Loop: Header=BB4_4641 Depth=2
	s_or_b64 exec, exec, s[34:35]
	v_add_u32_e32 v11, 0xffffff81, v24
	v_cndmask_b32_e32 v11, v11, v49, vcc
	v_lshrrev_b32_e32 v15, 23, v10
	v_add3_u32 v24, v25, v11, v15
	v_add_u32_e32 v15, 6, v24
	v_and_b32_e32 v11, 0xfffff, v14
	v_add_u32_e32 v50, v11, v10
	v_cmp_ne_u32_e32 vcc, 0, v15
                                        ; implicit-def: $vgpr10_vgpr11
                                        ; implicit-def: $vgpr14
	s_and_saveexec_b64 s[20:21], vcc
	s_xor_b64 s[20:21], exec, s[20:21]
; %bb.5003:                             ;   in Loop: Header=BB4_4641 Depth=2
	v_cmp_lt_u64_e32 vcc, s[74:75], v[50:51]
	v_add_u32_e32 v10, 7, v24
	v_cndmask_b32_e32 v14, v15, v10, vcc
	v_cndmask_b32_e64 v10, 0, 1, vcc
	v_lshrrev_b64 v[10:11], v10, v[50:51]
; %bb.5004:                             ;   in Loop: Header=BB4_4641 Depth=2
	s_andn2_saveexec_b64 s[20:21], s[20:21]
; %bb.5005:                             ;   in Loop: Header=BB4_4641 Depth=2
	v_mov_b32_e32 v10, v50
	v_bfe_u32 v14, v50, 23, 1
	v_mov_b32_e32 v11, v51
; %bb.5006:                             ;   in Loop: Header=BB4_4641 Depth=2
	s_or_b64 exec, exec, s[20:21]
	v_lshrrev_b64 v[10:11], 20, v[10:11]
	v_cmp_gt_i32_e32 vcc, 16, v14
	v_cndmask_b32_e32 v11, 0, v11, vcc
	v_cndmask_b32_e32 v10, 7, v10, vcc
	v_cmp_eq_u64_e64 s[20:21], 0, v[10:11]
	v_min_i32_e32 v11, 15, v14
	v_lshlrev_b32_e32 v11, 3, v11
	v_cmp_eq_u32_e32 vcc, 0, v14
	v_and_b32_e32 v11, 0xf8, v11
	v_and_or_b32 v10, v10, 7, v11
	s_and_b64 s[20:21], vcc, s[20:21]
	v_cndmask_b32_e64 v10, v10, 0, s[20:21]
	v_or_b32_e32 v26, v10, v1
.LBB4_5007:                             ;   in Loop: Header=BB4_4641 Depth=2
	s_or_b64 exec, exec, s[26:27]
                                        ; implicit-def: $vgpr1
.LBB4_5008:                             ;   in Loop: Header=BB4_4641 Depth=2
	s_andn2_saveexec_b64 s[20:21], s[24:25]
; %bb.5009:                             ;   in Loop: Header=BB4_4641 Depth=2
	v_or_b32_e32 v26, 0x7e, v1
; %bb.5010:                             ;   in Loop: Header=BB4_4641 Depth=2
	s_or_b64 exec, exec, s[20:21]
                                        ; implicit-def: $vgpr10
.LBB4_5011:                             ;   in Loop: Header=BB4_4641 Depth=2
	s_andn2_saveexec_b64 s[20:21], s[22:23]
; %bb.5012:                             ;   in Loop: Header=BB4_4641 Depth=2
	v_or_b32_sdwa v26, v10, s51 dst_sel:DWORD dst_unused:UNUSED_PAD src0_sel:BYTE_3 src1_sel:DWORD
; %bb.5013:                             ;   in Loop: Header=BB4_4641 Depth=2
	s_or_b64 exec, exec, s[20:21]
	v_lshrrev_b16_e32 v50, 8, v16
	v_and_b32_e32 v1, 7, v50
	v_and_b32_e32 v11, 0x7f, v50
	v_cmp_eq_u32_e64 s[20:21], s51, v11
	v_cmp_gt_u32_e32 vcc, 8, v11
	v_ffbh_u32_e32 v11, v1
	v_min_u32_e32 v11, 32, v11
	v_subrev_u32_e32 v14, 28, v11
	v_lshlrev_b64 v[14:15], v14, v[50:51]
	v_bfe_u32 v24, v50, 3, 4
	v_sub_u32_e32 v11, 29, v11
	v_and_b32_e32 v14, 7, v14
	v_cndmask_b32_e32 v11, v24, v11, vcc
	v_cndmask_b32_e32 v1, v1, v14, vcc
	v_lshlrev_b32_e32 v14, 24, v50
	v_lshrrev_b16_e32 v10, 8, v12
	v_lshlrev_b32_e32 v1, 20, v1
	v_and_b32_e32 v14, 0x80000000, v14
	v_lshl_add_u32 v11, v11, 23, v62
	v_or3_b32 v1, v14, v11, v1
	v_cmp_ne_u16_e64 s[22:23], 0, v10
	s_mov_b64 s[24:25], -1
	s_and_b64 vcc, exec, s[30:31]
                                        ; implicit-def: $vgpr11
	s_cbranch_vccz .LBB4_5027
; %bb.5014:                             ;   in Loop: Header=BB4_4641 Depth=2
	v_mov_b32_e32 v11, 0
	s_and_saveexec_b64 s[24:25], s[22:23]
	s_cbranch_execz .LBB4_5020
; %bb.5015:                             ;   in Loop: Header=BB4_4641 Depth=2
	v_cmp_ne_u16_e32 vcc, s49, v10
	v_bfrev_b32_e32 v11, 1
	s_and_saveexec_b64 s[26:27], vcc
	s_cbranch_execz .LBB4_5019
; %bb.5016:                             ;   in Loop: Header=BB4_4641 Depth=2
	v_and_b32_e32 v14, 0x7f, v10
	v_cmp_ne_u32_e32 vcc, s51, v14
	v_mov_b32_e32 v11, 0x7f800001
	s_and_saveexec_b64 s[34:35], vcc
	s_cbranch_execz .LBB4_5018
; %bb.5017:                             ;   in Loop: Header=BB4_4641 Depth=2
	v_and_b32_e32 v11, 7, v10
	v_lshrrev_b32_e32 v24, 3, v14
	v_cmp_gt_u32_e32 vcc, 8, v14
	v_ffbh_u32_e32 v14, v11
	v_min_u32_e32 v25, 32, v14
	v_subrev_u32_e32 v14, 28, v25
	v_lshlrev_b64 v[14:15], v14, v[10:11]
	v_sub_u32_e32 v15, 29, v25
	v_and_b32_e32 v14, 7, v14
	v_cndmask_b32_e32 v15, v24, v15, vcc
	v_cndmask_b32_e32 v11, v11, v14, vcc
	v_lshlrev_b32_e32 v14, 16, v12
	v_lshlrev_b32_e32 v11, 20, v11
	v_and_b32_e32 v14, 0x80000000, v14
	v_lshl_add_u32 v15, v15, 23, v62
	v_or3_b32 v11, v14, v15, v11
.LBB4_5018:                             ;   in Loop: Header=BB4_4641 Depth=2
	s_or_b64 exec, exec, s[34:35]
.LBB4_5019:                             ;   in Loop: Header=BB4_4641 Depth=2
	s_or_b64 exec, exec, s[26:27]
.LBB4_5020:                             ;   in Loop: Header=BB4_4641 Depth=2
	s_or_b64 exec, exec, s[24:25]
	v_cmp_lt_i16_e32 vcc, s51, v50
	s_mov_b64 s[24:25], 0
	s_and_saveexec_b64 s[26:27], vcc
	s_xor_b64 s[26:27], exec, s[26:27]
	s_cbranch_execz .LBB4_5325
; %bb.5021:                             ;   in Loop: Header=BB4_4641 Depth=2
	v_cmp_eq_u16_e32 vcc, s49, v50
	s_mov_b64 s[24:25], -1
	s_and_saveexec_b64 s[34:35], vcc
; %bb.5022:                             ;   in Loop: Header=BB4_4641 Depth=2
	s_xor_b64 s[24:25], exec, -1
; %bb.5023:                             ;   in Loop: Header=BB4_4641 Depth=2
	s_or_b64 exec, exec, s[34:35]
	s_and_b64 s[24:25], s[24:25], exec
	s_or_saveexec_b64 s[26:27], s[26:27]
	v_bfrev_b32_e32 v14, 1
	s_xor_b64 exec, exec, s[26:27]
	s_cbranch_execnz .LBB4_5326
.LBB4_5024:                             ;   in Loop: Header=BB4_4641 Depth=2
	s_or_b64 exec, exec, s[26:27]
	s_and_saveexec_b64 s[26:27], s[24:25]
.LBB4_5025:                             ;   in Loop: Header=BB4_4641 Depth=2
	v_mov_b32_e32 v14, 0x7f800001
	v_cndmask_b32_e64 v14, v1, v14, s[20:21]
.LBB4_5026:                             ;   in Loop: Header=BB4_4641 Depth=2
	s_or_b64 exec, exec, s[26:27]
	v_max_f32_e32 v14, v14, v14
	v_max_f32_e32 v11, v11, v11
	;; [unrolled: 1-line block ×3, first 2 shown]
	s_mov_b64 s[24:25], 0
.LBB4_5027:                             ;   in Loop: Header=BB4_4641 Depth=2
	s_and_b64 vcc, exec, s[24:25]
	s_cbranch_vccz .LBB4_5041
; %bb.5028:                             ;   in Loop: Header=BB4_4641 Depth=2
	v_mov_b32_e32 v11, 0
	s_and_saveexec_b64 s[24:25], s[22:23]
	s_cbranch_execz .LBB4_5034
; %bb.5029:                             ;   in Loop: Header=BB4_4641 Depth=2
	v_cmp_ne_u16_e32 vcc, s49, v10
	v_bfrev_b32_e32 v11, 1
	s_and_saveexec_b64 s[22:23], vcc
	s_cbranch_execz .LBB4_5033
; %bb.5030:                             ;   in Loop: Header=BB4_4641 Depth=2
	v_and_b32_e32 v14, 0x7f, v10
	v_cmp_ne_u32_e32 vcc, s51, v14
	v_mov_b32_e32 v11, 0x7f800001
	s_and_saveexec_b64 s[26:27], vcc
	s_cbranch_execz .LBB4_5032
; %bb.5031:                             ;   in Loop: Header=BB4_4641 Depth=2
	v_and_b32_e32 v15, 7, v10
	v_ffbh_u32_e32 v11, v15
	v_lshrrev_b32_e32 v24, 3, v14
	v_cmp_gt_u32_e32 vcc, 8, v14
	v_min_u32_e32 v14, 32, v11
	v_subrev_u32_e32 v11, 28, v14
	v_lshlrev_b64 v[10:11], v11, v[10:11]
	v_sub_u32_e32 v11, 29, v14
	v_and_b32_e32 v10, 7, v10
	v_cndmask_b32_e32 v11, v24, v11, vcc
	v_cndmask_b32_e32 v10, v15, v10, vcc
	v_lshlrev_b32_e32 v14, 16, v12
	v_lshlrev_b32_e32 v10, 20, v10
	v_and_b32_e32 v14, 0x80000000, v14
	v_lshl_add_u32 v11, v11, 23, v62
	v_or3_b32 v11, v14, v11, v10
.LBB4_5032:                             ;   in Loop: Header=BB4_4641 Depth=2
	s_or_b64 exec, exec, s[26:27]
.LBB4_5033:                             ;   in Loop: Header=BB4_4641 Depth=2
	s_or_b64 exec, exec, s[22:23]
.LBB4_5034:                             ;   in Loop: Header=BB4_4641 Depth=2
	s_or_b64 exec, exec, s[24:25]
	v_cmp_lt_i16_e32 vcc, s51, v50
	s_mov_b64 s[22:23], 0
	s_and_saveexec_b64 s[24:25], vcc
	s_xor_b64 s[24:25], exec, s[24:25]
	s_cbranch_execz .LBB4_5327
; %bb.5035:                             ;   in Loop: Header=BB4_4641 Depth=2
	v_cmp_eq_u16_e32 vcc, s49, v50
	s_mov_b64 s[22:23], -1
	s_and_saveexec_b64 s[26:27], vcc
; %bb.5036:                             ;   in Loop: Header=BB4_4641 Depth=2
	s_xor_b64 s[22:23], exec, -1
; %bb.5037:                             ;   in Loop: Header=BB4_4641 Depth=2
	s_or_b64 exec, exec, s[26:27]
	s_and_b64 s[22:23], s[22:23], exec
	s_or_saveexec_b64 s[24:25], s[24:25]
	v_bfrev_b32_e32 v10, 1
	s_xor_b64 exec, exec, s[24:25]
	s_cbranch_execnz .LBB4_5328
.LBB4_5038:                             ;   in Loop: Header=BB4_4641 Depth=2
	s_or_b64 exec, exec, s[24:25]
	s_and_saveexec_b64 s[24:25], s[22:23]
.LBB4_5039:                             ;   in Loop: Header=BB4_4641 Depth=2
	v_mov_b32_e32 v10, 0x7f800001
	v_cndmask_b32_e64 v10, v1, v10, s[20:21]
.LBB4_5040:                             ;   in Loop: Header=BB4_4641 Depth=2
	s_or_b64 exec, exec, s[24:25]
	v_max_f32_e32 v1, v10, v10
	v_max_f32_e32 v10, v11, v11
	v_min_f32_e32 v11, v10, v1
.LBB4_5041:                             ;   in Loop: Header=BB4_4641 Depth=2
	v_and_b32_e32 v50, 0x7f800000, v11
	v_cmp_ne_u64_e32 vcc, s[62:63], v[50:51]
                                        ; implicit-def: $vgpr1
	s_and_saveexec_b64 s[20:21], vcc
	s_xor_b64 s[22:23], exec, s[20:21]
	s_cbranch_execz .LBB4_5055
; %bb.5042:                             ;   in Loop: Header=BB4_4641 Depth=2
	v_and_b32_e32 v50, 0x7fffffff, v11
	v_cmp_gt_u64_e32 vcc, s[72:73], v[50:51]
	v_and_b32_sdwa v24, v11, s49 dst_sel:DWORD dst_unused:UNUSED_PAD src0_sel:BYTE_3 src1_sel:DWORD
                                        ; implicit-def: $vgpr1
	s_and_saveexec_b64 s[20:21], vcc
	s_xor_b64 s[24:25], exec, s[20:21]
	s_cbranch_execz .LBB4_5052
; %bb.5043:                             ;   in Loop: Header=BB4_4641 Depth=2
	v_mov_b32_e32 v1, 0
	v_cmp_ne_u32_e32 vcc, 0, v11
	s_and_saveexec_b64 s[26:27], vcc
	s_cbranch_execz .LBB4_5051
; %bb.5044:                             ;   in Loop: Header=BB4_4641 Depth=2
	v_bfe_u32 v1, v11, 23, 8
	v_and_b32_e32 v10, 0x7fffff, v11
	v_cmp_gt_u32_e64 s[20:21], s53, v1
	v_sub_u32_e32 v11, 0x79, v1
	v_cmp_eq_u32_e32 vcc, 0, v1
	v_cndmask_b32_e64 v11, 0, v11, s[20:21]
	v_mov_b32_e32 v15, 0x78
	v_or_b32_e32 v14, 0x800000, v10
	v_cndmask_b32_e32 v25, v11, v15, vcc
	v_cndmask_b32_e32 v50, v14, v10, vcc
	v_add_u32_e32 v10, 20, v25
	v_lshlrev_b64 v[10:11], v10, -1
	v_add_u32_e32 v14, 19, v25
	v_lshlrev_b64 v[14:15], v14, 1
	v_bfi_b32 v11, v11, 0, 0
	v_bfi_b32 v10, v10, 0, v50
	v_cmp_eq_u64_e64 s[20:21], v[10:11], v[14:15]
	v_lshrrev_b64 v[10:11], v25, v[50:51]
	v_mov_b32_e32 v15, v11
	v_mov_b32_e32 v14, v10
	s_and_saveexec_b64 s[34:35], s[20:21]
; %bb.5045:                             ;   in Loop: Header=BB4_4641 Depth=2
	v_bfe_u32 v11, v10, 20, 1
	v_add_co_u32_e64 v11, s[20:21], v10, v11
	v_add_co_u32_e64 v14, s[20:21], -1, v11
; %bb.5046:                             ;   in Loop: Header=BB4_4641 Depth=2
	s_or_b64 exec, exec, s[34:35]
	v_add_u32_e32 v1, 0xffffff81, v1
	v_cndmask_b32_e32 v1, v1, v49, vcc
	v_lshrrev_b32_e32 v11, 23, v10
	v_add3_u32 v25, v25, v1, v11
	v_add_u32_e32 v15, 6, v25
	v_and_b32_e32 v1, 0xfffff, v14
	v_add_u32_e32 v50, v1, v10
	v_cmp_ne_u32_e32 vcc, 0, v15
                                        ; implicit-def: $vgpr10_vgpr11
                                        ; implicit-def: $vgpr1
	s_and_saveexec_b64 s[20:21], vcc
	s_xor_b64 s[20:21], exec, s[20:21]
; %bb.5047:                             ;   in Loop: Header=BB4_4641 Depth=2
	v_cmp_lt_u64_e32 vcc, s[74:75], v[50:51]
	v_add_u32_e32 v1, 7, v25
	v_cndmask_b32_e64 v10, 0, 1, vcc
	v_cndmask_b32_e32 v1, v15, v1, vcc
	v_lshrrev_b64 v[10:11], v10, v[50:51]
; %bb.5048:                             ;   in Loop: Header=BB4_4641 Depth=2
	s_andn2_saveexec_b64 s[20:21], s[20:21]
; %bb.5049:                             ;   in Loop: Header=BB4_4641 Depth=2
	v_mov_b32_e32 v10, v50
	v_bfe_u32 v1, v50, 23, 1
	v_mov_b32_e32 v11, v51
; %bb.5050:                             ;   in Loop: Header=BB4_4641 Depth=2
	s_or_b64 exec, exec, s[20:21]
	v_lshrrev_b64 v[10:11], 20, v[10:11]
	v_cmp_gt_i32_e32 vcc, 16, v1
	v_cndmask_b32_e32 v11, 0, v11, vcc
	v_cndmask_b32_e32 v10, 7, v10, vcc
	v_cmp_eq_u32_e32 vcc, 0, v1
	v_min_i32_e32 v1, 15, v1
	v_cmp_eq_u64_e64 s[20:21], 0, v[10:11]
	v_lshlrev_b32_e32 v1, 3, v1
	v_and_b32_e32 v1, 0xf8, v1
	v_and_or_b32 v1, v10, 7, v1
	s_and_b64 s[20:21], vcc, s[20:21]
	v_cndmask_b32_e64 v1, v1, 0, s[20:21]
	v_or_b32_e32 v1, v1, v24
.LBB4_5051:                             ;   in Loop: Header=BB4_4641 Depth=2
	s_or_b64 exec, exec, s[26:27]
                                        ; implicit-def: $vgpr24
.LBB4_5052:                             ;   in Loop: Header=BB4_4641 Depth=2
	s_andn2_saveexec_b64 s[20:21], s[24:25]
; %bb.5053:                             ;   in Loop: Header=BB4_4641 Depth=2
	v_or_b32_e32 v1, 0x7e, v24
; %bb.5054:                             ;   in Loop: Header=BB4_4641 Depth=2
	s_or_b64 exec, exec, s[20:21]
                                        ; implicit-def: $vgpr11
.LBB4_5055:                             ;   in Loop: Header=BB4_4641 Depth=2
	s_andn2_saveexec_b64 s[20:21], s[22:23]
; %bb.5056:                             ;   in Loop: Header=BB4_4641 Depth=2
	v_or_b32_sdwa v1, v11, s51 dst_sel:DWORD dst_unused:UNUSED_PAD src0_sel:BYTE_3 src1_sel:DWORD
; %bb.5057:                             ;   in Loop: Header=BB4_4641 Depth=2
	s_or_b64 exec, exec, s[20:21]
	v_bfe_u32 v11, v16, 16, 3
	v_bfe_u32 v14, v16, 16, 7
	v_cmp_eq_u32_e64 s[20:21], s51, v14
	v_cmp_gt_u32_e32 vcc, 8, v14
	v_ffbh_u32_e32 v14, v11
	v_min_u32_e32 v25, 32, v14
	v_lshrrev_b32_e32 v10, 16, v16
	v_subrev_u32_e32 v14, 28, v25
	v_lshlrev_b64 v[14:15], v14, v[10:11]
	v_bfe_u32 v24, v10, 3, 4
	v_sub_u32_e32 v15, 29, v25
	v_and_b32_e32 v14, 7, v14
	v_cndmask_b32_e32 v15, v24, v15, vcc
	v_cndmask_b32_e32 v11, v11, v14, vcc
	v_lshlrev_b32_e32 v14, 8, v16
	v_lshlrev_b32_e32 v11, 20, v11
	v_and_b32_e32 v14, 0x80000000, v14
	v_lshl_add_u32 v15, v15, 23, v62
	v_or3_b32 v14, v14, v15, v11
	v_lshrrev_b32_e32 v11, 16, v12
	v_cmp_ne_u16_sdwa s[22:23], v11, v51 src0_sel:BYTE_0 src1_sel:DWORD
	s_mov_b64 s[24:25], -1
	s_and_b64 vcc, exec, s[30:31]
                                        ; implicit-def: $vgpr15
	s_cbranch_vccz .LBB4_5071
; %bb.5058:                             ;   in Loop: Header=BB4_4641 Depth=2
	v_mov_b32_e32 v15, 0
	s_and_saveexec_b64 s[24:25], s[22:23]
	s_cbranch_execz .LBB4_5064
; %bb.5059:                             ;   in Loop: Header=BB4_4641 Depth=2
	v_cmp_ne_u16_sdwa vcc, v11, s49 src0_sel:BYTE_0 src1_sel:DWORD
	v_bfrev_b32_e32 v15, 1
	s_and_saveexec_b64 s[26:27], vcc
	s_cbranch_execz .LBB4_5063
; %bb.5060:                             ;   in Loop: Header=BB4_4641 Depth=2
	v_bfe_u32 v24, v12, 16, 7
	v_cmp_ne_u32_e32 vcc, s51, v24
	v_mov_b32_e32 v15, 0x7f800001
	s_and_saveexec_b64 s[34:35], vcc
	s_cbranch_execz .LBB4_5062
; %bb.5061:                             ;   in Loop: Header=BB4_4641 Depth=2
	v_and_b32_e32 v15, 7, v11
	v_lshrrev_b32_e32 v36, 3, v24
	v_cmp_gt_u32_e32 vcc, 8, v24
	v_ffbh_u32_e32 v24, v15
	v_min_u32_e32 v37, 32, v24
	v_subrev_u32_e32 v24, 28, v37
	v_lshlrev_b64 v[24:25], v24, v[11:12]
	v_sub_u32_e32 v25, 29, v37
	v_and_b32_e32 v24, 7, v24
	v_cndmask_b32_e32 v25, v36, v25, vcc
	v_cndmask_b32_e32 v15, v15, v24, vcc
	v_lshlrev_b32_e32 v24, 24, v11
	v_lshlrev_b32_e32 v15, 20, v15
	v_and_b32_e32 v24, 0x80000000, v24
	v_lshl_add_u32 v25, v25, 23, v62
	v_or3_b32 v15, v24, v25, v15
.LBB4_5062:                             ;   in Loop: Header=BB4_4641 Depth=2
	s_or_b64 exec, exec, s[34:35]
.LBB4_5063:                             ;   in Loop: Header=BB4_4641 Depth=2
	s_or_b64 exec, exec, s[26:27]
.LBB4_5064:                             ;   in Loop: Header=BB4_4641 Depth=2
	s_or_b64 exec, exec, s[24:25]
	v_cmp_gt_i16_sdwa s[26:27], v10, s51 src0_sel:BYTE_0 src1_sel:DWORD
	s_mov_b64 s[24:25], 0
	s_and_saveexec_b64 vcc, s[26:27]
	s_xor_b64 s[26:27], exec, vcc
	s_cbranch_execz .LBB4_5329
; %bb.5065:                             ;   in Loop: Header=BB4_4641 Depth=2
	v_cmp_eq_u16_sdwa s[34:35], v10, s49 src0_sel:BYTE_0 src1_sel:DWORD
	s_mov_b64 s[24:25], -1
	s_and_saveexec_b64 vcc, s[34:35]
; %bb.5066:                             ;   in Loop: Header=BB4_4641 Depth=2
	s_xor_b64 s[24:25], exec, -1
; %bb.5067:                             ;   in Loop: Header=BB4_4641 Depth=2
	s_or_b64 exec, exec, vcc
	s_and_b64 s[24:25], s[24:25], exec
	s_or_saveexec_b64 s[26:27], s[26:27]
	v_bfrev_b32_e32 v24, 1
	s_xor_b64 exec, exec, s[26:27]
	s_cbranch_execnz .LBB4_5330
.LBB4_5068:                             ;   in Loop: Header=BB4_4641 Depth=2
	s_or_b64 exec, exec, s[26:27]
	s_and_saveexec_b64 s[26:27], s[24:25]
.LBB4_5069:                             ;   in Loop: Header=BB4_4641 Depth=2
	v_mov_b32_e32 v24, 0x7f800001
	v_cndmask_b32_e64 v24, v14, v24, s[20:21]
.LBB4_5070:                             ;   in Loop: Header=BB4_4641 Depth=2
	s_or_b64 exec, exec, s[26:27]
	v_max_f32_e32 v24, v24, v24
	v_max_f32_e32 v15, v15, v15
	;; [unrolled: 1-line block ×3, first 2 shown]
	s_mov_b64 s[24:25], 0
.LBB4_5071:                             ;   in Loop: Header=BB4_4641 Depth=2
	s_and_b64 vcc, exec, s[24:25]
	s_cbranch_vccz .LBB4_5085
; %bb.5072:                             ;   in Loop: Header=BB4_4641 Depth=2
	v_mov_b32_e32 v15, 0
	s_and_saveexec_b64 s[24:25], s[22:23]
	s_cbranch_execz .LBB4_5078
; %bb.5073:                             ;   in Loop: Header=BB4_4641 Depth=2
	v_cmp_ne_u16_sdwa s[26:27], v11, s49 src0_sel:BYTE_0 src1_sel:DWORD
	v_bfrev_b32_e32 v15, 1
	s_and_saveexec_b64 s[22:23], s[26:27]
	s_cbranch_execz .LBB4_5077
; %bb.5074:                             ;   in Loop: Header=BB4_4641 Depth=2
	v_bfe_u32 v24, v12, 16, 7
	v_cmp_ne_u32_e32 vcc, s51, v24
	v_mov_b32_e32 v15, 0x7f800001
	s_and_saveexec_b64 s[26:27], vcc
	s_cbranch_execz .LBB4_5076
; %bb.5075:                             ;   in Loop: Header=BB4_4641 Depth=2
	v_and_b32_e32 v15, 7, v11
	v_lshrrev_b32_e32 v36, 3, v24
	v_cmp_gt_u32_e32 vcc, 8, v24
	v_ffbh_u32_e32 v24, v15
	v_min_u32_e32 v37, 32, v24
	v_subrev_u32_e32 v24, 28, v37
	v_lshlrev_b64 v[24:25], v24, v[11:12]
	v_sub_u32_e32 v25, 29, v37
	v_and_b32_e32 v24, 7, v24
	v_cndmask_b32_e32 v25, v36, v25, vcc
	v_cndmask_b32_e32 v15, v15, v24, vcc
	v_lshlrev_b32_e32 v11, 24, v11
	v_lshlrev_b32_e32 v15, 20, v15
	v_and_b32_e32 v11, 0x80000000, v11
	v_lshl_add_u32 v24, v25, 23, v62
	v_or3_b32 v15, v11, v24, v15
.LBB4_5076:                             ;   in Loop: Header=BB4_4641 Depth=2
	s_or_b64 exec, exec, s[26:27]
.LBB4_5077:                             ;   in Loop: Header=BB4_4641 Depth=2
	s_or_b64 exec, exec, s[22:23]
.LBB4_5078:                             ;   in Loop: Header=BB4_4641 Depth=2
	s_or_b64 exec, exec, s[24:25]
	v_cmp_gt_i16_sdwa s[24:25], v10, s51 src0_sel:BYTE_0 src1_sel:DWORD
	s_mov_b64 s[22:23], 0
	s_and_saveexec_b64 s[26:27], s[24:25]
	s_xor_b64 s[24:25], exec, s[26:27]
	s_cbranch_execz .LBB4_5331
; %bb.5079:                             ;   in Loop: Header=BB4_4641 Depth=2
	v_cmp_eq_u16_sdwa vcc, v10, s49 src0_sel:BYTE_0 src1_sel:DWORD
	s_mov_b64 s[22:23], -1
	s_and_saveexec_b64 s[26:27], vcc
; %bb.5080:                             ;   in Loop: Header=BB4_4641 Depth=2
	s_xor_b64 s[22:23], exec, -1
; %bb.5081:                             ;   in Loop: Header=BB4_4641 Depth=2
	s_or_b64 exec, exec, s[26:27]
	s_and_b64 s[22:23], s[22:23], exec
                                        ; implicit-def: $vgpr10
	s_or_saveexec_b64 s[24:25], s[24:25]
	v_bfrev_b32_e32 v11, 1
	s_xor_b64 exec, exec, s[24:25]
	s_cbranch_execnz .LBB4_5332
.LBB4_5082:                             ;   in Loop: Header=BB4_4641 Depth=2
	s_or_b64 exec, exec, s[24:25]
	s_and_saveexec_b64 s[24:25], s[22:23]
.LBB4_5083:                             ;   in Loop: Header=BB4_4641 Depth=2
	v_mov_b32_e32 v10, 0x7f800001
	v_cndmask_b32_e64 v11, v14, v10, s[20:21]
.LBB4_5084:                             ;   in Loop: Header=BB4_4641 Depth=2
	s_or_b64 exec, exec, s[24:25]
	v_max_f32_e32 v10, v11, v11
	v_max_f32_e32 v11, v15, v15
	v_min_f32_e32 v15, v11, v10
.LBB4_5085:                             ;   in Loop: Header=BB4_4641 Depth=2
	v_and_b32_e32 v50, 0x7f800000, v15
	v_cmp_ne_u64_e32 vcc, s[62:63], v[50:51]
                                        ; implicit-def: $vgpr42
	s_and_saveexec_b64 s[20:21], vcc
	s_xor_b64 s[22:23], exec, s[20:21]
	s_cbranch_execz .LBB4_5099
; %bb.5086:                             ;   in Loop: Header=BB4_4641 Depth=2
	v_and_b32_e32 v50, 0x7fffffff, v15
	v_cmp_gt_u64_e32 vcc, s[72:73], v[50:51]
	v_and_b32_sdwa v24, v15, s49 dst_sel:DWORD dst_unused:UNUSED_PAD src0_sel:BYTE_3 src1_sel:DWORD
                                        ; implicit-def: $vgpr42
	s_and_saveexec_b64 s[20:21], vcc
	s_xor_b64 s[24:25], exec, s[20:21]
	s_cbranch_execz .LBB4_5096
; %bb.5087:                             ;   in Loop: Header=BB4_4641 Depth=2
	v_mov_b32_e32 v42, 0
	v_cmp_ne_u32_e32 vcc, 0, v15
	s_and_saveexec_b64 s[26:27], vcc
	s_cbranch_execz .LBB4_5095
; %bb.5088:                             ;   in Loop: Header=BB4_4641 Depth=2
	v_bfe_u32 v25, v15, 23, 8
	v_cmp_gt_u32_e64 s[20:21], s53, v25
	v_sub_u32_e32 v11, 0x79, v25
	v_and_b32_e32 v10, 0x7fffff, v15
	v_cmp_eq_u32_e32 vcc, 0, v25
	v_cndmask_b32_e64 v11, 0, v11, s[20:21]
	v_mov_b32_e32 v15, 0x78
	v_or_b32_e32 v14, 0x800000, v10
	v_cndmask_b32_e32 v48, v11, v15, vcc
	v_cndmask_b32_e32 v50, v14, v10, vcc
	v_add_u32_e32 v10, 20, v48
	v_lshlrev_b64 v[10:11], v10, -1
	v_add_u32_e32 v14, 19, v48
	v_lshlrev_b64 v[14:15], v14, 1
	v_bfi_b32 v11, v11, 0, 0
	v_bfi_b32 v10, v10, 0, v50
	v_cmp_eq_u64_e64 s[20:21], v[10:11], v[14:15]
	v_lshrrev_b64 v[10:11], v48, v[50:51]
	v_mov_b32_e32 v15, v11
	v_mov_b32_e32 v14, v10
	s_and_saveexec_b64 s[34:35], s[20:21]
; %bb.5089:                             ;   in Loop: Header=BB4_4641 Depth=2
	v_bfe_u32 v11, v10, 20, 1
	v_add_co_u32_e64 v11, s[20:21], v10, v11
	v_add_co_u32_e64 v14, s[20:21], -1, v11
; %bb.5090:                             ;   in Loop: Header=BB4_4641 Depth=2
	s_or_b64 exec, exec, s[34:35]
	v_add_u32_e32 v11, 0xffffff81, v25
	v_cndmask_b32_e32 v11, v11, v49, vcc
	v_lshrrev_b32_e32 v15, 23, v10
	v_add3_u32 v25, v48, v11, v15
	v_add_u32_e32 v15, 6, v25
	v_and_b32_e32 v11, 0xfffff, v14
	v_add_u32_e32 v50, v11, v10
	v_cmp_ne_u32_e32 vcc, 0, v15
                                        ; implicit-def: $vgpr10_vgpr11
                                        ; implicit-def: $vgpr14
	s_and_saveexec_b64 s[20:21], vcc
	s_xor_b64 s[20:21], exec, s[20:21]
; %bb.5091:                             ;   in Loop: Header=BB4_4641 Depth=2
	v_cmp_lt_u64_e32 vcc, s[74:75], v[50:51]
	v_add_u32_e32 v10, 7, v25
	v_cndmask_b32_e32 v14, v15, v10, vcc
	v_cndmask_b32_e64 v10, 0, 1, vcc
	v_lshrrev_b64 v[10:11], v10, v[50:51]
; %bb.5092:                             ;   in Loop: Header=BB4_4641 Depth=2
	s_andn2_saveexec_b64 s[20:21], s[20:21]
; %bb.5093:                             ;   in Loop: Header=BB4_4641 Depth=2
	v_mov_b32_e32 v10, v50
	v_bfe_u32 v14, v50, 23, 1
	v_mov_b32_e32 v11, v51
; %bb.5094:                             ;   in Loop: Header=BB4_4641 Depth=2
	s_or_b64 exec, exec, s[20:21]
	v_lshrrev_b64 v[10:11], 20, v[10:11]
	v_cmp_gt_i32_e32 vcc, 16, v14
	v_cndmask_b32_e32 v11, 0, v11, vcc
	v_cndmask_b32_e32 v10, 7, v10, vcc
	v_cmp_eq_u64_e64 s[20:21], 0, v[10:11]
	v_min_i32_e32 v11, 15, v14
	v_lshlrev_b32_e32 v11, 3, v11
	v_cmp_eq_u32_e32 vcc, 0, v14
	v_and_b32_e32 v11, 0xf8, v11
	v_and_or_b32 v10, v10, 7, v11
	s_and_b64 s[20:21], vcc, s[20:21]
	v_cndmask_b32_e64 v10, v10, 0, s[20:21]
	v_or_b32_e32 v42, v10, v24
.LBB4_5095:                             ;   in Loop: Header=BB4_4641 Depth=2
	s_or_b64 exec, exec, s[26:27]
                                        ; implicit-def: $vgpr24
.LBB4_5096:                             ;   in Loop: Header=BB4_4641 Depth=2
	s_andn2_saveexec_b64 s[20:21], s[24:25]
; %bb.5097:                             ;   in Loop: Header=BB4_4641 Depth=2
	v_or_b32_e32 v42, 0x7e, v24
; %bb.5098:                             ;   in Loop: Header=BB4_4641 Depth=2
	s_or_b64 exec, exec, s[20:21]
                                        ; implicit-def: $vgpr15
.LBB4_5099:                             ;   in Loop: Header=BB4_4641 Depth=2
	s_andn2_saveexec_b64 s[20:21], s[22:23]
; %bb.5100:                             ;   in Loop: Header=BB4_4641 Depth=2
	v_or_b32_sdwa v42, v15, s51 dst_sel:DWORD dst_unused:UNUSED_PAD src0_sel:BYTE_3 src1_sel:DWORD
; %bb.5101:                             ;   in Loop: Header=BB4_4641 Depth=2
	s_or_b64 exec, exec, s[20:21]
	v_bfe_u32 v24, v16, 24, 3
	v_bfe_u32 v14, v16, 24, 7
	v_cmp_eq_u32_e64 s[24:25], s51, v14
	v_cmp_gt_u32_e32 vcc, 8, v14
	v_ffbh_u32_e32 v14, v24
	v_min_u32_e32 v36, 32, v14
	v_lshrrev_b32_e32 v11, 24, v16
	v_subrev_u32_e32 v14, 28, v36
	v_lshlrev_b64 v[14:15], v14, v[11:12]
	v_bfe_u32 v25, v11, 3, 4
	v_cmp_eq_u32_e64 s[22:23], s49, v11
	v_sub_u32_e32 v11, 29, v36
	v_and_b32_e32 v14, 7, v14
	v_cndmask_b32_e32 v11, v25, v11, vcc
	v_cndmask_b32_e32 v14, v24, v14, vcc
	v_lshlrev_b32_e32 v14, 20, v14
	v_and_b32_e32 v15, 0x80000000, v16
	v_lshl_add_u32 v11, v11, 23, v62
	v_lshrrev_b32_e32 v10, 24, v12
	v_cmp_gt_u32_e64 s[20:21], s57, v16
	v_or3_b32 v11, v15, v11, v14
	v_cmp_lt_u32_e64 s[26:27], s77, v12
	s_mov_b64 s[34:35], -1
	s_and_b64 vcc, exec, s[30:31]
                                        ; implicit-def: $vgpr14
	s_cbranch_vccz .LBB4_5109
; %bb.5102:                             ;   in Loop: Header=BB4_4641 Depth=2
	v_mov_b32_e32 v14, 0
	s_and_saveexec_b64 s[34:35], s[26:27]
	s_cbranch_execz .LBB4_5108
; %bb.5103:                             ;   in Loop: Header=BB4_4641 Depth=2
	v_cmp_ne_u32_e32 vcc, s49, v10
	v_bfrev_b32_e32 v14, 1
	s_and_saveexec_b64 s[36:37], vcc
	s_cbranch_execz .LBB4_5107
; %bb.5104:                             ;   in Loop: Header=BB4_4641 Depth=2
	v_bfe_u32 v15, v12, 24, 7
	v_cmp_ne_u32_e32 vcc, s51, v15
	v_mov_b32_e32 v14, 0x7f800001
	s_and_saveexec_b64 s[38:39], vcc
	s_cbranch_execz .LBB4_5106
; %bb.5105:                             ;   in Loop: Header=BB4_4641 Depth=2
	v_and_b32_e32 v24, 7, v10
	v_ffbh_u32_e32 v14, v24
	v_min_u32_e32 v36, 32, v14
	v_subrev_u32_e32 v14, 28, v36
	v_lshrrev_b32_e32 v25, 3, v15
	v_cmp_gt_u32_e32 vcc, 8, v15
	v_lshlrev_b64 v[14:15], v14, v[10:11]
	v_sub_u32_e32 v15, 29, v36
	v_and_b32_e32 v14, 7, v14
	v_cndmask_b32_e32 v15, v25, v15, vcc
	v_cndmask_b32_e32 v14, v24, v14, vcc
	v_lshlrev_b32_e32 v24, 24, v10
	v_lshlrev_b32_e32 v14, 20, v14
	v_and_b32_e32 v24, 0x80000000, v24
	v_lshl_add_u32 v15, v15, 23, v62
	v_or3_b32 v14, v24, v15, v14
.LBB4_5106:                             ;   in Loop: Header=BB4_4641 Depth=2
	s_or_b64 exec, exec, s[38:39]
.LBB4_5107:                             ;   in Loop: Header=BB4_4641 Depth=2
	s_or_b64 exec, exec, s[36:37]
.LBB4_5108:                             ;   in Loop: Header=BB4_4641 Depth=2
	s_or_b64 exec, exec, s[34:35]
	v_mov_b32_e32 v15, 0x7f800001
	v_cndmask_b32_e64 v15, v11, v15, s[24:25]
	v_bfrev_b32_e32 v24, 1
	v_cndmask_b32_e64 v15, v15, v24, s[22:23]
	v_cndmask_b32_e64 v15, v15, 0, s[20:21]
	v_max_f32_e32 v15, v15, v15
	v_max_f32_e32 v14, v14, v14
	;; [unrolled: 1-line block ×3, first 2 shown]
	s_mov_b64 s[34:35], 0
.LBB4_5109:                             ;   in Loop: Header=BB4_4641 Depth=2
	s_and_b64 vcc, exec, s[34:35]
	s_cbranch_vccz .LBB4_5117
; %bb.5110:                             ;   in Loop: Header=BB4_4641 Depth=2
	v_mov_b32_e32 v14, 0
	s_and_saveexec_b64 s[34:35], s[26:27]
	s_cbranch_execz .LBB4_5116
; %bb.5111:                             ;   in Loop: Header=BB4_4641 Depth=2
	v_cmp_ne_u32_e32 vcc, s49, v10
	v_bfrev_b32_e32 v14, 1
	s_and_saveexec_b64 s[26:27], vcc
	s_cbranch_execz .LBB4_5115
; %bb.5112:                             ;   in Loop: Header=BB4_4641 Depth=2
	v_bfe_u32 v15, v12, 24, 7
	v_cmp_ne_u32_e32 vcc, s51, v15
	v_mov_b32_e32 v14, 0x7f800001
	s_and_saveexec_b64 s[36:37], vcc
	s_cbranch_execz .LBB4_5114
; %bb.5113:                             ;   in Loop: Header=BB4_4641 Depth=2
	v_and_b32_e32 v24, 7, v10
	v_ffbh_u32_e32 v14, v24
	v_min_u32_e32 v36, 32, v14
	v_subrev_u32_e32 v14, 28, v36
	v_lshrrev_b32_e32 v25, 3, v15
	v_cmp_gt_u32_e32 vcc, 8, v15
	v_lshlrev_b64 v[14:15], v14, v[10:11]
	v_sub_u32_e32 v15, 29, v36
	v_and_b32_e32 v14, 7, v14
	v_cndmask_b32_e32 v15, v25, v15, vcc
	v_cndmask_b32_e32 v14, v24, v14, vcc
	v_lshlrev_b32_e32 v10, 24, v10
	v_lshlrev_b32_e32 v14, 20, v14
	v_and_b32_e32 v10, 0x80000000, v10
	v_lshl_add_u32 v15, v15, 23, v62
	v_or3_b32 v14, v10, v15, v14
.LBB4_5114:                             ;   in Loop: Header=BB4_4641 Depth=2
	s_or_b64 exec, exec, s[36:37]
.LBB4_5115:                             ;   in Loop: Header=BB4_4641 Depth=2
	s_or_b64 exec, exec, s[26:27]
.LBB4_5116:                             ;   in Loop: Header=BB4_4641 Depth=2
	s_or_b64 exec, exec, s[34:35]
	v_mov_b32_e32 v10, 0x7f800001
	v_cndmask_b32_e64 v10, v11, v10, s[24:25]
	v_bfrev_b32_e32 v11, 1
	v_cndmask_b32_e64 v10, v10, v11, s[22:23]
	v_cndmask_b32_e64 v10, v10, 0, s[20:21]
	v_max_f32_e32 v10, v10, v10
	v_max_f32_e32 v11, v14, v14
	v_min_f32_e32 v14, v11, v10
.LBB4_5117:                             ;   in Loop: Header=BB4_4641 Depth=2
	v_and_b32_e32 v50, 0x7f800000, v14
	v_cmp_ne_u64_e32 vcc, s[62:63], v[50:51]
                                        ; implicit-def: $vgpr43
	s_and_saveexec_b64 s[20:21], vcc
	s_xor_b64 s[22:23], exec, s[20:21]
	s_cbranch_execz .LBB4_5131
; %bb.5118:                             ;   in Loop: Header=BB4_4641 Depth=2
	v_and_b32_e32 v50, 0x7fffffff, v14
	v_cmp_gt_u64_e32 vcc, s[72:73], v[50:51]
	v_and_b32_sdwa v24, v14, s49 dst_sel:DWORD dst_unused:UNUSED_PAD src0_sel:BYTE_3 src1_sel:DWORD
                                        ; implicit-def: $vgpr43
	s_and_saveexec_b64 s[20:21], vcc
	s_xor_b64 s[24:25], exec, s[20:21]
	s_cbranch_execz .LBB4_5128
; %bb.5119:                             ;   in Loop: Header=BB4_4641 Depth=2
	v_mov_b32_e32 v43, 0
	v_cmp_ne_u32_e32 vcc, 0, v14
	s_and_saveexec_b64 s[26:27], vcc
	s_cbranch_execz .LBB4_5127
; %bb.5120:                             ;   in Loop: Header=BB4_4641 Depth=2
	v_bfe_u32 v25, v14, 23, 8
	v_cmp_gt_u32_e64 s[20:21], s53, v25
	v_sub_u32_e32 v11, 0x79, v25
	v_and_b32_e32 v10, 0x7fffff, v14
	v_cmp_eq_u32_e32 vcc, 0, v25
	v_cndmask_b32_e64 v11, 0, v11, s[20:21]
	v_mov_b32_e32 v15, 0x78
	v_or_b32_e32 v14, 0x800000, v10
	v_cndmask_b32_e32 v48, v11, v15, vcc
	v_cndmask_b32_e32 v50, v14, v10, vcc
	v_add_u32_e32 v10, 20, v48
	v_lshlrev_b64 v[10:11], v10, -1
	v_add_u32_e32 v14, 19, v48
	v_lshlrev_b64 v[14:15], v14, 1
	v_bfi_b32 v11, v11, 0, 0
	v_bfi_b32 v10, v10, 0, v50
	v_cmp_eq_u64_e64 s[20:21], v[10:11], v[14:15]
	v_lshrrev_b64 v[10:11], v48, v[50:51]
	v_mov_b32_e32 v15, v11
	v_mov_b32_e32 v14, v10
	s_and_saveexec_b64 s[34:35], s[20:21]
; %bb.5121:                             ;   in Loop: Header=BB4_4641 Depth=2
	v_bfe_u32 v11, v10, 20, 1
	v_add_co_u32_e64 v11, s[20:21], v10, v11
	v_add_co_u32_e64 v14, s[20:21], -1, v11
; %bb.5122:                             ;   in Loop: Header=BB4_4641 Depth=2
	s_or_b64 exec, exec, s[34:35]
	v_add_u32_e32 v11, 0xffffff81, v25
	v_cndmask_b32_e32 v11, v11, v49, vcc
	v_lshrrev_b32_e32 v15, 23, v10
	v_add3_u32 v25, v48, v11, v15
	v_add_u32_e32 v15, 6, v25
	v_and_b32_e32 v11, 0xfffff, v14
	v_add_u32_e32 v50, v11, v10
	v_cmp_ne_u32_e32 vcc, 0, v15
                                        ; implicit-def: $vgpr10_vgpr11
                                        ; implicit-def: $vgpr14
	s_and_saveexec_b64 s[20:21], vcc
	s_xor_b64 s[20:21], exec, s[20:21]
; %bb.5123:                             ;   in Loop: Header=BB4_4641 Depth=2
	v_cmp_lt_u64_e32 vcc, s[74:75], v[50:51]
	v_add_u32_e32 v10, 7, v25
	v_cndmask_b32_e32 v14, v15, v10, vcc
	v_cndmask_b32_e64 v10, 0, 1, vcc
	v_lshrrev_b64 v[10:11], v10, v[50:51]
; %bb.5124:                             ;   in Loop: Header=BB4_4641 Depth=2
	s_andn2_saveexec_b64 s[20:21], s[20:21]
; %bb.5125:                             ;   in Loop: Header=BB4_4641 Depth=2
	v_mov_b32_e32 v10, v50
	v_bfe_u32 v14, v50, 23, 1
	v_mov_b32_e32 v11, v51
; %bb.5126:                             ;   in Loop: Header=BB4_4641 Depth=2
	s_or_b64 exec, exec, s[20:21]
	v_lshrrev_b64 v[10:11], 20, v[10:11]
	v_cmp_gt_i32_e32 vcc, 16, v14
	v_cndmask_b32_e32 v11, 0, v11, vcc
	v_cndmask_b32_e32 v10, 7, v10, vcc
	v_cmp_eq_u64_e64 s[20:21], 0, v[10:11]
	v_min_i32_e32 v11, 15, v14
	v_lshlrev_b32_e32 v11, 3, v11
	v_cmp_eq_u32_e32 vcc, 0, v14
	v_and_b32_e32 v11, 0xf8, v11
	v_and_or_b32 v10, v10, 7, v11
	s_and_b64 s[20:21], vcc, s[20:21]
	v_cndmask_b32_e64 v10, v10, 0, s[20:21]
	v_or_b32_e32 v43, v10, v24
.LBB4_5127:                             ;   in Loop: Header=BB4_4641 Depth=2
	s_or_b64 exec, exec, s[26:27]
                                        ; implicit-def: $vgpr24
.LBB4_5128:                             ;   in Loop: Header=BB4_4641 Depth=2
	s_andn2_saveexec_b64 s[20:21], s[24:25]
; %bb.5129:                             ;   in Loop: Header=BB4_4641 Depth=2
	v_or_b32_e32 v43, 0x7e, v24
; %bb.5130:                             ;   in Loop: Header=BB4_4641 Depth=2
	s_or_b64 exec, exec, s[20:21]
                                        ; implicit-def: $vgpr14
.LBB4_5131:                             ;   in Loop: Header=BB4_4641 Depth=2
	s_andn2_saveexec_b64 s[20:21], s[22:23]
; %bb.5132:                             ;   in Loop: Header=BB4_4641 Depth=2
	v_or_b32_sdwa v43, v14, s51 dst_sel:DWORD dst_unused:UNUSED_PAD src0_sel:BYTE_3 src1_sel:DWORD
; %bb.5133:                             ;   in Loop: Header=BB4_4641 Depth=2
	s_or_b64 exec, exec, s[20:21]
	v_and_b32_e32 v14, 7, v17
	v_ffbh_u32_e32 v14, v14
	v_and_b32_e32 v15, 0x7f, v17
	v_min_u32_e32 v14, 32, v14
	v_bfe_u32 v24, v17, 3, 4
	v_cmp_eq_u32_e64 s[20:21], s51, v15
	v_cmp_gt_u32_e32 vcc, 8, v15
	v_subrev_u32_e32 v15, 28, v14
	v_sub_u32_e32 v14, 29, v14
	v_mov_b32_e32 v10, v17
	v_mov_b32_e32 v11, v51
	v_cndmask_b32_e32 v24, v24, v14, vcc
	v_cndmask_b32_e32 v14, 0, v15, vcc
	v_lshlrev_b64 v[14:15], v14, v[10:11]
	v_lshl_add_u32 v15, v24, 23, v62
	v_lshlrev_b32_e32 v11, 20, v14
	v_lshlrev_b32_e32 v14, 24, v17
	v_and_b32_e32 v11, 0x700000, v11
	v_and_b32_e32 v14, 0x80000000, v14
	v_mov_b32_e32 v50, v13
	v_or3_b32 v11, v14, v15, v11
	v_cmp_ne_u16_sdwa s[22:23], v13, v51 src0_sel:BYTE_0 src1_sel:DWORD
	s_mov_b64 s[24:25], -1
	s_and_b64 vcc, exec, s[30:31]
                                        ; implicit-def: $vgpr14
	s_cbranch_vccz .LBB4_5147
; %bb.5134:                             ;   in Loop: Header=BB4_4641 Depth=2
	v_mov_b32_e32 v14, 0
	s_and_saveexec_b64 s[24:25], s[22:23]
	s_cbranch_execz .LBB4_5140
; %bb.5135:                             ;   in Loop: Header=BB4_4641 Depth=2
	v_cmp_ne_u16_sdwa vcc, v13, s49 src0_sel:BYTE_0 src1_sel:DWORD
	v_bfrev_b32_e32 v14, 1
	s_and_saveexec_b64 s[26:27], vcc
	s_cbranch_execz .LBB4_5139
; %bb.5136:                             ;   in Loop: Header=BB4_4641 Depth=2
	v_and_b32_e32 v15, 0x7f, v13
	v_cmp_ne_u32_e32 vcc, s51, v15
	v_mov_b32_e32 v14, 0x7f800001
	s_and_saveexec_b64 s[34:35], vcc
	s_cbranch_execz .LBB4_5138
; %bb.5137:                             ;   in Loop: Header=BB4_4641 Depth=2
	v_and_b32_e32 v14, 7, v13
	v_ffbh_u32_e32 v14, v14
	v_min_u32_e32 v14, 32, v14
	v_lshrrev_b32_e32 v24, 3, v15
	v_cmp_gt_u32_e32 vcc, 8, v15
	v_subrev_u32_e32 v15, 28, v14
	v_sub_u32_e32 v14, 29, v14
	v_cndmask_b32_e32 v24, v24, v14, vcc
	v_cndmask_b32_e32 v14, 0, v15, vcc
	v_lshlrev_b64 v[14:15], v14, v[50:51]
	v_lshlrev_b32_e32 v15, 24, v50
	v_lshlrev_b32_e32 v14, 20, v14
	v_and_b32_e32 v14, 0x700000, v14
	v_and_b32_e32 v15, 0x80000000, v15
	v_lshl_add_u32 v24, v24, 23, v62
	v_or3_b32 v14, v15, v24, v14
.LBB4_5138:                             ;   in Loop: Header=BB4_4641 Depth=2
	s_or_b64 exec, exec, s[34:35]
.LBB4_5139:                             ;   in Loop: Header=BB4_4641 Depth=2
	s_or_b64 exec, exec, s[26:27]
.LBB4_5140:                             ;   in Loop: Header=BB4_4641 Depth=2
	s_or_b64 exec, exec, s[24:25]
	v_cmp_gt_i16_sdwa s[26:27], v17, s51 src0_sel:BYTE_0 src1_sel:DWORD
	s_mov_b64 s[24:25], 0
	s_and_saveexec_b64 vcc, s[26:27]
	s_xor_b64 s[26:27], exec, vcc
	s_cbranch_execz .LBB4_5333
; %bb.5141:                             ;   in Loop: Header=BB4_4641 Depth=2
	v_cmp_eq_u16_sdwa s[34:35], v17, s49 src0_sel:BYTE_0 src1_sel:DWORD
	s_mov_b64 s[24:25], -1
	s_and_saveexec_b64 vcc, s[34:35]
; %bb.5142:                             ;   in Loop: Header=BB4_4641 Depth=2
	s_xor_b64 s[24:25], exec, -1
; %bb.5143:                             ;   in Loop: Header=BB4_4641 Depth=2
	s_or_b64 exec, exec, vcc
	s_and_b64 s[24:25], s[24:25], exec
	s_or_saveexec_b64 s[26:27], s[26:27]
	v_bfrev_b32_e32 v15, 1
	s_xor_b64 exec, exec, s[26:27]
	s_cbranch_execnz .LBB4_5334
.LBB4_5144:                             ;   in Loop: Header=BB4_4641 Depth=2
	s_or_b64 exec, exec, s[26:27]
	s_and_saveexec_b64 s[26:27], s[24:25]
.LBB4_5145:                             ;   in Loop: Header=BB4_4641 Depth=2
	v_mov_b32_e32 v15, 0x7f800001
	v_cndmask_b32_e64 v15, v11, v15, s[20:21]
.LBB4_5146:                             ;   in Loop: Header=BB4_4641 Depth=2
	s_or_b64 exec, exec, s[26:27]
	v_max_f32_e32 v15, v15, v15
	v_max_f32_e32 v14, v14, v14
	;; [unrolled: 1-line block ×3, first 2 shown]
	s_mov_b64 s[24:25], 0
.LBB4_5147:                             ;   in Loop: Header=BB4_4641 Depth=2
	s_and_b64 vcc, exec, s[24:25]
	s_cbranch_vccz .LBB4_5161
; %bb.5148:                             ;   in Loop: Header=BB4_4641 Depth=2
	v_mov_b32_e32 v14, 0
	s_and_saveexec_b64 s[24:25], s[22:23]
	s_cbranch_execz .LBB4_5154
; %bb.5149:                             ;   in Loop: Header=BB4_4641 Depth=2
	v_cmp_ne_u16_sdwa s[26:27], v13, s49 src0_sel:BYTE_0 src1_sel:DWORD
	v_bfrev_b32_e32 v14, 1
	s_and_saveexec_b64 s[22:23], s[26:27]
	s_cbranch_execz .LBB4_5153
; %bb.5150:                             ;   in Loop: Header=BB4_4641 Depth=2
	v_and_b32_e32 v15, 0x7f, v13
	v_cmp_ne_u32_e32 vcc, s51, v15
	v_mov_b32_e32 v14, 0x7f800001
	s_and_saveexec_b64 s[26:27], vcc
	s_cbranch_execz .LBB4_5152
; %bb.5151:                             ;   in Loop: Header=BB4_4641 Depth=2
	v_and_b32_e32 v14, 7, v13
	v_ffbh_u32_e32 v14, v14
	v_min_u32_e32 v14, 32, v14
	v_lshrrev_b32_e32 v24, 3, v15
	v_cmp_gt_u32_e32 vcc, 8, v15
	v_subrev_u32_e32 v15, 28, v14
	v_sub_u32_e32 v14, 29, v14
	v_cndmask_b32_e32 v24, v24, v14, vcc
	v_cndmask_b32_e32 v14, 0, v15, vcc
	v_lshlrev_b64 v[14:15], v14, v[50:51]
	v_lshlrev_b32_e32 v15, 24, v50
	v_lshlrev_b32_e32 v14, 20, v14
	v_and_b32_e32 v14, 0x700000, v14
	v_and_b32_e32 v15, 0x80000000, v15
	v_lshl_add_u32 v24, v24, 23, v62
	v_or3_b32 v14, v15, v24, v14
.LBB4_5152:                             ;   in Loop: Header=BB4_4641 Depth=2
	s_or_b64 exec, exec, s[26:27]
.LBB4_5153:                             ;   in Loop: Header=BB4_4641 Depth=2
	s_or_b64 exec, exec, s[22:23]
.LBB4_5154:                             ;   in Loop: Header=BB4_4641 Depth=2
	s_or_b64 exec, exec, s[24:25]
	v_cmp_gt_i16_sdwa s[24:25], v17, s51 src0_sel:BYTE_0 src1_sel:DWORD
	s_mov_b64 s[22:23], 0
	s_and_saveexec_b64 s[26:27], s[24:25]
	s_xor_b64 s[24:25], exec, s[26:27]
	s_cbranch_execz .LBB4_5335
; %bb.5155:                             ;   in Loop: Header=BB4_4641 Depth=2
	v_cmp_eq_u16_sdwa vcc, v17, s49 src0_sel:BYTE_0 src1_sel:DWORD
	s_mov_b64 s[22:23], -1
	s_and_saveexec_b64 s[26:27], vcc
; %bb.5156:                             ;   in Loop: Header=BB4_4641 Depth=2
	s_xor_b64 s[22:23], exec, -1
; %bb.5157:                             ;   in Loop: Header=BB4_4641 Depth=2
	s_or_b64 exec, exec, s[26:27]
	s_and_b64 s[22:23], s[22:23], exec
	s_or_saveexec_b64 s[24:25], s[24:25]
	v_bfrev_b32_e32 v15, 1
	s_xor_b64 exec, exec, s[24:25]
	s_cbranch_execnz .LBB4_5336
.LBB4_5158:                             ;   in Loop: Header=BB4_4641 Depth=2
	s_or_b64 exec, exec, s[24:25]
	s_and_saveexec_b64 s[24:25], s[22:23]
.LBB4_5159:                             ;   in Loop: Header=BB4_4641 Depth=2
	v_mov_b32_e32 v15, 0x7f800001
	v_cndmask_b32_e64 v15, v11, v15, s[20:21]
.LBB4_5160:                             ;   in Loop: Header=BB4_4641 Depth=2
	s_or_b64 exec, exec, s[24:25]
	v_max_f32_e32 v11, v15, v15
	v_max_f32_e32 v14, v14, v14
	v_min_f32_e32 v14, v14, v11
.LBB4_5161:                             ;   in Loop: Header=BB4_4641 Depth=2
	v_and_b32_e32 v24, 0x7f800000, v14
	v_mov_b32_e32 v25, v51
	v_cmp_ne_u64_e32 vcc, s[62:63], v[24:25]
                                        ; implicit-def: $vgpr24
	s_and_saveexec_b64 s[20:21], vcc
	s_xor_b64 s[22:23], exec, s[20:21]
	s_cbranch_execz .LBB4_5175
; %bb.5162:                             ;   in Loop: Header=BB4_4641 Depth=2
	v_and_b32_e32 v24, 0x7fffffff, v14
	v_mov_b32_e32 v25, v51
	v_cmp_gt_u64_e32 vcc, s[72:73], v[24:25]
	v_and_b32_sdwa v11, v14, s49 dst_sel:DWORD dst_unused:UNUSED_PAD src0_sel:BYTE_3 src1_sel:DWORD
                                        ; implicit-def: $vgpr24
	s_and_saveexec_b64 s[20:21], vcc
	s_xor_b64 s[24:25], exec, s[20:21]
	s_cbranch_execz .LBB4_5172
; %bb.5163:                             ;   in Loop: Header=BB4_4641 Depth=2
	v_mov_b32_e32 v24, 0
	v_cmp_ne_u32_e32 vcc, 0, v14
	s_and_saveexec_b64 s[26:27], vcc
	s_cbranch_execz .LBB4_5171
; %bb.5164:                             ;   in Loop: Header=BB4_4641 Depth=2
	v_bfe_u32 v48, v14, 23, 8
	v_and_b32_e32 v15, 0x7fffff, v14
	v_cmp_gt_u32_e64 s[20:21], s53, v48
	v_sub_u32_e32 v14, 0x79, v48
	v_cmp_eq_u32_e32 vcc, 0, v48
	v_cndmask_b32_e64 v14, 0, v14, s[20:21]
	v_mov_b32_e32 v25, 0x78
	v_or_b32_e32 v24, 0x800000, v15
	v_cndmask_b32_e32 v49, v14, v25, vcc
	v_cndmask_b32_e32 v14, v24, v15, vcc
	v_add_u32_e32 v24, 20, v49
	v_lshlrev_b64 v[24:25], v24, -1
	v_mov_b32_e32 v15, v51
	v_add_u32_e32 v36, 19, v49
	v_bfi_b32 v24, v24, 0, v14
	v_lshlrev_b64 v[36:37], v36, 1
	v_lshrrev_b64 v[14:15], v49, v[14:15]
	v_bfi_b32 v25, v25, 0, 0
	v_cmp_eq_u64_e64 s[20:21], v[24:25], v[36:37]
	v_mov_b32_e32 v25, v15
	v_mov_b32_e32 v54, 0xffffff82
	;; [unrolled: 1-line block ×3, first 2 shown]
	s_and_saveexec_b64 s[34:35], s[20:21]
; %bb.5165:                             ;   in Loop: Header=BB4_4641 Depth=2
	v_bfe_u32 v15, v14, 20, 1
	v_add_co_u32_e64 v15, s[20:21], v14, v15
	v_add_co_u32_e64 v24, s[20:21], -1, v15
; %bb.5166:                             ;   in Loop: Header=BB4_4641 Depth=2
	s_or_b64 exec, exec, s[34:35]
	v_add_u32_e32 v15, 0xffffff81, v48
	v_cndmask_b32_e32 v15, v15, v54, vcc
	v_lshrrev_b32_e32 v25, 23, v14
	v_add3_u32 v48, v49, v15, v25
	v_add_u32_e32 v25, 6, v48
	v_and_b32_e32 v15, 0xfffff, v24
	v_add_u32_e32 v14, v15, v14
	v_mov_b32_e32 v15, v51
	v_cmp_ne_u32_e32 vcc, 0, v25
                                        ; implicit-def: $vgpr24
	s_and_saveexec_b64 s[20:21], vcc
	s_xor_b64 s[20:21], exec, s[20:21]
; %bb.5167:                             ;   in Loop: Header=BB4_4641 Depth=2
	v_cmp_lt_u64_e32 vcc, s[74:75], v[14:15]
	v_add_u32_e32 v24, 7, v48
	v_cndmask_b32_e32 v24, v25, v24, vcc
	v_cndmask_b32_e64 v25, 0, 1, vcc
	v_lshrrev_b64 v[14:15], v25, v[14:15]
; %bb.5168:                             ;   in Loop: Header=BB4_4641 Depth=2
	s_andn2_saveexec_b64 s[20:21], s[20:21]
; %bb.5169:                             ;   in Loop: Header=BB4_4641 Depth=2
	v_bfe_u32 v24, v14, 23, 1
; %bb.5170:                             ;   in Loop: Header=BB4_4641 Depth=2
	s_or_b64 exec, exec, s[20:21]
	v_lshrrev_b64 v[14:15], 20, v[14:15]
	v_cmp_gt_i32_e32 vcc, 16, v24
	v_cndmask_b32_e32 v15, 0, v15, vcc
	v_cndmask_b32_e32 v14, 7, v14, vcc
	v_cmp_eq_u64_e64 s[20:21], 0, v[14:15]
	v_min_i32_e32 v15, 15, v24
	v_lshlrev_b32_e32 v15, 3, v15
	v_cmp_eq_u32_e32 vcc, 0, v24
	v_and_b32_e32 v15, 0xf8, v15
	v_and_or_b32 v14, v14, 7, v15
	s_and_b64 s[20:21], vcc, s[20:21]
	v_cndmask_b32_e64 v14, v14, 0, s[20:21]
	v_or_b32_e32 v24, v14, v11
	v_mov_b32_e32 v49, 0xffffff82
.LBB4_5171:                             ;   in Loop: Header=BB4_4641 Depth=2
	s_or_b64 exec, exec, s[26:27]
                                        ; implicit-def: $vgpr11
.LBB4_5172:                             ;   in Loop: Header=BB4_4641 Depth=2
	s_andn2_saveexec_b64 s[20:21], s[24:25]
; %bb.5173:                             ;   in Loop: Header=BB4_4641 Depth=2
	v_or_b32_e32 v24, 0x7e, v11
; %bb.5174:                             ;   in Loop: Header=BB4_4641 Depth=2
	s_or_b64 exec, exec, s[20:21]
                                        ; implicit-def: $vgpr14
.LBB4_5175:                             ;   in Loop: Header=BB4_4641 Depth=2
	s_andn2_saveexec_b64 s[20:21], s[22:23]
; %bb.5176:                             ;   in Loop: Header=BB4_4641 Depth=2
	v_or_b32_sdwa v24, v14, s51 dst_sel:DWORD dst_unused:UNUSED_PAD src0_sel:BYTE_3 src1_sel:DWORD
; %bb.5177:                             ;   in Loop: Header=BB4_4641 Depth=2
	s_or_b64 exec, exec, s[20:21]
	v_lshrrev_b16_e32 v10, 8, v10
	v_and_b32_e32 v15, 7, v10
	v_and_b32_e32 v25, 0x7f, v10
	v_cmp_eq_u32_e64 s[20:21], s51, v25
	v_cmp_gt_u32_e32 vcc, 8, v25
	v_ffbh_u32_e32 v25, v15
	v_min_u32_e32 v25, 32, v25
	v_mov_b32_e32 v11, v51
	v_subrev_u32_e32 v36, 28, v25
	v_lshlrev_b64 v[36:37], v36, v[10:11]
	v_bfe_u32 v48, v10, 3, 4
	v_sub_u32_e32 v11, 29, v25
	v_and_b32_e32 v25, 7, v36
	v_cndmask_b32_e32 v11, v48, v11, vcc
	v_cndmask_b32_e32 v15, v15, v25, vcc
	v_lshlrev_b32_e32 v25, 24, v10
	v_lshrrev_b16_e32 v14, 8, v50
	v_lshlrev_b32_e32 v15, 20, v15
	v_and_b32_e32 v25, 0x80000000, v25
	v_lshl_add_u32 v11, v11, 23, v62
	v_or3_b32 v11, v25, v11, v15
	v_cmp_ne_u16_e64 s[22:23], 0, v14
	s_mov_b64 s[24:25], -1
	s_and_b64 vcc, exec, s[30:31]
                                        ; implicit-def: $vgpr15
	s_cbranch_vccz .LBB4_5191
; %bb.5178:                             ;   in Loop: Header=BB4_4641 Depth=2
	v_mov_b32_e32 v15, 0
	s_and_saveexec_b64 s[24:25], s[22:23]
	s_cbranch_execz .LBB4_5184
; %bb.5179:                             ;   in Loop: Header=BB4_4641 Depth=2
	v_cmp_ne_u16_e32 vcc, s49, v14
	v_bfrev_b32_e32 v15, 1
	s_and_saveexec_b64 s[26:27], vcc
	s_cbranch_execz .LBB4_5183
; %bb.5180:                             ;   in Loop: Header=BB4_4641 Depth=2
	v_and_b32_e32 v25, 0x7f, v14
	v_cmp_ne_u32_e32 vcc, s51, v25
	v_mov_b32_e32 v15, 0x7f800001
	s_and_saveexec_b64 s[34:35], vcc
	s_cbranch_execz .LBB4_5182
; %bb.5181:                             ;   in Loop: Header=BB4_4641 Depth=2
	v_and_b32_e32 v15, 7, v14
	v_lshrrev_b32_e32 v48, 3, v25
	v_cmp_gt_u32_e32 vcc, 8, v25
	v_ffbh_u32_e32 v25, v15
	v_min_u32_e32 v25, 32, v25
	v_subrev_u32_e32 v36, 28, v25
	v_lshlrev_b64 v[36:37], v36, v[14:15]
	v_sub_u32_e32 v25, 29, v25
	v_and_b32_e32 v36, 7, v36
	v_cndmask_b32_e32 v25, v48, v25, vcc
	v_cndmask_b32_e32 v15, v15, v36, vcc
	v_lshlrev_b32_e32 v36, 16, v50
	v_lshlrev_b32_e32 v15, 20, v15
	v_and_b32_e32 v36, 0x80000000, v36
	v_lshl_add_u32 v25, v25, 23, v62
	v_or3_b32 v15, v36, v25, v15
.LBB4_5182:                             ;   in Loop: Header=BB4_4641 Depth=2
	s_or_b64 exec, exec, s[34:35]
.LBB4_5183:                             ;   in Loop: Header=BB4_4641 Depth=2
	s_or_b64 exec, exec, s[26:27]
.LBB4_5184:                             ;   in Loop: Header=BB4_4641 Depth=2
	s_or_b64 exec, exec, s[24:25]
	v_cmp_lt_i16_e32 vcc, s51, v10
	s_mov_b64 s[24:25], 0
	s_and_saveexec_b64 s[26:27], vcc
	s_xor_b64 s[26:27], exec, s[26:27]
	s_cbranch_execz .LBB4_5337
; %bb.5185:                             ;   in Loop: Header=BB4_4641 Depth=2
	v_cmp_eq_u16_e32 vcc, s49, v10
	s_mov_b64 s[24:25], -1
	s_and_saveexec_b64 s[34:35], vcc
; %bb.5186:                             ;   in Loop: Header=BB4_4641 Depth=2
	s_xor_b64 s[24:25], exec, -1
; %bb.5187:                             ;   in Loop: Header=BB4_4641 Depth=2
	s_or_b64 exec, exec, s[34:35]
	s_and_b64 s[24:25], s[24:25], exec
	s_or_saveexec_b64 s[26:27], s[26:27]
	v_bfrev_b32_e32 v25, 1
	s_xor_b64 exec, exec, s[26:27]
	s_cbranch_execnz .LBB4_5338
.LBB4_5188:                             ;   in Loop: Header=BB4_4641 Depth=2
	s_or_b64 exec, exec, s[26:27]
	s_and_saveexec_b64 s[26:27], s[24:25]
.LBB4_5189:                             ;   in Loop: Header=BB4_4641 Depth=2
	v_mov_b32_e32 v25, 0x7f800001
	v_cndmask_b32_e64 v25, v11, v25, s[20:21]
.LBB4_5190:                             ;   in Loop: Header=BB4_4641 Depth=2
	s_or_b64 exec, exec, s[26:27]
	v_max_f32_e32 v25, v25, v25
	v_max_f32_e32 v15, v15, v15
	;; [unrolled: 1-line block ×3, first 2 shown]
	s_mov_b64 s[24:25], 0
.LBB4_5191:                             ;   in Loop: Header=BB4_4641 Depth=2
	s_and_b64 vcc, exec, s[24:25]
	s_cbranch_vccz .LBB4_5205
; %bb.5192:                             ;   in Loop: Header=BB4_4641 Depth=2
	v_mov_b32_e32 v15, 0
	s_and_saveexec_b64 s[24:25], s[22:23]
	s_cbranch_execz .LBB4_5198
; %bb.5193:                             ;   in Loop: Header=BB4_4641 Depth=2
	v_cmp_ne_u16_e32 vcc, s49, v14
	v_bfrev_b32_e32 v15, 1
	s_and_saveexec_b64 s[22:23], vcc
	s_cbranch_execz .LBB4_5197
; %bb.5194:                             ;   in Loop: Header=BB4_4641 Depth=2
	v_and_b32_e32 v25, 0x7f, v14
	v_cmp_ne_u32_e32 vcc, s51, v25
	v_mov_b32_e32 v15, 0x7f800001
	s_and_saveexec_b64 s[26:27], vcc
	s_cbranch_execz .LBB4_5196
; %bb.5195:                             ;   in Loop: Header=BB4_4641 Depth=2
	v_and_b32_e32 v36, 7, v14
	v_ffbh_u32_e32 v15, v36
	v_lshrrev_b32_e32 v37, 3, v25
	v_cmp_gt_u32_e32 vcc, 8, v25
	v_min_u32_e32 v25, 32, v15
	v_subrev_u32_e32 v15, 28, v25
	v_lshlrev_b64 v[14:15], v15, v[14:15]
	v_sub_u32_e32 v15, 29, v25
	v_and_b32_e32 v14, 7, v14
	v_cndmask_b32_e32 v15, v37, v15, vcc
	v_cndmask_b32_e32 v14, v36, v14, vcc
	v_lshlrev_b32_e32 v25, 16, v50
	v_lshlrev_b32_e32 v14, 20, v14
	v_and_b32_e32 v25, 0x80000000, v25
	v_lshl_add_u32 v15, v15, 23, v62
	v_or3_b32 v15, v25, v15, v14
.LBB4_5196:                             ;   in Loop: Header=BB4_4641 Depth=2
	s_or_b64 exec, exec, s[26:27]
.LBB4_5197:                             ;   in Loop: Header=BB4_4641 Depth=2
	s_or_b64 exec, exec, s[22:23]
.LBB4_5198:                             ;   in Loop: Header=BB4_4641 Depth=2
	s_or_b64 exec, exec, s[24:25]
	v_cmp_lt_i16_e32 vcc, s51, v10
	s_mov_b64 s[22:23], 0
	s_and_saveexec_b64 s[24:25], vcc
	s_xor_b64 s[24:25], exec, s[24:25]
	s_cbranch_execz .LBB4_5339
; %bb.5199:                             ;   in Loop: Header=BB4_4641 Depth=2
	v_cmp_eq_u16_e32 vcc, s49, v10
	s_mov_b64 s[22:23], -1
	s_and_saveexec_b64 s[26:27], vcc
; %bb.5200:                             ;   in Loop: Header=BB4_4641 Depth=2
	s_xor_b64 s[22:23], exec, -1
; %bb.5201:                             ;   in Loop: Header=BB4_4641 Depth=2
	s_or_b64 exec, exec, s[26:27]
	s_and_b64 s[22:23], s[22:23], exec
                                        ; implicit-def: $vgpr10
	s_or_saveexec_b64 s[24:25], s[24:25]
	v_bfrev_b32_e32 v14, 1
	s_xor_b64 exec, exec, s[24:25]
	s_cbranch_execnz .LBB4_5340
.LBB4_5202:                             ;   in Loop: Header=BB4_4641 Depth=2
	s_or_b64 exec, exec, s[24:25]
	s_and_saveexec_b64 s[24:25], s[22:23]
.LBB4_5203:                             ;   in Loop: Header=BB4_4641 Depth=2
	v_mov_b32_e32 v10, 0x7f800001
	v_cndmask_b32_e64 v14, v11, v10, s[20:21]
.LBB4_5204:                             ;   in Loop: Header=BB4_4641 Depth=2
	s_or_b64 exec, exec, s[24:25]
	v_max_f32_e32 v10, v14, v14
	v_max_f32_e32 v11, v15, v15
	v_min_f32_e32 v15, v11, v10
.LBB4_5205:                             ;   in Loop: Header=BB4_4641 Depth=2
	v_and_b32_e32 v50, 0x7f800000, v15
	v_cmp_ne_u64_e32 vcc, s[62:63], v[50:51]
                                        ; implicit-def: $vgpr25
	s_and_saveexec_b64 s[20:21], vcc
	s_xor_b64 s[22:23], exec, s[20:21]
	s_cbranch_execz .LBB4_5219
; %bb.5206:                             ;   in Loop: Header=BB4_4641 Depth=2
	v_and_b32_e32 v50, 0x7fffffff, v15
	v_cmp_gt_u64_e32 vcc, s[72:73], v[50:51]
	v_and_b32_sdwa v54, v15, s49 dst_sel:DWORD dst_unused:UNUSED_PAD src0_sel:BYTE_3 src1_sel:DWORD
                                        ; implicit-def: $vgpr25
	s_and_saveexec_b64 s[20:21], vcc
	s_xor_b64 s[24:25], exec, s[20:21]
	s_cbranch_execz .LBB4_5216
; %bb.5207:                             ;   in Loop: Header=BB4_4641 Depth=2
	v_mov_b32_e32 v25, 0
	v_cmp_ne_u32_e32 vcc, 0, v15
	s_and_saveexec_b64 s[26:27], vcc
	s_cbranch_execz .LBB4_5215
; %bb.5208:                             ;   in Loop: Header=BB4_4641 Depth=2
	v_bfe_u32 v25, v15, 23, 8
	v_cmp_gt_u32_e64 s[20:21], s53, v25
	v_sub_u32_e32 v11, 0x79, v25
	v_and_b32_e32 v10, 0x7fffff, v15
	v_cmp_eq_u32_e32 vcc, 0, v25
	v_cndmask_b32_e64 v11, 0, v11, s[20:21]
	v_mov_b32_e32 v15, 0x78
	v_or_b32_e32 v14, 0x800000, v10
	v_cndmask_b32_e32 v48, v11, v15, vcc
	v_cndmask_b32_e32 v50, v14, v10, vcc
	v_add_u32_e32 v10, 20, v48
	v_lshlrev_b64 v[10:11], v10, -1
	v_add_u32_e32 v14, 19, v48
	v_lshlrev_b64 v[14:15], v14, 1
	v_bfi_b32 v11, v11, 0, 0
	v_bfi_b32 v10, v10, 0, v50
	v_cmp_eq_u64_e64 s[20:21], v[10:11], v[14:15]
	v_lshrrev_b64 v[10:11], v48, v[50:51]
	v_mov_b32_e32 v15, v11
	v_mov_b32_e32 v14, v10
	s_and_saveexec_b64 s[34:35], s[20:21]
; %bb.5209:                             ;   in Loop: Header=BB4_4641 Depth=2
	v_bfe_u32 v11, v10, 20, 1
	v_add_co_u32_e64 v11, s[20:21], v10, v11
	v_add_co_u32_e64 v14, s[20:21], -1, v11
; %bb.5210:                             ;   in Loop: Header=BB4_4641 Depth=2
	s_or_b64 exec, exec, s[34:35]
	v_add_u32_e32 v11, 0xffffff81, v25
	v_cndmask_b32_e32 v11, v11, v49, vcc
	v_lshrrev_b32_e32 v15, 23, v10
	v_add3_u32 v25, v48, v11, v15
	v_add_u32_e32 v15, 6, v25
	v_and_b32_e32 v11, 0xfffff, v14
	v_add_u32_e32 v50, v11, v10
	v_cmp_ne_u32_e32 vcc, 0, v15
                                        ; implicit-def: $vgpr10_vgpr11
                                        ; implicit-def: $vgpr14
	s_and_saveexec_b64 s[20:21], vcc
	s_xor_b64 s[20:21], exec, s[20:21]
; %bb.5211:                             ;   in Loop: Header=BB4_4641 Depth=2
	v_cmp_lt_u64_e32 vcc, s[74:75], v[50:51]
	v_add_u32_e32 v10, 7, v25
	v_cndmask_b32_e32 v14, v15, v10, vcc
	v_cndmask_b32_e64 v10, 0, 1, vcc
	v_lshrrev_b64 v[10:11], v10, v[50:51]
; %bb.5212:                             ;   in Loop: Header=BB4_4641 Depth=2
	s_andn2_saveexec_b64 s[20:21], s[20:21]
; %bb.5213:                             ;   in Loop: Header=BB4_4641 Depth=2
	v_mov_b32_e32 v10, v50
	v_bfe_u32 v14, v50, 23, 1
	v_mov_b32_e32 v11, v51
; %bb.5214:                             ;   in Loop: Header=BB4_4641 Depth=2
	s_or_b64 exec, exec, s[20:21]
	v_lshrrev_b64 v[10:11], 20, v[10:11]
	v_cmp_gt_i32_e32 vcc, 16, v14
	v_cndmask_b32_e32 v11, 0, v11, vcc
	v_cndmask_b32_e32 v10, 7, v10, vcc
	v_cmp_eq_u64_e64 s[20:21], 0, v[10:11]
	v_min_i32_e32 v11, 15, v14
	v_lshlrev_b32_e32 v11, 3, v11
	v_cmp_eq_u32_e32 vcc, 0, v14
	v_and_b32_e32 v11, 0xf8, v11
	v_and_or_b32 v10, v10, 7, v11
	s_and_b64 s[20:21], vcc, s[20:21]
	v_cndmask_b32_e64 v10, v10, 0, s[20:21]
	v_or_b32_e32 v25, v10, v54
.LBB4_5215:                             ;   in Loop: Header=BB4_4641 Depth=2
	s_or_b64 exec, exec, s[26:27]
                                        ; implicit-def: $vgpr54
.LBB4_5216:                             ;   in Loop: Header=BB4_4641 Depth=2
	s_andn2_saveexec_b64 s[20:21], s[24:25]
; %bb.5217:                             ;   in Loop: Header=BB4_4641 Depth=2
	v_or_b32_e32 v25, 0x7e, v54
; %bb.5218:                             ;   in Loop: Header=BB4_4641 Depth=2
	s_or_b64 exec, exec, s[20:21]
                                        ; implicit-def: $vgpr15
.LBB4_5219:                             ;   in Loop: Header=BB4_4641 Depth=2
	s_andn2_saveexec_b64 s[20:21], s[22:23]
; %bb.5220:                             ;   in Loop: Header=BB4_4641 Depth=2
	v_or_b32_sdwa v25, v15, s51 dst_sel:DWORD dst_unused:UNUSED_PAD src0_sel:BYTE_3 src1_sel:DWORD
; %bb.5221:                             ;   in Loop: Header=BB4_4641 Depth=2
	s_or_b64 exec, exec, s[20:21]
	v_bfe_u32 v11, v17, 16, 3
	v_bfe_u32 v14, v17, 16, 7
	v_cmp_eq_u32_e64 s[20:21], s51, v14
	v_cmp_gt_u32_e32 vcc, 8, v14
	v_ffbh_u32_e32 v14, v11
	v_min_u32_e32 v37, 32, v14
	v_lshrrev_b32_e32 v10, 16, v17
	v_subrev_u32_e32 v14, 28, v37
	v_lshlrev_b64 v[14:15], v14, v[10:11]
	v_bfe_u32 v36, v10, 3, 4
	v_sub_u32_e32 v15, 29, v37
	v_and_b32_e32 v14, 7, v14
	v_cndmask_b32_e32 v15, v36, v15, vcc
	v_cndmask_b32_e32 v11, v11, v14, vcc
	v_lshlrev_b32_e32 v14, 8, v17
	v_lshlrev_b32_e32 v11, 20, v11
	v_and_b32_e32 v14, 0x80000000, v14
	v_lshl_add_u32 v15, v15, 23, v62
	v_or3_b32 v14, v14, v15, v11
	v_lshrrev_b32_e32 v11, 16, v13
	v_cmp_ne_u16_sdwa s[22:23], v11, v51 src0_sel:BYTE_0 src1_sel:DWORD
	s_mov_b64 s[24:25], -1
	s_and_b64 vcc, exec, s[30:31]
                                        ; implicit-def: $vgpr15
	s_cbranch_vccz .LBB4_5235
; %bb.5222:                             ;   in Loop: Header=BB4_4641 Depth=2
	v_mov_b32_e32 v15, 0
	s_and_saveexec_b64 s[24:25], s[22:23]
	s_cbranch_execz .LBB4_5228
; %bb.5223:                             ;   in Loop: Header=BB4_4641 Depth=2
	v_cmp_ne_u16_sdwa vcc, v11, s49 src0_sel:BYTE_0 src1_sel:DWORD
	v_bfrev_b32_e32 v15, 1
	s_and_saveexec_b64 s[26:27], vcc
	s_cbranch_execz .LBB4_5227
; %bb.5224:                             ;   in Loop: Header=BB4_4641 Depth=2
	v_bfe_u32 v48, v13, 16, 7
	v_cmp_ne_u32_e32 vcc, s51, v48
	v_mov_b32_e32 v15, 0x7f800001
	s_and_saveexec_b64 s[34:35], vcc
	s_cbranch_execz .LBB4_5226
; %bb.5225:                             ;   in Loop: Header=BB4_4641 Depth=2
	v_and_b32_e32 v15, 7, v11
	v_ffbh_u32_e32 v36, v15
	v_lshrrev_b32_e32 v49, 3, v48
	v_cmp_gt_u32_e32 vcc, 8, v48
	v_min_u32_e32 v48, 32, v36
	v_subrev_u32_e32 v36, 28, v48
	v_lshlrev_b64 v[36:37], v36, v[11:12]
	v_sub_u32_e32 v37, 29, v48
	v_and_b32_e32 v36, 7, v36
	v_cndmask_b32_e32 v37, v49, v37, vcc
	v_cndmask_b32_e32 v15, v15, v36, vcc
	v_lshlrev_b32_e32 v36, 24, v11
	v_lshlrev_b32_e32 v15, 20, v15
	v_and_b32_e32 v36, 0x80000000, v36
	v_lshl_add_u32 v37, v37, 23, v62
	v_mov_b32_e32 v49, 0xffffff82
	v_or3_b32 v15, v36, v37, v15
.LBB4_5226:                             ;   in Loop: Header=BB4_4641 Depth=2
	s_or_b64 exec, exec, s[34:35]
.LBB4_5227:                             ;   in Loop: Header=BB4_4641 Depth=2
	s_or_b64 exec, exec, s[26:27]
.LBB4_5228:                             ;   in Loop: Header=BB4_4641 Depth=2
	s_or_b64 exec, exec, s[24:25]
	v_cmp_gt_i16_sdwa s[26:27], v10, s51 src0_sel:BYTE_0 src1_sel:DWORD
	s_mov_b64 s[24:25], 0
	s_and_saveexec_b64 vcc, s[26:27]
	s_xor_b64 s[26:27], exec, vcc
	s_cbranch_execz .LBB4_5341
; %bb.5229:                             ;   in Loop: Header=BB4_4641 Depth=2
	v_cmp_eq_u16_sdwa s[34:35], v10, s49 src0_sel:BYTE_0 src1_sel:DWORD
	s_mov_b64 s[24:25], -1
	s_and_saveexec_b64 vcc, s[34:35]
; %bb.5230:                             ;   in Loop: Header=BB4_4641 Depth=2
	s_xor_b64 s[24:25], exec, -1
; %bb.5231:                             ;   in Loop: Header=BB4_4641 Depth=2
	s_or_b64 exec, exec, vcc
	s_and_b64 s[24:25], s[24:25], exec
	s_or_saveexec_b64 s[26:27], s[26:27]
	v_bfrev_b32_e32 v48, 1
	s_xor_b64 exec, exec, s[26:27]
	s_cbranch_execnz .LBB4_5342
.LBB4_5232:                             ;   in Loop: Header=BB4_4641 Depth=2
	s_or_b64 exec, exec, s[26:27]
	s_and_saveexec_b64 s[26:27], s[24:25]
.LBB4_5233:                             ;   in Loop: Header=BB4_4641 Depth=2
	v_mov_b32_e32 v36, 0x7f800001
	v_cndmask_b32_e64 v48, v14, v36, s[20:21]
.LBB4_5234:                             ;   in Loop: Header=BB4_4641 Depth=2
	s_or_b64 exec, exec, s[26:27]
	v_max_f32_e32 v36, v48, v48
	v_max_f32_e32 v15, v15, v15
	;; [unrolled: 1-line block ×3, first 2 shown]
	s_mov_b64 s[24:25], 0
.LBB4_5235:                             ;   in Loop: Header=BB4_4641 Depth=2
	s_and_b64 vcc, exec, s[24:25]
	s_cbranch_vccz .LBB4_5249
; %bb.5236:                             ;   in Loop: Header=BB4_4641 Depth=2
	v_mov_b32_e32 v15, 0
	s_and_saveexec_b64 s[24:25], s[22:23]
	s_cbranch_execz .LBB4_5242
; %bb.5237:                             ;   in Loop: Header=BB4_4641 Depth=2
	v_cmp_ne_u16_sdwa s[26:27], v11, s49 src0_sel:BYTE_0 src1_sel:DWORD
	v_bfrev_b32_e32 v15, 1
	s_and_saveexec_b64 s[22:23], s[26:27]
	s_cbranch_execz .LBB4_5241
; %bb.5238:                             ;   in Loop: Header=BB4_4641 Depth=2
	v_bfe_u32 v48, v13, 16, 7
	v_cmp_ne_u32_e32 vcc, s51, v48
	v_mov_b32_e32 v15, 0x7f800001
	s_and_saveexec_b64 s[26:27], vcc
	s_cbranch_execz .LBB4_5240
; %bb.5239:                             ;   in Loop: Header=BB4_4641 Depth=2
	v_and_b32_e32 v15, 7, v11
	v_ffbh_u32_e32 v36, v15
	v_lshrrev_b32_e32 v49, 3, v48
	v_cmp_gt_u32_e32 vcc, 8, v48
	v_min_u32_e32 v48, 32, v36
	v_subrev_u32_e32 v36, 28, v48
	v_lshlrev_b64 v[36:37], v36, v[11:12]
	v_sub_u32_e32 v37, 29, v48
	v_and_b32_e32 v36, 7, v36
	v_cndmask_b32_e32 v37, v49, v37, vcc
	v_cndmask_b32_e32 v15, v15, v36, vcc
	v_lshlrev_b32_e32 v11, 24, v11
	v_lshlrev_b32_e32 v15, 20, v15
	v_and_b32_e32 v11, 0x80000000, v11
	v_lshl_add_u32 v36, v37, 23, v62
	v_mov_b32_e32 v49, 0xffffff82
	v_or3_b32 v15, v11, v36, v15
.LBB4_5240:                             ;   in Loop: Header=BB4_4641 Depth=2
	s_or_b64 exec, exec, s[26:27]
.LBB4_5241:                             ;   in Loop: Header=BB4_4641 Depth=2
	s_or_b64 exec, exec, s[22:23]
.LBB4_5242:                             ;   in Loop: Header=BB4_4641 Depth=2
	s_or_b64 exec, exec, s[24:25]
	v_cmp_gt_i16_sdwa s[24:25], v10, s51 src0_sel:BYTE_0 src1_sel:DWORD
	s_mov_b64 s[22:23], 0
	s_and_saveexec_b64 s[26:27], s[24:25]
	s_xor_b64 s[24:25], exec, s[26:27]
	s_cbranch_execz .LBB4_5343
; %bb.5243:                             ;   in Loop: Header=BB4_4641 Depth=2
	v_cmp_eq_u16_sdwa vcc, v10, s49 src0_sel:BYTE_0 src1_sel:DWORD
	s_mov_b64 s[22:23], -1
	s_and_saveexec_b64 s[26:27], vcc
; %bb.5244:                             ;   in Loop: Header=BB4_4641 Depth=2
	s_xor_b64 s[22:23], exec, -1
; %bb.5245:                             ;   in Loop: Header=BB4_4641 Depth=2
	s_or_b64 exec, exec, s[26:27]
	s_and_b64 s[22:23], s[22:23], exec
                                        ; implicit-def: $vgpr10
	s_or_saveexec_b64 s[24:25], s[24:25]
	v_bfrev_b32_e32 v11, 1
	s_xor_b64 exec, exec, s[24:25]
	s_cbranch_execnz .LBB4_5344
.LBB4_5246:                             ;   in Loop: Header=BB4_4641 Depth=2
	s_or_b64 exec, exec, s[24:25]
	s_and_saveexec_b64 s[24:25], s[22:23]
.LBB4_5247:                             ;   in Loop: Header=BB4_4641 Depth=2
	v_mov_b32_e32 v10, 0x7f800001
	v_cndmask_b32_e64 v11, v14, v10, s[20:21]
.LBB4_5248:                             ;   in Loop: Header=BB4_4641 Depth=2
	s_or_b64 exec, exec, s[24:25]
	v_max_f32_e32 v10, v11, v11
	v_max_f32_e32 v11, v15, v15
	v_min_f32_e32 v15, v11, v10
.LBB4_5249:                             ;   in Loop: Header=BB4_4641 Depth=2
	v_and_b32_e32 v50, 0x7f800000, v15
	v_cmp_ne_u64_e32 vcc, s[62:63], v[50:51]
                                        ; implicit-def: $vgpr14
	s_and_saveexec_b64 s[20:21], vcc
	s_xor_b64 s[22:23], exec, s[20:21]
	s_cbranch_execz .LBB4_5263
; %bb.5250:                             ;   in Loop: Header=BB4_4641 Depth=2
	v_and_b32_e32 v50, 0x7fffffff, v15
	v_cmp_gt_u64_e32 vcc, s[72:73], v[50:51]
	v_and_b32_sdwa v54, v15, s49 dst_sel:DWORD dst_unused:UNUSED_PAD src0_sel:BYTE_3 src1_sel:DWORD
                                        ; implicit-def: $vgpr14
	s_and_saveexec_b64 s[20:21], vcc
	s_xor_b64 s[24:25], exec, s[20:21]
	s_cbranch_execz .LBB4_5260
; %bb.5251:                             ;   in Loop: Header=BB4_4641 Depth=2
	v_mov_b32_e32 v14, 0
	v_cmp_ne_u32_e32 vcc, 0, v15
	s_and_saveexec_b64 s[26:27], vcc
	s_cbranch_execz .LBB4_5259
; %bb.5252:                             ;   in Loop: Header=BB4_4641 Depth=2
	v_bfe_u32 v48, v15, 23, 8
	v_cmp_gt_u32_e64 s[20:21], s53, v48
	v_sub_u32_e32 v11, 0x79, v48
	v_and_b32_e32 v10, 0x7fffff, v15
	v_cmp_eq_u32_e32 vcc, 0, v48
	v_cndmask_b32_e64 v11, 0, v11, s[20:21]
	v_mov_b32_e32 v15, 0x78
	v_or_b32_e32 v14, 0x800000, v10
	v_cndmask_b32_e32 v49, v11, v15, vcc
	v_cndmask_b32_e32 v50, v14, v10, vcc
	v_add_u32_e32 v10, 20, v49
	v_lshlrev_b64 v[10:11], v10, -1
	v_add_u32_e32 v14, 19, v49
	v_lshlrev_b64 v[14:15], v14, 1
	v_bfi_b32 v11, v11, 0, 0
	v_bfi_b32 v10, v10, 0, v50
	v_cmp_eq_u64_e64 s[20:21], v[10:11], v[14:15]
	v_lshrrev_b64 v[10:11], v49, v[50:51]
	v_mov_b32_e32 v36, 0xffffff82
	v_mov_b32_e32 v15, v11
	;; [unrolled: 1-line block ×3, first 2 shown]
	s_and_saveexec_b64 s[34:35], s[20:21]
; %bb.5253:                             ;   in Loop: Header=BB4_4641 Depth=2
	v_bfe_u32 v11, v10, 20, 1
	v_add_co_u32_e64 v11, s[20:21], v10, v11
	v_add_co_u32_e64 v14, s[20:21], -1, v11
; %bb.5254:                             ;   in Loop: Header=BB4_4641 Depth=2
	s_or_b64 exec, exec, s[34:35]
	v_add_u32_e32 v11, 0xffffff81, v48
	v_cndmask_b32_e32 v11, v11, v36, vcc
	v_lshrrev_b32_e32 v15, 23, v10
	v_add3_u32 v48, v49, v11, v15
	v_add_u32_e32 v15, 6, v48
	v_and_b32_e32 v11, 0xfffff, v14
	v_add_u32_e32 v50, v11, v10
	v_cmp_ne_u32_e32 vcc, 0, v15
                                        ; implicit-def: $vgpr10_vgpr11
                                        ; implicit-def: $vgpr14
	s_and_saveexec_b64 s[20:21], vcc
	s_xor_b64 s[20:21], exec, s[20:21]
; %bb.5255:                             ;   in Loop: Header=BB4_4641 Depth=2
	v_cmp_lt_u64_e32 vcc, s[74:75], v[50:51]
	v_add_u32_e32 v10, 7, v48
	v_cndmask_b32_e32 v14, v15, v10, vcc
	v_cndmask_b32_e64 v10, 0, 1, vcc
	v_lshrrev_b64 v[10:11], v10, v[50:51]
; %bb.5256:                             ;   in Loop: Header=BB4_4641 Depth=2
	s_andn2_saveexec_b64 s[20:21], s[20:21]
; %bb.5257:                             ;   in Loop: Header=BB4_4641 Depth=2
	v_mov_b32_e32 v10, v50
	v_bfe_u32 v14, v50, 23, 1
	v_mov_b32_e32 v11, v51
; %bb.5258:                             ;   in Loop: Header=BB4_4641 Depth=2
	s_or_b64 exec, exec, s[20:21]
	v_lshrrev_b64 v[10:11], 20, v[10:11]
	v_cmp_gt_i32_e32 vcc, 16, v14
	v_cndmask_b32_e32 v11, 0, v11, vcc
	v_cndmask_b32_e32 v10, 7, v10, vcc
	v_cmp_eq_u64_e64 s[20:21], 0, v[10:11]
	v_min_i32_e32 v11, 15, v14
	v_lshlrev_b32_e32 v11, 3, v11
	v_cmp_eq_u32_e32 vcc, 0, v14
	v_and_b32_e32 v11, 0xf8, v11
	v_and_or_b32 v10, v10, 7, v11
	s_and_b64 s[20:21], vcc, s[20:21]
	v_cndmask_b32_e64 v10, v10, 0, s[20:21]
	v_or_b32_e32 v14, v10, v54
	v_mov_b32_e32 v49, 0xffffff82
.LBB4_5259:                             ;   in Loop: Header=BB4_4641 Depth=2
	s_or_b64 exec, exec, s[26:27]
                                        ; implicit-def: $vgpr54
.LBB4_5260:                             ;   in Loop: Header=BB4_4641 Depth=2
	s_andn2_saveexec_b64 s[20:21], s[24:25]
; %bb.5261:                             ;   in Loop: Header=BB4_4641 Depth=2
	v_or_b32_e32 v14, 0x7e, v54
; %bb.5262:                             ;   in Loop: Header=BB4_4641 Depth=2
	s_or_b64 exec, exec, s[20:21]
                                        ; implicit-def: $vgpr15
.LBB4_5263:                             ;   in Loop: Header=BB4_4641 Depth=2
	s_andn2_saveexec_b64 s[20:21], s[22:23]
; %bb.5264:                             ;   in Loop: Header=BB4_4641 Depth=2
	v_or_b32_sdwa v14, v15, s51 dst_sel:DWORD dst_unused:UNUSED_PAD src0_sel:BYTE_3 src1_sel:DWORD
; %bb.5265:                             ;   in Loop: Header=BB4_4641 Depth=2
	s_or_b64 exec, exec, s[20:21]
	v_bfe_u32 v36, v17, 24, 3
	v_bfe_u32 v15, v17, 24, 7
	v_cmp_eq_u32_e64 s[24:25], s51, v15
	v_cmp_gt_u32_e32 vcc, 8, v15
	v_ffbh_u32_e32 v15, v36
	v_min_u32_e32 v48, 32, v15
	v_lshrrev_b32_e32 v11, 24, v17
	v_subrev_u32_e32 v15, 28, v48
	v_cmp_gt_u64_e64 s[20:21], s[56:57], v[16:17]
	v_lshlrev_b64 v[15:16], v15, v[11:12]
	v_bfe_u32 v37, v11, 3, 4
	v_cmp_eq_u32_e64 s[22:23], s49, v11
	v_sub_u32_e32 v11, 29, v48
	v_and_b32_e32 v15, 7, v15
	v_cndmask_b32_e32 v11, v37, v11, vcc
	v_cndmask_b32_e32 v15, v36, v15, vcc
	v_lshlrev_b32_e32 v15, 20, v15
	v_and_b32_e32 v16, 0x80000000, v17
	v_lshl_add_u32 v11, v11, 23, v62
	v_cmp_lt_u64_e64 s[26:27], s[76:77], v[12:13]
	v_lshrrev_b32_e32 v10, 24, v13
	v_or3_b32 v11, v16, v11, v15
	s_mov_b64 s[34:35], -1
	s_and_b64 vcc, exec, s[30:31]
                                        ; implicit-def: $vgpr12
	s_cbranch_vccz .LBB4_5273
; %bb.5266:                             ;   in Loop: Header=BB4_4641 Depth=2
	v_mov_b32_e32 v12, 0
	s_and_saveexec_b64 s[34:35], s[26:27]
	s_cbranch_execz .LBB4_5272
; %bb.5267:                             ;   in Loop: Header=BB4_4641 Depth=2
	v_cmp_ne_u32_e32 vcc, s49, v10
	v_bfrev_b32_e32 v12, 1
	s_and_saveexec_b64 s[36:37], vcc
	s_cbranch_execz .LBB4_5271
; %bb.5268:                             ;   in Loop: Header=BB4_4641 Depth=2
	v_bfe_u32 v15, v13, 24, 7
	v_cmp_ne_u32_e32 vcc, s51, v15
	v_mov_b32_e32 v12, 0x7f800001
	s_and_saveexec_b64 s[38:39], vcc
	s_cbranch_execz .LBB4_5270
; %bb.5269:                             ;   in Loop: Header=BB4_4641 Depth=2
	v_and_b32_e32 v12, 7, v10
	v_lshrrev_b32_e32 v17, 3, v15
	v_cmp_gt_u32_e32 vcc, 8, v15
	v_ffbh_u32_e32 v15, v12
	v_min_u32_e32 v36, 32, v15
	v_subrev_u32_e32 v15, 28, v36
	v_lshlrev_b64 v[15:16], v15, v[10:11]
	v_sub_u32_e32 v16, 29, v36
	v_and_b32_e32 v15, 7, v15
	v_cndmask_b32_e32 v16, v17, v16, vcc
	v_cndmask_b32_e32 v12, v12, v15, vcc
	v_lshlrev_b32_e32 v15, 24, v10
	v_lshlrev_b32_e32 v12, 20, v12
	v_and_b32_e32 v15, 0x80000000, v15
	v_lshl_add_u32 v16, v16, 23, v62
	v_or3_b32 v12, v15, v16, v12
.LBB4_5270:                             ;   in Loop: Header=BB4_4641 Depth=2
	s_or_b64 exec, exec, s[38:39]
.LBB4_5271:                             ;   in Loop: Header=BB4_4641 Depth=2
	s_or_b64 exec, exec, s[36:37]
.LBB4_5272:                             ;   in Loop: Header=BB4_4641 Depth=2
	s_or_b64 exec, exec, s[34:35]
	v_mov_b32_e32 v15, 0x7f800001
	v_cndmask_b32_e64 v15, v11, v15, s[24:25]
	v_bfrev_b32_e32 v16, 1
	v_cndmask_b32_e64 v15, v15, v16, s[22:23]
	v_cndmask_b32_e64 v15, v15, 0, s[20:21]
	v_max_f32_e32 v15, v15, v15
	v_max_f32_e32 v12, v12, v12
	;; [unrolled: 1-line block ×3, first 2 shown]
	s_mov_b64 s[34:35], 0
.LBB4_5273:                             ;   in Loop: Header=BB4_4641 Depth=2
	s_and_b64 vcc, exec, s[34:35]
	s_cbranch_vccz .LBB4_5281
; %bb.5274:                             ;   in Loop: Header=BB4_4641 Depth=2
	v_mov_b32_e32 v12, 0
	s_and_saveexec_b64 s[34:35], s[26:27]
	s_cbranch_execz .LBB4_5280
; %bb.5275:                             ;   in Loop: Header=BB4_4641 Depth=2
	v_cmp_ne_u32_e32 vcc, s49, v10
	v_bfrev_b32_e32 v12, 1
	s_and_saveexec_b64 s[26:27], vcc
	s_cbranch_execz .LBB4_5279
; %bb.5276:                             ;   in Loop: Header=BB4_4641 Depth=2
	v_bfe_u32 v13, v13, 24, 7
	v_cmp_ne_u32_e32 vcc, s51, v13
	v_mov_b32_e32 v12, 0x7f800001
	s_and_saveexec_b64 s[36:37], vcc
	s_cbranch_execz .LBB4_5278
; %bb.5277:                             ;   in Loop: Header=BB4_4641 Depth=2
	v_and_b32_e32 v15, 7, v10
	v_ffbh_u32_e32 v12, v15
	v_min_u32_e32 v17, 32, v12
	v_subrev_u32_e32 v12, 28, v17
	v_lshrrev_b32_e32 v16, 3, v13
	v_cmp_gt_u32_e32 vcc, 8, v13
	v_lshlrev_b64 v[12:13], v12, v[10:11]
	v_sub_u32_e32 v13, 29, v17
	v_and_b32_e32 v12, 7, v12
	v_cndmask_b32_e32 v13, v16, v13, vcc
	v_cndmask_b32_e32 v12, v15, v12, vcc
	v_lshlrev_b32_e32 v10, 24, v10
	v_lshlrev_b32_e32 v12, 20, v12
	v_and_b32_e32 v10, 0x80000000, v10
	v_lshl_add_u32 v13, v13, 23, v62
	v_or3_b32 v12, v10, v13, v12
.LBB4_5278:                             ;   in Loop: Header=BB4_4641 Depth=2
	s_or_b64 exec, exec, s[36:37]
.LBB4_5279:                             ;   in Loop: Header=BB4_4641 Depth=2
	s_or_b64 exec, exec, s[26:27]
.LBB4_5280:                             ;   in Loop: Header=BB4_4641 Depth=2
	s_or_b64 exec, exec, s[34:35]
	v_mov_b32_e32 v10, 0x7f800001
	v_cndmask_b32_e64 v10, v11, v10, s[24:25]
	v_bfrev_b32_e32 v11, 1
	v_cndmask_b32_e64 v10, v10, v11, s[22:23]
	v_cndmask_b32_e64 v10, v10, 0, s[20:21]
	v_max_f32_e32 v10, v10, v10
	v_max_f32_e32 v11, v12, v12
	v_min_f32_e32 v12, v11, v10
.LBB4_5281:                             ;   in Loop: Header=BB4_4641 Depth=2
	v_and_b32_e32 v50, 0x7f800000, v12
	v_cmp_ne_u64_e32 vcc, s[62:63], v[50:51]
                                        ; implicit-def: $vgpr10
	s_and_saveexec_b64 s[20:21], vcc
	s_xor_b64 s[22:23], exec, s[20:21]
	s_cbranch_execz .LBB4_5295
; %bb.5282:                             ;   in Loop: Header=BB4_4641 Depth=2
	v_and_b32_e32 v50, 0x7fffffff, v12
	v_cmp_gt_u64_e32 vcc, s[72:73], v[50:51]
	v_and_b32_sdwa v13, v12, s49 dst_sel:DWORD dst_unused:UNUSED_PAD src0_sel:BYTE_3 src1_sel:DWORD
                                        ; implicit-def: $vgpr10
	s_and_saveexec_b64 s[20:21], vcc
	s_xor_b64 s[24:25], exec, s[20:21]
	s_cbranch_execz .LBB4_5292
; %bb.5283:                             ;   in Loop: Header=BB4_4641 Depth=2
	v_mov_b32_e32 v10, 0
	v_cmp_ne_u32_e32 vcc, 0, v12
	s_and_saveexec_b64 s[26:27], vcc
	s_cbranch_execz .LBB4_5291
; %bb.5284:                             ;   in Loop: Header=BB4_4641 Depth=2
	v_bfe_u32 v15, v12, 23, 8
	v_cmp_gt_u32_e64 s[20:21], s53, v15
	v_sub_u32_e32 v11, 0x79, v15
	v_and_b32_e32 v10, 0x7fffff, v12
	v_cmp_eq_u32_e32 vcc, 0, v15
	v_cndmask_b32_e64 v11, 0, v11, s[20:21]
	v_mov_b32_e32 v16, 0x78
	v_or_b32_e32 v12, 0x800000, v10
	v_cndmask_b32_e32 v16, v11, v16, vcc
	v_cndmask_b32_e32 v50, v12, v10, vcc
	v_add_u32_e32 v10, 20, v16
	v_lshlrev_b64 v[10:11], v10, -1
	v_add_u32_e32 v12, 19, v16
	v_lshlrev_b64 v[36:37], v12, 1
	v_bfi_b32 v11, v11, 0, 0
	v_bfi_b32 v10, v10, 0, v50
	v_cmp_eq_u64_e64 s[20:21], v[10:11], v[36:37]
	v_lshrrev_b64 v[10:11], v16, v[50:51]
	v_mov_b32_e32 v12, v11
	v_mov_b32_e32 v11, v10
	s_and_saveexec_b64 s[34:35], s[20:21]
; %bb.5285:                             ;   in Loop: Header=BB4_4641 Depth=2
	v_bfe_u32 v11, v10, 20, 1
	v_add_co_u32_e64 v11, s[20:21], v10, v11
	v_add_co_u32_e64 v11, s[20:21], -1, v11
; %bb.5286:                             ;   in Loop: Header=BB4_4641 Depth=2
	s_or_b64 exec, exec, s[34:35]
	v_add_u32_e32 v12, 0xffffff81, v15
	v_cndmask_b32_e32 v12, v12, v49, vcc
	v_lshrrev_b32_e32 v15, 23, v10
	v_add3_u32 v16, v16, v12, v15
	v_add_u32_e32 v15, 6, v16
	v_and_b32_e32 v11, 0xfffff, v11
	v_add_u32_e32 v50, v11, v10
	v_cmp_ne_u32_e32 vcc, 0, v15
                                        ; implicit-def: $vgpr10_vgpr11
                                        ; implicit-def: $vgpr12
	s_and_saveexec_b64 s[20:21], vcc
	s_xor_b64 s[20:21], exec, s[20:21]
; %bb.5287:                             ;   in Loop: Header=BB4_4641 Depth=2
	v_cmp_lt_u64_e32 vcc, s[74:75], v[50:51]
	v_add_u32_e32 v10, 7, v16
	v_cndmask_b32_e32 v12, v15, v10, vcc
	v_cndmask_b32_e64 v10, 0, 1, vcc
	v_lshrrev_b64 v[10:11], v10, v[50:51]
; %bb.5288:                             ;   in Loop: Header=BB4_4641 Depth=2
	s_andn2_saveexec_b64 s[20:21], s[20:21]
; %bb.5289:                             ;   in Loop: Header=BB4_4641 Depth=2
	v_mov_b32_e32 v10, v50
	v_bfe_u32 v12, v50, 23, 1
	v_mov_b32_e32 v11, v51
; %bb.5290:                             ;   in Loop: Header=BB4_4641 Depth=2
	s_or_b64 exec, exec, s[20:21]
	v_lshrrev_b64 v[10:11], 20, v[10:11]
	v_cmp_gt_i32_e32 vcc, 16, v12
	v_cndmask_b32_e32 v11, 0, v11, vcc
	v_cndmask_b32_e32 v10, 7, v10, vcc
	v_cmp_eq_u64_e64 s[20:21], 0, v[10:11]
	v_min_i32_e32 v11, 15, v12
	v_lshlrev_b32_e32 v11, 3, v11
	v_cmp_eq_u32_e32 vcc, 0, v12
	v_and_b32_e32 v11, 0xf8, v11
	v_and_or_b32 v10, v10, 7, v11
	s_and_b64 s[20:21], vcc, s[20:21]
	v_cndmask_b32_e64 v10, v10, 0, s[20:21]
	v_or_b32_e32 v10, v10, v13
.LBB4_5291:                             ;   in Loop: Header=BB4_4641 Depth=2
	s_or_b64 exec, exec, s[26:27]
                                        ; implicit-def: $vgpr13
.LBB4_5292:                             ;   in Loop: Header=BB4_4641 Depth=2
	s_andn2_saveexec_b64 s[20:21], s[24:25]
; %bb.5293:                             ;   in Loop: Header=BB4_4641 Depth=2
	v_or_b32_e32 v10, 0x7e, v13
; %bb.5294:                             ;   in Loop: Header=BB4_4641 Depth=2
	s_or_b64 exec, exec, s[20:21]
                                        ; implicit-def: $vgpr12
.LBB4_5295:                             ;   in Loop: Header=BB4_4641 Depth=2
	s_andn2_saveexec_b64 s[20:21], s[22:23]
	s_cbranch_execz .LBB4_4640
; %bb.5296:                             ;   in Loop: Header=BB4_4641 Depth=2
	v_or_b32_sdwa v10, v12, s51 dst_sel:DWORD dst_unused:UNUSED_PAD src0_sel:BYTE_3 src1_sel:DWORD
	s_branch .LBB4_4640
.LBB4_5297:                             ;   in Loop: Header=BB4_4641 Depth=2
	s_or_saveexec_b64 s[26:27], s[26:27]
	v_bfrev_b32_e32 v25, 1
	s_xor_b64 exec, exec, s[26:27]
	s_cbranch_execz .LBB4_4652
.LBB4_5298:                             ;   in Loop: Header=BB4_4641 Depth=2
	v_cmp_ne_u16_sdwa vcc, v14, v51 src0_sel:BYTE_0 src1_sel:DWORD
	s_andn2_b64 s[24:25], s[24:25], exec
	s_and_b64 vcc, vcc, exec
	v_mov_b32_e32 v25, 0
	s_or_b64 s[24:25], s[24:25], vcc
	s_or_b64 exec, exec, s[26:27]
	s_and_saveexec_b64 s[26:27], s[24:25]
	s_cbranch_execnz .LBB4_4653
	s_branch .LBB4_4654
.LBB4_5299:                             ;   in Loop: Header=BB4_4641 Depth=2
	s_or_saveexec_b64 s[24:25], s[24:25]
	v_bfrev_b32_e32 v25, 1
	s_xor_b64 exec, exec, s[24:25]
	s_cbranch_execz .LBB4_4666
.LBB4_5300:                             ;   in Loop: Header=BB4_4641 Depth=2
	v_cmp_ne_u16_sdwa s[26:27], v14, v51 src0_sel:BYTE_0 src1_sel:DWORD
	s_andn2_b64 s[22:23], s[22:23], exec
	s_and_b64 s[26:27], s[26:27], exec
	v_mov_b32_e32 v25, 0
	s_or_b64 s[22:23], s[22:23], s[26:27]
	s_or_b64 exec, exec, s[24:25]
	s_and_saveexec_b64 s[24:25], s[22:23]
	s_cbranch_execnz .LBB4_4667
	s_branch .LBB4_4668
.LBB4_5301:                             ;   in Loop: Header=BB4_4641 Depth=2
	s_or_saveexec_b64 s[26:27], s[26:27]
	v_bfrev_b32_e32 v26, 1
	s_xor_b64 exec, exec, s[26:27]
	s_cbranch_execz .LBB4_4696
.LBB4_5302:                             ;   in Loop: Header=BB4_4641 Depth=2
	v_cmp_ne_u16_e32 vcc, 0, v50
	s_andn2_b64 s[24:25], s[24:25], exec
	s_and_b64 vcc, vcc, exec
	v_mov_b32_e32 v26, 0
	s_or_b64 s[24:25], s[24:25], vcc
	s_or_b64 exec, exec, s[26:27]
	s_and_saveexec_b64 s[26:27], s[24:25]
	s_cbranch_execnz .LBB4_4697
	s_branch .LBB4_4698
.LBB4_5303:                             ;   in Loop: Header=BB4_4641 Depth=2
	s_or_saveexec_b64 s[24:25], s[24:25]
	v_bfrev_b32_e32 v24, 1
	s_xor_b64 exec, exec, s[24:25]
	s_cbranch_execz .LBB4_4710
.LBB4_5304:                             ;   in Loop: Header=BB4_4641 Depth=2
	v_cmp_ne_u16_e32 vcc, 0, v50
	s_andn2_b64 s[22:23], s[22:23], exec
	s_and_b64 s[26:27], vcc, exec
	v_mov_b32_e32 v24, 0
	s_or_b64 s[22:23], s[22:23], s[26:27]
	s_or_b64 exec, exec, s[24:25]
	s_and_saveexec_b64 s[24:25], s[22:23]
	s_cbranch_execnz .LBB4_4711
	s_branch .LBB4_4712
.LBB4_5305:                             ;   in Loop: Header=BB4_4641 Depth=2
	s_or_saveexec_b64 s[26:27], s[26:27]
	v_bfrev_b32_e32 v27, 1
	s_xor_b64 exec, exec, s[26:27]
	s_cbranch_execz .LBB4_4740
.LBB4_5306:                             ;   in Loop: Header=BB4_4641 Depth=2
	v_cmp_ne_u16_sdwa vcc, v24, v51 src0_sel:BYTE_0 src1_sel:DWORD
	s_andn2_b64 s[24:25], s[24:25], exec
	s_and_b64 vcc, vcc, exec
	v_mov_b32_e32 v27, 0
	s_or_b64 s[24:25], s[24:25], vcc
	s_or_b64 exec, exec, s[26:27]
	s_and_saveexec_b64 s[26:27], s[24:25]
	s_cbranch_execnz .LBB4_4741
	s_branch .LBB4_4742
.LBB4_5307:                             ;   in Loop: Header=BB4_4641 Depth=2
	s_or_saveexec_b64 s[24:25], s[24:25]
	v_bfrev_b32_e32 v25, 1
	s_xor_b64 exec, exec, s[24:25]
	s_cbranch_execz .LBB4_4754
.LBB4_5308:                             ;   in Loop: Header=BB4_4641 Depth=2
	v_cmp_ne_u16_sdwa s[26:27], v24, v51 src0_sel:BYTE_0 src1_sel:DWORD
	s_andn2_b64 s[22:23], s[22:23], exec
	s_and_b64 s[26:27], s[26:27], exec
	v_mov_b32_e32 v25, 0
	s_or_b64 s[22:23], s[22:23], s[26:27]
	s_or_b64 exec, exec, s[24:25]
	s_and_saveexec_b64 s[24:25], s[22:23]
	s_cbranch_execnz .LBB4_4755
	s_branch .LBB4_4756
.LBB4_5309:                             ;   in Loop: Header=BB4_4641 Depth=2
	s_or_saveexec_b64 s[26:27], s[26:27]
	v_bfrev_b32_e32 v31, 1
	s_xor_b64 exec, exec, s[26:27]
	s_cbranch_execz .LBB4_4816
.LBB4_5310:                             ;   in Loop: Header=BB4_4641 Depth=2
	v_cmp_ne_u16_sdwa vcc, v15, v51 src0_sel:BYTE_0 src1_sel:DWORD
	s_andn2_b64 s[24:25], s[24:25], exec
	s_and_b64 vcc, vcc, exec
	v_mov_b32_e32 v31, 0
	s_or_b64 s[24:25], s[24:25], vcc
	s_or_b64 exec, exec, s[26:27]
	s_and_saveexec_b64 s[26:27], s[24:25]
	s_cbranch_execnz .LBB4_4817
	s_branch .LBB4_4818
.LBB4_5311:                             ;   in Loop: Header=BB4_4641 Depth=2
	s_or_saveexec_b64 s[24:25], s[24:25]
	v_bfrev_b32_e32 v25, 1
	s_xor_b64 exec, exec, s[24:25]
	s_cbranch_execz .LBB4_4830
.LBB4_5312:                             ;   in Loop: Header=BB4_4641 Depth=2
	v_cmp_ne_u16_sdwa s[26:27], v15, v51 src0_sel:BYTE_0 src1_sel:DWORD
	s_andn2_b64 s[22:23], s[22:23], exec
	s_and_b64 s[26:27], s[26:27], exec
	v_mov_b32_e32 v25, 0
	s_or_b64 s[22:23], s[22:23], s[26:27]
	s_or_b64 exec, exec, s[24:25]
	s_and_saveexec_b64 s[24:25], s[22:23]
	s_cbranch_execnz .LBB4_4831
	s_branch .LBB4_4832
.LBB4_5313:                             ;   in Loop: Header=BB4_4641 Depth=2
	s_or_saveexec_b64 s[26:27], s[26:27]
	v_bfrev_b32_e32 v31, 1
	s_xor_b64 exec, exec, s[26:27]
	s_cbranch_execz .LBB4_4860
.LBB4_5314:                             ;   in Loop: Header=BB4_4641 Depth=2
	v_cmp_ne_u16_e32 vcc, 0, v50
	s_andn2_b64 s[24:25], s[24:25], exec
	s_and_b64 vcc, vcc, exec
	v_mov_b32_e32 v31, 0
	s_or_b64 s[24:25], s[24:25], vcc
	s_or_b64 exec, exec, s[26:27]
	s_and_saveexec_b64 s[26:27], s[24:25]
	s_cbranch_execnz .LBB4_4861
	s_branch .LBB4_4862
.LBB4_5315:                             ;   in Loop: Header=BB4_4641 Depth=2
	s_or_saveexec_b64 s[24:25], s[24:25]
	v_bfrev_b32_e32 v24, 1
	s_xor_b64 exec, exec, s[24:25]
	s_cbranch_execz .LBB4_4874
.LBB4_5316:                             ;   in Loop: Header=BB4_4641 Depth=2
	v_cmp_ne_u16_e32 vcc, 0, v50
	s_andn2_b64 s[22:23], s[22:23], exec
	s_and_b64 s[26:27], vcc, exec
	v_mov_b32_e32 v24, 0
	s_or_b64 s[22:23], s[22:23], s[26:27]
	s_or_b64 exec, exec, s[24:25]
	s_and_saveexec_b64 s[24:25], s[22:23]
	s_cbranch_execnz .LBB4_4875
	s_branch .LBB4_4876
.LBB4_5317:                             ;   in Loop: Header=BB4_4641 Depth=2
	s_or_saveexec_b64 s[26:27], s[26:27]
	v_bfrev_b32_e32 v31, 1
	s_xor_b64 exec, exec, s[26:27]
	s_cbranch_execz .LBB4_4904
.LBB4_5318:                             ;   in Loop: Header=BB4_4641 Depth=2
	v_cmp_ne_u16_sdwa vcc, v24, v51 src0_sel:BYTE_0 src1_sel:DWORD
	s_andn2_b64 s[24:25], s[24:25], exec
	s_and_b64 vcc, vcc, exec
	v_mov_b32_e32 v31, 0
	s_or_b64 s[24:25], s[24:25], vcc
	s_or_b64 exec, exec, s[26:27]
	s_and_saveexec_b64 s[26:27], s[24:25]
	s_cbranch_execnz .LBB4_4905
	s_branch .LBB4_4906
.LBB4_5319:                             ;   in Loop: Header=BB4_4641 Depth=2
	s_or_saveexec_b64 s[24:25], s[24:25]
	v_bfrev_b32_e32 v25, 1
	s_xor_b64 exec, exec, s[24:25]
	s_cbranch_execz .LBB4_4918
.LBB4_5320:                             ;   in Loop: Header=BB4_4641 Depth=2
	v_cmp_ne_u16_sdwa s[26:27], v24, v51 src0_sel:BYTE_0 src1_sel:DWORD
	s_andn2_b64 s[22:23], s[22:23], exec
	s_and_b64 s[26:27], s[26:27], exec
	v_mov_b32_e32 v25, 0
	s_or_b64 s[22:23], s[22:23], s[26:27]
	s_or_b64 exec, exec, s[24:25]
	s_and_saveexec_b64 s[24:25], s[22:23]
	s_cbranch_execnz .LBB4_4919
	s_branch .LBB4_4920
.LBB4_5321:                             ;   in Loop: Header=BB4_4641 Depth=2
	s_or_saveexec_b64 s[26:27], s[26:27]
	v_bfrev_b32_e32 v11, 1
	s_xor_b64 exec, exec, s[26:27]
	s_cbranch_execz .LBB4_4980
.LBB4_5322:                             ;   in Loop: Header=BB4_4641 Depth=2
	v_cmp_ne_u16_sdwa vcc, v16, v51 src0_sel:BYTE_0 src1_sel:DWORD
	s_andn2_b64 s[24:25], s[24:25], exec
	s_and_b64 vcc, vcc, exec
	v_mov_b32_e32 v11, 0
	s_or_b64 s[24:25], s[24:25], vcc
	s_or_b64 exec, exec, s[26:27]
	s_and_saveexec_b64 s[26:27], s[24:25]
	s_cbranch_execnz .LBB4_4981
	s_branch .LBB4_4982
.LBB4_5323:                             ;   in Loop: Header=BB4_4641 Depth=2
	s_or_saveexec_b64 s[24:25], s[24:25]
	v_bfrev_b32_e32 v11, 1
	s_xor_b64 exec, exec, s[24:25]
	s_cbranch_execz .LBB4_4994
.LBB4_5324:                             ;   in Loop: Header=BB4_4641 Depth=2
	v_cmp_ne_u16_sdwa s[26:27], v16, v51 src0_sel:BYTE_0 src1_sel:DWORD
	s_andn2_b64 s[22:23], s[22:23], exec
	s_and_b64 s[26:27], s[26:27], exec
	v_mov_b32_e32 v11, 0
	s_or_b64 s[22:23], s[22:23], s[26:27]
	s_or_b64 exec, exec, s[24:25]
	s_and_saveexec_b64 s[24:25], s[22:23]
	s_cbranch_execnz .LBB4_4995
	s_branch .LBB4_4996
.LBB4_5325:                             ;   in Loop: Header=BB4_4641 Depth=2
	s_or_saveexec_b64 s[26:27], s[26:27]
	v_bfrev_b32_e32 v14, 1
	s_xor_b64 exec, exec, s[26:27]
	s_cbranch_execz .LBB4_5024
.LBB4_5326:                             ;   in Loop: Header=BB4_4641 Depth=2
	v_cmp_ne_u16_e32 vcc, 0, v50
	s_andn2_b64 s[24:25], s[24:25], exec
	s_and_b64 vcc, vcc, exec
	v_mov_b32_e32 v14, 0
	s_or_b64 s[24:25], s[24:25], vcc
	s_or_b64 exec, exec, s[26:27]
	s_and_saveexec_b64 s[26:27], s[24:25]
	s_cbranch_execnz .LBB4_5025
	s_branch .LBB4_5026
.LBB4_5327:                             ;   in Loop: Header=BB4_4641 Depth=2
	s_or_saveexec_b64 s[24:25], s[24:25]
	v_bfrev_b32_e32 v10, 1
	s_xor_b64 exec, exec, s[24:25]
	s_cbranch_execz .LBB4_5038
.LBB4_5328:                             ;   in Loop: Header=BB4_4641 Depth=2
	v_cmp_ne_u16_e32 vcc, 0, v50
	s_andn2_b64 s[22:23], s[22:23], exec
	s_and_b64 s[26:27], vcc, exec
	v_mov_b32_e32 v10, 0
	s_or_b64 s[22:23], s[22:23], s[26:27]
	s_or_b64 exec, exec, s[24:25]
	s_and_saveexec_b64 s[24:25], s[22:23]
	s_cbranch_execnz .LBB4_5039
	s_branch .LBB4_5040
.LBB4_5329:                             ;   in Loop: Header=BB4_4641 Depth=2
	s_or_saveexec_b64 s[26:27], s[26:27]
	v_bfrev_b32_e32 v24, 1
	s_xor_b64 exec, exec, s[26:27]
	s_cbranch_execz .LBB4_5068
.LBB4_5330:                             ;   in Loop: Header=BB4_4641 Depth=2
	v_cmp_ne_u16_sdwa vcc, v10, v51 src0_sel:BYTE_0 src1_sel:DWORD
	s_andn2_b64 s[24:25], s[24:25], exec
	s_and_b64 vcc, vcc, exec
	v_mov_b32_e32 v24, 0
	s_or_b64 s[24:25], s[24:25], vcc
	s_or_b64 exec, exec, s[26:27]
	s_and_saveexec_b64 s[26:27], s[24:25]
	s_cbranch_execnz .LBB4_5069
	s_branch .LBB4_5070
.LBB4_5331:                             ;   in Loop: Header=BB4_4641 Depth=2
	s_or_saveexec_b64 s[24:25], s[24:25]
	v_bfrev_b32_e32 v11, 1
	s_xor_b64 exec, exec, s[24:25]
	s_cbranch_execz .LBB4_5082
.LBB4_5332:                             ;   in Loop: Header=BB4_4641 Depth=2
	v_cmp_ne_u16_sdwa s[26:27], v10, v51 src0_sel:BYTE_0 src1_sel:DWORD
	s_andn2_b64 s[22:23], s[22:23], exec
	s_and_b64 s[26:27], s[26:27], exec
	v_mov_b32_e32 v11, 0
	s_or_b64 s[22:23], s[22:23], s[26:27]
	s_or_b64 exec, exec, s[24:25]
	s_and_saveexec_b64 s[24:25], s[22:23]
	s_cbranch_execnz .LBB4_5083
	s_branch .LBB4_5084
.LBB4_5333:                             ;   in Loop: Header=BB4_4641 Depth=2
	s_or_saveexec_b64 s[26:27], s[26:27]
	v_bfrev_b32_e32 v15, 1
	s_xor_b64 exec, exec, s[26:27]
	s_cbranch_execz .LBB4_5144
.LBB4_5334:                             ;   in Loop: Header=BB4_4641 Depth=2
	v_cmp_ne_u16_sdwa vcc, v17, v51 src0_sel:BYTE_0 src1_sel:DWORD
	s_andn2_b64 s[24:25], s[24:25], exec
	s_and_b64 vcc, vcc, exec
	v_mov_b32_e32 v15, 0
	s_or_b64 s[24:25], s[24:25], vcc
	s_or_b64 exec, exec, s[26:27]
	s_and_saveexec_b64 s[26:27], s[24:25]
	s_cbranch_execnz .LBB4_5145
	s_branch .LBB4_5146
.LBB4_5335:                             ;   in Loop: Header=BB4_4641 Depth=2
	s_or_saveexec_b64 s[24:25], s[24:25]
	v_bfrev_b32_e32 v15, 1
	s_xor_b64 exec, exec, s[24:25]
	s_cbranch_execz .LBB4_5158
.LBB4_5336:                             ;   in Loop: Header=BB4_4641 Depth=2
	v_cmp_ne_u16_sdwa s[26:27], v17, v51 src0_sel:BYTE_0 src1_sel:DWORD
	s_andn2_b64 s[22:23], s[22:23], exec
	s_and_b64 s[26:27], s[26:27], exec
	v_mov_b32_e32 v15, 0
	s_or_b64 s[22:23], s[22:23], s[26:27]
	s_or_b64 exec, exec, s[24:25]
	s_and_saveexec_b64 s[24:25], s[22:23]
	s_cbranch_execnz .LBB4_5159
	s_branch .LBB4_5160
.LBB4_5337:                             ;   in Loop: Header=BB4_4641 Depth=2
	s_or_saveexec_b64 s[26:27], s[26:27]
	v_bfrev_b32_e32 v25, 1
	s_xor_b64 exec, exec, s[26:27]
	s_cbranch_execz .LBB4_5188
.LBB4_5338:                             ;   in Loop: Header=BB4_4641 Depth=2
	v_cmp_ne_u16_e32 vcc, 0, v10
	s_andn2_b64 s[24:25], s[24:25], exec
	s_and_b64 vcc, vcc, exec
	v_mov_b32_e32 v25, 0
	s_or_b64 s[24:25], s[24:25], vcc
	s_or_b64 exec, exec, s[26:27]
	s_and_saveexec_b64 s[26:27], s[24:25]
	s_cbranch_execnz .LBB4_5189
	s_branch .LBB4_5190
.LBB4_5339:                             ;   in Loop: Header=BB4_4641 Depth=2
	s_or_saveexec_b64 s[24:25], s[24:25]
	v_bfrev_b32_e32 v14, 1
	s_xor_b64 exec, exec, s[24:25]
	s_cbranch_execz .LBB4_5202
.LBB4_5340:                             ;   in Loop: Header=BB4_4641 Depth=2
	v_cmp_ne_u16_e32 vcc, 0, v10
	s_andn2_b64 s[22:23], s[22:23], exec
	s_and_b64 s[26:27], vcc, exec
	v_mov_b32_e32 v14, 0
	s_or_b64 s[22:23], s[22:23], s[26:27]
	s_or_b64 exec, exec, s[24:25]
	s_and_saveexec_b64 s[24:25], s[22:23]
	s_cbranch_execnz .LBB4_5203
	s_branch .LBB4_5204
.LBB4_5341:                             ;   in Loop: Header=BB4_4641 Depth=2
	s_or_saveexec_b64 s[26:27], s[26:27]
	v_bfrev_b32_e32 v48, 1
	s_xor_b64 exec, exec, s[26:27]
	s_cbranch_execz .LBB4_5232
.LBB4_5342:                             ;   in Loop: Header=BB4_4641 Depth=2
	v_cmp_ne_u16_sdwa vcc, v10, v51 src0_sel:BYTE_0 src1_sel:DWORD
	s_andn2_b64 s[24:25], s[24:25], exec
	s_and_b64 vcc, vcc, exec
	v_mov_b32_e32 v48, 0
	s_or_b64 s[24:25], s[24:25], vcc
	s_or_b64 exec, exec, s[26:27]
	s_and_saveexec_b64 s[26:27], s[24:25]
	s_cbranch_execnz .LBB4_5233
	s_branch .LBB4_5234
.LBB4_5343:                             ;   in Loop: Header=BB4_4641 Depth=2
	s_or_saveexec_b64 s[24:25], s[24:25]
	v_bfrev_b32_e32 v11, 1
	s_xor_b64 exec, exec, s[24:25]
	s_cbranch_execz .LBB4_5246
.LBB4_5344:                             ;   in Loop: Header=BB4_4641 Depth=2
	v_cmp_ne_u16_sdwa s[26:27], v10, v51 src0_sel:BYTE_0 src1_sel:DWORD
	s_andn2_b64 s[22:23], s[22:23], exec
	s_and_b64 s[26:27], s[26:27], exec
	v_mov_b32_e32 v11, 0
	s_or_b64 s[22:23], s[22:23], s[26:27]
	s_or_b64 exec, exec, s[24:25]
	s_and_saveexec_b64 s[24:25], s[22:23]
	s_cbranch_execnz .LBB4_5247
	s_branch .LBB4_5248
.LBB4_5345:                             ;   in Loop: Header=BB4_3153 Depth=1
	s_or_b64 exec, exec, s[94:95]
.LBB4_5346:                             ;   in Loop: Header=BB4_3153 Depth=1
	s_or_b64 exec, exec, s[92:93]
	buffer_load_dword v10, off, s[0:3], s33 offset:144 ; 4-byte Folded Reload
	v_cmp_lt_i32_e32 vcc, 0, v29
	s_waitcnt vmcnt(0)
	v_and_b32_e32 v0, 15, v10
	v_cndmask_b32_e64 v2, v2, v0, s[18:19]
	buffer_load_dword v0, off, s[0:3], s33 offset:76 ; 4-byte Folded Reload
	v_and_b32_e32 v1, 0x3f0, v10
	v_cndmask_b32_e64 v1, 0, v1, s[18:19]
	v_and_or_b32 v4, v10, s55, v1
	s_waitcnt vmcnt(0)
	v_cndmask_b32_e32 v0, 0, v0, vcc
	v_sub_u32_e32 v0, v0, v29
	v_cmp_ne_u32_e32 vcc, 0, v2
	v_lshl_add_u32 v5, v0, 6, v3
	s_and_b64 s[18:19], vcc, exec
.LBB4_5347:                             ;   in Loop: Header=BB4_3153 Depth=1
	s_or_b64 exec, exec, s[90:91]
	s_and_saveexec_b64 s[24:25], s[18:19]
	s_cbranch_execz .LBB4_6172
.LBB4_5348:                             ;   in Loop: Header=BB4_3153 Depth=1
	s_waitcnt vmcnt(1)
	v_ashrrev_i32_e32 v0, 31, v5
	v_lshrrev_b32_e32 v0, 26, v0
	v_add_u32_e32 v0, v5, v0
	v_ashrrev_i32_e32 v3, 6, v0
	v_lshrrev_b32_e32 v1, 10, v2
	v_sub_u32_e32 v20, v1, v3
	v_cmp_lt_i32_e32 vcc, 0, v20
	s_and_saveexec_b64 s[22:23], vcc
	s_cbranch_execz .LBB4_6120
; %bb.5349:                             ;   in Loop: Header=BB4_3153 Depth=1
	v_and_b32_e32 v0, 0xffffffc0, v0
	v_sub_u32_e32 v0, v5, v0
	v_lshlrev_b32_e32 v1, 10, v3
	buffer_store_dword v3, off, s[0:3], s33 offset:88 ; 4-byte Folded Spill
	v_add3_u32 v3, v4, v0, v1
	s_trap 2
	ds_read_b64 v[0:1], v0
	buffer_load_dword v10, off, s[0:3], s33 offset:164 ; 4-byte Folded Reload
	buffer_load_dword v11, off, s[0:3], s33 offset:168 ; 4-byte Folded Reload
	v_ashrrev_i32_e32 v15, 31, v3
	s_bitcmp1_b32 s64, 0
	s_cselect_b64 s[26:27], -1, 0
	s_mov_b64 s[90:91], 0
	s_waitcnt vmcnt(1)
	v_add_co_u32_e32 v10, vcc, v3, v10
	s_waitcnt vmcnt(0)
	v_addc_co_u32_e32 v11, vcc, v15, v11, vcc
	s_waitcnt lgkmcnt(0)
	v_add_co_u32_e32 v12, vcc, v0, v3
	v_addc_co_u32_e32 v13, vcc, v1, v15, vcc
	v_add_co_u32_e32 v0, vcc, 0x3c0, v56
	v_addc_co_u32_e32 v1, vcc, 0, v57, vcc
	;; [unrolled: 2-line block ×3, first 2 shown]
	s_branch .LBB4_5351
.LBB4_5350:                             ;   in Loop: Header=BB4_5351 Depth=2
	s_or_b64 exec, exec, s[18:19]
	v_add_co_u32_e32 v21, vcc, 0xfffffc40, v14
	v_addc_co_u32_e32 v22, vcc, -1, v15, vcc
	flat_store_byte v[21:22], v3 glc slc
	v_add_co_u32_e32 v21, vcc, 0xfffffc80, v14
	v_addc_co_u32_e32 v22, vcc, -1, v15, vcc
	flat_store_byte v[21:22], v29 glc slc
	;; [unrolled: 3-line block ×13, first 2 shown]
	v_add_co_u32_e32 v21, vcc, 0xffffff80, v14
	v_addc_co_u32_e32 v22, vcc, -1, v15, vcc
	v_add_co_u32_e32 v18, vcc, s54, v14
	flat_store_byte v[21:22], v19 glc slc
	v_addc_co_u32_e32 v19, vcc, -1, v15, vcc
	flat_store_byte v[18:19], v0 glc slc
	flat_store_byte v[14:15], v17 glc slc
	buffer_load_dword v1, off, s[0:3], s33 offset:100 ; 4-byte Folded Reload
	s_nop 0
	buffer_load_dword v0, off, s[0:3], s33 offset:76 ; 4-byte Folded Reload
	s_waitcnt vmcnt(0)
	v_add_co_u32_e32 v10, vcc, v10, v1
	v_addc_co_u32_e32 v11, vcc, 0, v11, vcc
	v_add_co_u32_e32 v12, vcc, v12, v1
	v_addc_co_u32_e32 v13, vcc, 0, v13, vcc
	v_sub_u32_e32 v20, v20, v0
	v_cmp_gt_i32_e32 vcc, 1, v20
	s_or_b64 s[90:91], vcc, s[90:91]
	v_add_co_u32_e32 v14, vcc, v14, v1
	v_addc_co_u32_e32 v15, vcc, 0, v15, vcc
	s_andn2_b64 exec, exec, s[90:91]
	s_cbranch_execz .LBB4_6119
.LBB4_5351:                             ;   Parent Loop BB4_3153 Depth=1
                                        ; =>  This Inner Loop Header: Depth=2
	flat_load_ubyte v18, v[10:11] glc slc
	flat_load_ubyte v0, v[10:11] offset:64 glc slc
	flat_load_ubyte v19, v[10:11] offset:128 glc slc
	;; [unrolled: 1-line block ×15, first 2 shown]
	flat_load_ubyte v17, v[12:13] glc slc
	flat_load_ubyte v29, v[12:13] offset:64 glc slc
	flat_load_ubyte v35, v[12:13] offset:128 glc slc
	;; [unrolled: 1-line block ×15, first 2 shown]
	s_mov_b64 s[20:21], -1
	s_and_b64 vcc, exec, s[26:27]
                                        ; implicit-def: $vgpr16
	s_waitcnt vmcnt(0) lgkmcnt(0)
	v_cmp_ne_u16_e64 s[18:19], 0, v18
	s_cbranch_vccz .LBB4_5365
; %bb.5352:                             ;   in Loop: Header=BB4_5351 Depth=2
	v_mov_b32_e32 v3, 0
	v_mov_b32_e32 v23, 0
	s_and_saveexec_b64 s[20:21], s[18:19]
	s_cbranch_execz .LBB4_5358
; %bb.5353:                             ;   in Loop: Header=BB4_5351 Depth=2
	v_cmp_ne_u16_e32 vcc, s49, v18
	v_bfrev_b32_e32 v23, 1
	s_and_saveexec_b64 s[92:93], vcc
	s_cbranch_execz .LBB4_5357
; %bb.5354:                             ;   in Loop: Header=BB4_5351 Depth=2
	v_and_b32_e32 v16, 0xffff, v18
	v_and_b32_e32 v48, 0x7f, v16
	v_cmp_ne_u32_e32 vcc, s51, v48
	v_mov_b32_e32 v23, 0x7f800001
	s_and_saveexec_b64 s[94:95], vcc
	s_cbranch_execz .LBB4_5356
; %bb.5355:                             ;   in Loop: Header=BB4_5351 Depth=2
	v_and_b32_e32 v23, 7, v16
	v_ffbh_u32_e32 v36, v23
	v_lshrrev_b32_e32 v49, 3, v48
	v_cmp_gt_u32_e32 vcc, 8, v48
	v_min_u32_e32 v48, 32, v36
	v_subrev_u32_e32 v36, 28, v48
	v_lshlrev_b64 v[36:37], v36, v[16:17]
	v_sub_u32_e32 v16, 29, v48
	v_and_b32_e32 v36, 7, v36
	v_cndmask_b32_e32 v16, v49, v16, vcc
	v_cndmask_b32_e32 v23, v23, v36, vcc
	v_lshlrev_b32_e32 v36, 24, v18
	v_lshlrev_b32_e32 v23, 20, v23
	v_and_b32_e32 v36, 0x80000000, v36
	v_lshl_add_u32 v16, v16, 23, v62
	v_mov_b32_e32 v49, 0xffffff82
	v_or3_b32 v23, v36, v16, v23
.LBB4_5356:                             ;   in Loop: Header=BB4_5351 Depth=2
	s_or_b64 exec, exec, s[94:95]
.LBB4_5357:                             ;   in Loop: Header=BB4_5351 Depth=2
	s_or_b64 exec, exec, s[92:93]
.LBB4_5358:                             ;   in Loop: Header=BB4_5351 Depth=2
	s_or_b64 exec, exec, s[20:21]
	v_and_b32_e32 v16, 0xff, v17
	v_cmp_ne_u16_e32 vcc, 0, v16
	s_and_saveexec_b64 s[20:21], vcc
	s_cbranch_execz .LBB4_5364
; %bb.5359:                             ;   in Loop: Header=BB4_5351 Depth=2
	v_cmp_ne_u16_e32 vcc, s49, v16
	v_bfrev_b32_e32 v3, 1
	s_and_saveexec_b64 s[92:93], vcc
	s_cbranch_execz .LBB4_5363
; %bb.5360:                             ;   in Loop: Header=BB4_5351 Depth=2
	v_and_b32_e32 v48, 0x7f, v17
	v_cmp_ne_u32_e32 vcc, s51, v48
	v_mov_b32_e32 v3, 0x7f800001
	s_and_saveexec_b64 s[94:95], vcc
	s_cbranch_execz .LBB4_5362
; %bb.5361:                             ;   in Loop: Header=BB4_5351 Depth=2
	v_and_b32_e32 v3, 7, v16
	v_ffbh_u32_e32 v36, v3
	v_lshrrev_b32_e32 v49, 3, v48
	v_cmp_gt_u32_e32 vcc, 8, v48
	v_min_u32_e32 v48, 32, v36
	v_subrev_u32_e32 v36, 28, v48
	v_lshlrev_b64 v[36:37], v36, v[16:17]
	v_sub_u32_e32 v16, 29, v48
	v_and_b32_e32 v36, 7, v36
	v_cndmask_b32_e32 v16, v49, v16, vcc
	v_cndmask_b32_e32 v3, v3, v36, vcc
	v_lshlrev_b32_e32 v36, 24, v17
	v_lshlrev_b32_e32 v3, 20, v3
	v_and_b32_e32 v36, 0x80000000, v36
	v_lshl_add_u32 v16, v16, 23, v62
	v_mov_b32_e32 v49, 0xffffff82
	v_or3_b32 v3, v36, v16, v3
.LBB4_5362:                             ;   in Loop: Header=BB4_5351 Depth=2
	s_or_b64 exec, exec, s[94:95]
.LBB4_5363:                             ;   in Loop: Header=BB4_5351 Depth=2
	s_or_b64 exec, exec, s[92:93]
.LBB4_5364:                             ;   in Loop: Header=BB4_5351 Depth=2
	s_or_b64 exec, exec, s[20:21]
	v_max_f32_e32 v3, v3, v3
	v_max_f32_e32 v16, v23, v23
	v_max_f32_e32 v16, v16, v3
	s_mov_b64 s[20:21], 0
.LBB4_5365:                             ;   in Loop: Header=BB4_5351 Depth=2
	s_and_b64 vcc, exec, s[20:21]
	s_cbranch_vccz .LBB4_5379
; %bb.5366:                             ;   in Loop: Header=BB4_5351 Depth=2
	v_mov_b32_e32 v3, 0
	v_mov_b32_e32 v23, 0
	s_and_saveexec_b64 s[20:21], s[18:19]
	s_cbranch_execz .LBB4_5372
; %bb.5367:                             ;   in Loop: Header=BB4_5351 Depth=2
	v_cmp_ne_u16_e32 vcc, s49, v18
	v_bfrev_b32_e32 v23, 1
	s_and_saveexec_b64 s[18:19], vcc
	s_cbranch_execz .LBB4_5371
; %bb.5368:                             ;   in Loop: Header=BB4_5351 Depth=2
	v_and_b32_e32 v16, 0xffff, v18
	v_and_b32_e32 v48, 0x7f, v16
	v_cmp_ne_u32_e32 vcc, s51, v48
	v_mov_b32_e32 v23, 0x7f800001
	s_and_saveexec_b64 s[92:93], vcc
	s_cbranch_execz .LBB4_5370
; %bb.5369:                             ;   in Loop: Header=BB4_5351 Depth=2
	v_and_b32_e32 v23, 7, v16
	v_ffbh_u32_e32 v36, v23
	v_lshrrev_b32_e32 v49, 3, v48
	v_cmp_gt_u32_e32 vcc, 8, v48
	v_min_u32_e32 v48, 32, v36
	v_subrev_u32_e32 v36, 28, v48
	v_lshlrev_b64 v[36:37], v36, v[16:17]
	v_sub_u32_e32 v16, 29, v48
	v_and_b32_e32 v36, 7, v36
	v_cndmask_b32_e32 v16, v49, v16, vcc
	v_cndmask_b32_e32 v23, v23, v36, vcc
	v_lshlrev_b32_e32 v18, 24, v18
	v_lshlrev_b32_e32 v23, 20, v23
	v_and_b32_e32 v18, 0x80000000, v18
	v_lshl_add_u32 v16, v16, 23, v62
	v_mov_b32_e32 v49, 0xffffff82
	v_or3_b32 v23, v18, v16, v23
.LBB4_5370:                             ;   in Loop: Header=BB4_5351 Depth=2
	s_or_b64 exec, exec, s[92:93]
.LBB4_5371:                             ;   in Loop: Header=BB4_5351 Depth=2
	s_or_b64 exec, exec, s[18:19]
.LBB4_5372:                             ;   in Loop: Header=BB4_5351 Depth=2
	s_or_b64 exec, exec, s[20:21]
	v_and_b32_e32 v16, 0xff, v17
	v_cmp_ne_u16_e32 vcc, 0, v16
	s_and_saveexec_b64 s[18:19], vcc
	s_cbranch_execz .LBB4_5378
; %bb.5373:                             ;   in Loop: Header=BB4_5351 Depth=2
	v_cmp_ne_u16_e32 vcc, s49, v16
	v_bfrev_b32_e32 v3, 1
	s_and_saveexec_b64 s[20:21], vcc
	s_cbranch_execz .LBB4_5377
; %bb.5374:                             ;   in Loop: Header=BB4_5351 Depth=2
	v_and_b32_e32 v18, 0x7f, v17
	v_cmp_ne_u32_e32 vcc, s51, v18
	v_mov_b32_e32 v3, 0x7f800001
	s_and_saveexec_b64 s[92:93], vcc
	s_cbranch_execz .LBB4_5376
; %bb.5375:                             ;   in Loop: Header=BB4_5351 Depth=2
	v_and_b32_e32 v3, 7, v16
	v_lshrrev_b32_e32 v48, 3, v18
	v_cmp_gt_u32_e32 vcc, 8, v18
	v_ffbh_u32_e32 v18, v3
	v_min_u32_e32 v18, 32, v18
	v_subrev_u32_e32 v36, 28, v18
	v_lshlrev_b64 v[36:37], v36, v[16:17]
	v_sub_u32_e32 v16, 29, v18
	v_and_b32_e32 v18, 7, v36
	v_cndmask_b32_e32 v16, v48, v16, vcc
	v_cndmask_b32_e32 v3, v3, v18, vcc
	v_lshlrev_b32_e32 v17, 24, v17
	v_lshlrev_b32_e32 v3, 20, v3
	v_and_b32_e32 v17, 0x80000000, v17
	v_lshl_add_u32 v16, v16, 23, v62
	v_or3_b32 v3, v17, v16, v3
.LBB4_5376:                             ;   in Loop: Header=BB4_5351 Depth=2
	s_or_b64 exec, exec, s[92:93]
.LBB4_5377:                             ;   in Loop: Header=BB4_5351 Depth=2
	s_or_b64 exec, exec, s[20:21]
.LBB4_5378:                             ;   in Loop: Header=BB4_5351 Depth=2
	s_or_b64 exec, exec, s[18:19]
	v_max_f32_e32 v3, v3, v3
	v_max_f32_e32 v16, v23, v23
	v_min_f32_e32 v16, v16, v3
.LBB4_5379:                             ;   in Loop: Header=BB4_5351 Depth=2
	v_and_b32_e32 v50, 0x7f800000, v16
	v_cmp_ne_u64_e32 vcc, s[62:63], v[50:51]
                                        ; implicit-def: $vgpr3
	s_and_saveexec_b64 s[18:19], vcc
	s_xor_b64 s[20:21], exec, s[18:19]
	s_cbranch_execz .LBB4_5397
; %bb.5380:                             ;   in Loop: Header=BB4_5351 Depth=2
	v_and_b32_e32 v50, 0x7fffffff, v16
	v_cmp_gt_u64_e32 vcc, s[72:73], v[50:51]
	v_and_b32_sdwa v23, v16, s49 dst_sel:DWORD dst_unused:UNUSED_PAD src0_sel:BYTE_3 src1_sel:DWORD
                                        ; implicit-def: $vgpr3
	s_and_saveexec_b64 s[18:19], vcc
	s_xor_b64 s[92:93], exec, s[18:19]
	s_cbranch_execz .LBB4_5394
; %bb.5381:                             ;   in Loop: Header=BB4_5351 Depth=2
	v_cmp_ne_u32_e32 vcc, 0, v16
	v_mov_b32_e32 v3, 0
	s_and_saveexec_b64 s[94:95], vcc
	s_cbranch_execz .LBB4_5393
; %bb.5382:                             ;   in Loop: Header=BB4_5351 Depth=2
	v_bfe_u32 v3, v16, 23, 8
	v_and_b32_e32 v17, 0x7fffff, v16
	v_cmp_gt_u32_e64 s[18:19], s53, v3
	v_sub_u32_e32 v16, 0x79, v3
	v_cmp_eq_u32_e32 vcc, 0, v3
	v_cndmask_b32_e64 v16, 0, v16, s[18:19]
	v_mov_b32_e32 v36, 0x78
	v_cndmask_b32_e32 v48, v16, v36, vcc
	v_or_b32_e32 v18, 0x800000, v17
	v_add_u32_e32 v16, 20, v48
	v_cndmask_b32_e32 v50, v18, v17, vcc
	v_lshlrev_b64 v[16:17], v16, -1
	v_add_u32_e32 v18, 19, v48
	v_lshlrev_b64 v[36:37], v18, 1
	v_bfi_b32 v17, v17, 0, 0
	v_bfi_b32 v16, v16, 0, v50
	v_cmp_eq_u64_e64 s[18:19], v[16:17], v[36:37]
	v_lshrrev_b64 v[16:17], v48, v[50:51]
	v_mov_b32_e32 v18, v17
	v_mov_b32_e32 v17, v16
	s_and_saveexec_b64 s[30:31], s[18:19]
; %bb.5383:                             ;   in Loop: Header=BB4_5351 Depth=2
	v_bfe_u32 v17, v16, 20, 1
	v_add_co_u32_e64 v17, s[18:19], v16, v17
	v_add_co_u32_e64 v17, s[18:19], -1, v17
; %bb.5384:                             ;   in Loop: Header=BB4_5351 Depth=2
	s_or_b64 exec, exec, s[30:31]
	v_add_u32_e32 v3, 0xffffff81, v3
	v_cndmask_b32_e32 v3, v3, v49, vcc
	v_lshrrev_b32_e32 v18, 23, v16
	v_add3_u32 v48, v48, v3, v18
	v_add_u32_e32 v3, 6, v48
	v_and_b32_e32 v17, 0xfffff, v17
	v_add_u32_e32 v50, v17, v16
	v_cmp_ne_u32_e32 vcc, 0, v3
                                        ; implicit-def: $vgpr16_vgpr17
                                        ; implicit-def: $vgpr18
	s_and_saveexec_b64 s[18:19], vcc
	s_xor_b64 s[18:19], exec, s[18:19]
; %bb.5385:                             ;   in Loop: Header=BB4_5351 Depth=2
	v_cmp_lt_u64_e32 vcc, s[74:75], v[50:51]
	v_add_u32_e32 v16, 7, v48
	v_cndmask_b32_e32 v18, v3, v16, vcc
	v_cndmask_b32_e64 v3, 0, 1, vcc
	v_lshrrev_b64 v[16:17], v3, v[50:51]
; %bb.5386:                             ;   in Loop: Header=BB4_5351 Depth=2
	s_andn2_saveexec_b64 s[18:19], s[18:19]
; %bb.5387:                             ;   in Loop: Header=BB4_5351 Depth=2
	v_mov_b32_e32 v16, v50
	v_bfe_u32 v18, v50, 23, 1
	v_mov_b32_e32 v17, v51
; %bb.5388:                             ;   in Loop: Header=BB4_5351 Depth=2
	s_or_b64 exec, exec, s[18:19]
	v_lshrrev_b64 v[16:17], 20, v[16:17]
	v_cmp_gt_i32_e32 vcc, 16, v18
	v_cndmask_b32_e32 v17, 0, v17, vcc
	v_cndmask_b32_e32 v16, 7, v16, vcc
	v_cmp_ne_u64_e32 vcc, 0, v[16:17]
	v_cmp_ne_u32_e64 s[18:19], 0, v18
	s_or_b64 s[18:19], s[18:19], vcc
                                        ; implicit-def: $vgpr3
	s_and_saveexec_b64 vcc, s[18:19]
	s_xor_b64 s[18:19], exec, vcc
; %bb.5389:                             ;   in Loop: Header=BB4_5351 Depth=2
	v_min_i32_e32 v3, 15, v18
	v_lshl_or_b32 v3, v3, 3, v23
	v_and_or_b32 v3, v16, 7, v3
                                        ; implicit-def: $vgpr23
; %bb.5390:                             ;   in Loop: Header=BB4_5351 Depth=2
	s_andn2_saveexec_b64 s[18:19], s[18:19]
; %bb.5391:                             ;   in Loop: Header=BB4_5351 Depth=2
	v_mov_b32_e32 v3, v23
; %bb.5392:                             ;   in Loop: Header=BB4_5351 Depth=2
	s_or_b64 exec, exec, s[18:19]
.LBB4_5393:                             ;   in Loop: Header=BB4_5351 Depth=2
	s_or_b64 exec, exec, s[94:95]
                                        ; implicit-def: $vgpr23
.LBB4_5394:                             ;   in Loop: Header=BB4_5351 Depth=2
	s_andn2_saveexec_b64 s[18:19], s[92:93]
; %bb.5395:                             ;   in Loop: Header=BB4_5351 Depth=2
	v_or_b32_e32 v3, 0x7e, v23
; %bb.5396:                             ;   in Loop: Header=BB4_5351 Depth=2
	s_or_b64 exec, exec, s[18:19]
                                        ; implicit-def: $vgpr16
.LBB4_5397:                             ;   in Loop: Header=BB4_5351 Depth=2
	s_andn2_saveexec_b64 s[18:19], s[20:21]
; %bb.5398:                             ;   in Loop: Header=BB4_5351 Depth=2
	v_or_b32_sdwa v3, v16, s51 dst_sel:DWORD dst_unused:UNUSED_PAD src0_sel:BYTE_3 src1_sel:DWORD
; %bb.5399:                             ;   in Loop: Header=BB4_5351 Depth=2
	s_or_b64 exec, exec, s[18:19]
	v_and_b32_e32 v16, 0xff, v0
	v_cndmask_b32_e64 v17, 0, 1, s[26:27]
	v_cmp_ne_u16_e64 s[20:21], 0, v16
	v_cmp_ne_u32_e64 s[18:19], 1, v17
	s_andn2_b64 vcc, exec, s[26:27]
	s_mov_b64 s[92:93], -1
                                        ; implicit-def: $vgpr17
	s_cbranch_vccnz .LBB4_5413
; %bb.5400:                             ;   in Loop: Header=BB4_5351 Depth=2
	v_mov_b32_e32 v23, 0
	v_mov_b32_e32 v18, 0
	s_and_saveexec_b64 s[92:93], s[20:21]
	s_cbranch_execz .LBB4_5406
; %bb.5401:                             ;   in Loop: Header=BB4_5351 Depth=2
	v_cmp_ne_u16_e32 vcc, s49, v16
	v_bfrev_b32_e32 v18, 1
	s_and_saveexec_b64 s[94:95], vcc
	s_cbranch_execz .LBB4_5405
; %bb.5402:                             ;   in Loop: Header=BB4_5351 Depth=2
	v_and_b32_e32 v17, 0x7f, v0
	v_cmp_ne_u32_e32 vcc, s51, v17
	v_mov_b32_e32 v18, 0x7f800001
	s_and_saveexec_b64 s[30:31], vcc
	s_cbranch_execz .LBB4_5404
; %bb.5403:                             ;   in Loop: Header=BB4_5351 Depth=2
	v_and_b32_e32 v36, 7, v16
	v_lshrrev_b32_e32 v37, 3, v17
	v_cmp_gt_u32_e32 vcc, 8, v17
	v_ffbh_u32_e32 v17, v36
	v_min_u32_e32 v48, 32, v17
	v_subrev_u32_e32 v17, 28, v48
	v_lshlrev_b64 v[17:18], v17, v[16:17]
	v_sub_u32_e32 v18, 29, v48
	v_and_b32_e32 v17, 7, v17
	v_cndmask_b32_e32 v18, v37, v18, vcc
	v_cndmask_b32_e32 v17, v36, v17, vcc
	v_lshlrev_b32_e32 v36, 24, v0
	v_lshlrev_b32_e32 v17, 20, v17
	v_and_b32_e32 v36, 0x80000000, v36
	v_lshl_add_u32 v18, v18, 23, v62
	v_or3_b32 v18, v36, v18, v17
.LBB4_5404:                             ;   in Loop: Header=BB4_5351 Depth=2
	s_or_b64 exec, exec, s[30:31]
.LBB4_5405:                             ;   in Loop: Header=BB4_5351 Depth=2
	s_or_b64 exec, exec, s[94:95]
.LBB4_5406:                             ;   in Loop: Header=BB4_5351 Depth=2
	s_or_b64 exec, exec, s[92:93]
	v_and_b32_e32 v17, 0xff, v29
	v_cmp_ne_u16_e32 vcc, 0, v17
	s_and_saveexec_b64 s[92:93], vcc
	s_cbranch_execz .LBB4_5412
; %bb.5407:                             ;   in Loop: Header=BB4_5351 Depth=2
	v_cmp_ne_u16_e32 vcc, s49, v17
	v_bfrev_b32_e32 v23, 1
	s_and_saveexec_b64 s[94:95], vcc
	s_cbranch_execz .LBB4_5411
; %bb.5408:                             ;   in Loop: Header=BB4_5351 Depth=2
	v_and_b32_e32 v48, 0x7f, v29
	v_cmp_ne_u32_e32 vcc, s51, v48
	v_mov_b32_e32 v23, 0x7f800001
	s_and_saveexec_b64 s[30:31], vcc
	s_cbranch_execz .LBB4_5410
; %bb.5409:                             ;   in Loop: Header=BB4_5351 Depth=2
	v_and_b32_e32 v23, 7, v17
	v_ffbh_u32_e32 v36, v23
	v_lshrrev_b32_e32 v49, 3, v48
	v_cmp_gt_u32_e32 vcc, 8, v48
	v_min_u32_e32 v48, 32, v36
	v_subrev_u32_e32 v36, 28, v48
	v_lshlrev_b64 v[36:37], v36, v[17:18]
	v_sub_u32_e32 v17, 29, v48
	v_and_b32_e32 v36, 7, v36
	v_cndmask_b32_e32 v17, v49, v17, vcc
	v_cndmask_b32_e32 v23, v23, v36, vcc
	v_lshlrev_b32_e32 v36, 24, v29
	v_lshlrev_b32_e32 v23, 20, v23
	v_and_b32_e32 v36, 0x80000000, v36
	v_lshl_add_u32 v17, v17, 23, v62
	v_mov_b32_e32 v49, 0xffffff82
	v_or3_b32 v23, v36, v17, v23
.LBB4_5410:                             ;   in Loop: Header=BB4_5351 Depth=2
	s_or_b64 exec, exec, s[30:31]
.LBB4_5411:                             ;   in Loop: Header=BB4_5351 Depth=2
	s_or_b64 exec, exec, s[94:95]
.LBB4_5412:                             ;   in Loop: Header=BB4_5351 Depth=2
	s_or_b64 exec, exec, s[92:93]
	v_max_f32_e32 v17, v23, v23
	v_max_f32_e32 v18, v18, v18
	;; [unrolled: 1-line block ×3, first 2 shown]
	s_mov_b64 s[92:93], 0
.LBB4_5413:                             ;   in Loop: Header=BB4_5351 Depth=2
	s_and_b64 vcc, exec, s[92:93]
	s_cbranch_vccz .LBB4_5427
; %bb.5414:                             ;   in Loop: Header=BB4_5351 Depth=2
	v_mov_b32_e32 v18, 0
	v_mov_b32_e32 v17, 0
	s_and_saveexec_b64 s[92:93], s[20:21]
	s_cbranch_execz .LBB4_5420
; %bb.5415:                             ;   in Loop: Header=BB4_5351 Depth=2
	v_cmp_ne_u16_e32 vcc, s49, v16
	v_bfrev_b32_e32 v17, 1
	s_and_saveexec_b64 s[20:21], vcc
	s_cbranch_execz .LBB4_5419
; %bb.5416:                             ;   in Loop: Header=BB4_5351 Depth=2
	v_and_b32_e32 v23, 0x7f, v0
	v_cmp_ne_u32_e32 vcc, s51, v23
	v_mov_b32_e32 v17, 0x7f800001
	s_and_saveexec_b64 s[94:95], vcc
	s_cbranch_execz .LBB4_5418
; %bb.5417:                             ;   in Loop: Header=BB4_5351 Depth=2
	v_and_b32_e32 v36, 7, v16
	v_ffbh_u32_e32 v17, v36
	v_lshrrev_b32_e32 v37, 3, v23
	v_cmp_gt_u32_e32 vcc, 8, v23
	v_min_u32_e32 v23, 32, v17
	v_subrev_u32_e32 v17, 28, v23
	v_lshlrev_b64 v[16:17], v17, v[16:17]
	v_sub_u32_e32 v17, 29, v23
	v_and_b32_e32 v16, 7, v16
	v_cndmask_b32_e32 v17, v37, v17, vcc
	v_cndmask_b32_e32 v16, v36, v16, vcc
	v_lshlrev_b32_e32 v0, 24, v0
	v_lshlrev_b32_e32 v16, 20, v16
	v_and_b32_e32 v0, 0x80000000, v0
	v_lshl_add_u32 v17, v17, 23, v62
	v_or3_b32 v17, v0, v17, v16
.LBB4_5418:                             ;   in Loop: Header=BB4_5351 Depth=2
	s_or_b64 exec, exec, s[94:95]
.LBB4_5419:                             ;   in Loop: Header=BB4_5351 Depth=2
	s_or_b64 exec, exec, s[20:21]
.LBB4_5420:                             ;   in Loop: Header=BB4_5351 Depth=2
	s_or_b64 exec, exec, s[92:93]
	v_and_b32_e32 v16, 0xff, v29
	v_cmp_ne_u16_e32 vcc, 0, v16
	s_and_saveexec_b64 s[20:21], vcc
	s_cbranch_execz .LBB4_5426
; %bb.5421:                             ;   in Loop: Header=BB4_5351 Depth=2
	v_cmp_ne_u16_e32 vcc, s49, v16
	v_bfrev_b32_e32 v18, 1
	s_and_saveexec_b64 s[92:93], vcc
	s_cbranch_execz .LBB4_5425
; %bb.5422:                             ;   in Loop: Header=BB4_5351 Depth=2
	v_and_b32_e32 v0, 0x7f, v29
	v_cmp_ne_u32_e32 vcc, s51, v0
	v_mov_b32_e32 v18, 0x7f800001
	s_and_saveexec_b64 s[94:95], vcc
	s_cbranch_execz .LBB4_5424
; %bb.5423:                             ;   in Loop: Header=BB4_5351 Depth=2
	v_and_b32_e32 v18, 7, v16
	v_lshrrev_b32_e32 v23, 3, v0
	v_cmp_gt_u32_e32 vcc, 8, v0
	v_ffbh_u32_e32 v0, v18
	v_min_u32_e32 v0, 32, v0
	v_subrev_u32_e32 v36, 28, v0
	v_lshlrev_b64 v[36:37], v36, v[16:17]
	v_sub_u32_e32 v0, 29, v0
	v_and_b32_e32 v16, 7, v36
	v_cndmask_b32_e32 v0, v23, v0, vcc
	v_cndmask_b32_e32 v16, v18, v16, vcc
	v_lshlrev_b32_e32 v18, 24, v29
	v_lshlrev_b32_e32 v16, 20, v16
	v_and_b32_e32 v18, 0x80000000, v18
	v_lshl_add_u32 v0, v0, 23, v62
	v_or3_b32 v18, v18, v0, v16
.LBB4_5424:                             ;   in Loop: Header=BB4_5351 Depth=2
	s_or_b64 exec, exec, s[94:95]
.LBB4_5425:                             ;   in Loop: Header=BB4_5351 Depth=2
	s_or_b64 exec, exec, s[92:93]
.LBB4_5426:                             ;   in Loop: Header=BB4_5351 Depth=2
	s_or_b64 exec, exec, s[20:21]
	v_max_f32_e32 v0, v18, v18
	v_max_f32_e32 v16, v17, v17
	v_min_f32_e32 v17, v16, v0
.LBB4_5427:                             ;   in Loop: Header=BB4_5351 Depth=2
	v_and_b32_e32 v50, 0x7f800000, v17
	v_cmp_ne_u64_e32 vcc, s[62:63], v[50:51]
                                        ; implicit-def: $vgpr29
	s_and_saveexec_b64 s[20:21], vcc
	s_xor_b64 s[92:93], exec, s[20:21]
	s_cbranch_execz .LBB4_5445
; %bb.5428:                             ;   in Loop: Header=BB4_5351 Depth=2
	v_and_b32_e32 v50, 0x7fffffff, v17
	v_cmp_gt_u64_e32 vcc, s[72:73], v[50:51]
	v_and_b32_sdwa v0, v17, s49 dst_sel:DWORD dst_unused:UNUSED_PAD src0_sel:BYTE_3 src1_sel:DWORD
                                        ; implicit-def: $vgpr29
	s_and_saveexec_b64 s[20:21], vcc
	s_xor_b64 s[94:95], exec, s[20:21]
	s_cbranch_execz .LBB4_5442
; %bb.5429:                             ;   in Loop: Header=BB4_5351 Depth=2
	v_cmp_ne_u32_e32 vcc, 0, v17
	v_mov_b32_e32 v29, 0
	s_and_saveexec_b64 s[30:31], vcc
	s_cbranch_execz .LBB4_5441
; %bb.5430:                             ;   in Loop: Header=BB4_5351 Depth=2
	v_bfe_u32 v23, v17, 23, 8
	v_and_b32_e32 v16, 0x7fffff, v17
	v_cmp_gt_u32_e64 s[20:21], s53, v23
	v_sub_u32_e32 v17, 0x79, v23
	v_cmp_eq_u32_e32 vcc, 0, v23
	v_cndmask_b32_e64 v17, 0, v17, s[20:21]
	v_mov_b32_e32 v29, 0x78
	v_or_b32_e32 v18, 0x800000, v16
	v_cndmask_b32_e32 v29, v17, v29, vcc
	v_cndmask_b32_e32 v50, v18, v16, vcc
	v_add_u32_e32 v16, 20, v29
	v_lshlrev_b64 v[16:17], v16, -1
	v_add_u32_e32 v18, 19, v29
	v_lshlrev_b64 v[36:37], v18, 1
	v_bfi_b32 v17, v17, 0, 0
	v_bfi_b32 v16, v16, 0, v50
	v_cmp_eq_u64_e64 s[20:21], v[16:17], v[36:37]
	v_lshrrev_b64 v[16:17], v29, v[50:51]
	v_mov_b32_e32 v18, v17
	v_mov_b32_e32 v17, v16
	s_and_saveexec_b64 s[34:35], s[20:21]
; %bb.5431:                             ;   in Loop: Header=BB4_5351 Depth=2
	v_bfe_u32 v17, v16, 20, 1
	v_add_co_u32_e64 v17, s[20:21], v16, v17
	v_add_co_u32_e64 v17, s[20:21], -1, v17
; %bb.5432:                             ;   in Loop: Header=BB4_5351 Depth=2
	s_or_b64 exec, exec, s[34:35]
	v_add_u32_e32 v18, 0xffffff81, v23
	v_cndmask_b32_e32 v18, v18, v49, vcc
	v_lshrrev_b32_e32 v23, 23, v16
	v_add3_u32 v29, v29, v18, v23
	v_add_u32_e32 v23, 6, v29
	v_and_b32_e32 v17, 0xfffff, v17
	v_add_u32_e32 v50, v17, v16
	v_cmp_ne_u32_e32 vcc, 0, v23
                                        ; implicit-def: $vgpr16_vgpr17
                                        ; implicit-def: $vgpr18
	s_and_saveexec_b64 s[20:21], vcc
	s_xor_b64 s[20:21], exec, s[20:21]
; %bb.5433:                             ;   in Loop: Header=BB4_5351 Depth=2
	v_cmp_lt_u64_e32 vcc, s[74:75], v[50:51]
	v_add_u32_e32 v16, 7, v29
	v_cndmask_b32_e32 v18, v23, v16, vcc
	v_cndmask_b32_e64 v16, 0, 1, vcc
	v_lshrrev_b64 v[16:17], v16, v[50:51]
; %bb.5434:                             ;   in Loop: Header=BB4_5351 Depth=2
	s_andn2_saveexec_b64 s[20:21], s[20:21]
; %bb.5435:                             ;   in Loop: Header=BB4_5351 Depth=2
	v_mov_b32_e32 v16, v50
	v_bfe_u32 v18, v50, 23, 1
	v_mov_b32_e32 v17, v51
; %bb.5436:                             ;   in Loop: Header=BB4_5351 Depth=2
	s_or_b64 exec, exec, s[20:21]
	v_lshrrev_b64 v[16:17], 20, v[16:17]
	v_cmp_gt_i32_e32 vcc, 16, v18
	v_cndmask_b32_e32 v17, 0, v17, vcc
	v_cndmask_b32_e32 v16, 7, v16, vcc
	v_cmp_ne_u64_e32 vcc, 0, v[16:17]
	v_cmp_ne_u32_e64 s[20:21], 0, v18
	s_or_b64 s[20:21], s[20:21], vcc
                                        ; implicit-def: $vgpr29
	s_and_saveexec_b64 vcc, s[20:21]
	s_xor_b64 s[20:21], exec, vcc
; %bb.5437:                             ;   in Loop: Header=BB4_5351 Depth=2
	v_min_i32_e32 v17, 15, v18
	v_lshl_or_b32 v0, v17, 3, v0
	v_and_or_b32 v29, v16, 7, v0
                                        ; implicit-def: $vgpr0
; %bb.5438:                             ;   in Loop: Header=BB4_5351 Depth=2
	s_andn2_saveexec_b64 s[20:21], s[20:21]
; %bb.5439:                             ;   in Loop: Header=BB4_5351 Depth=2
	v_mov_b32_e32 v29, v0
; %bb.5440:                             ;   in Loop: Header=BB4_5351 Depth=2
	s_or_b64 exec, exec, s[20:21]
.LBB4_5441:                             ;   in Loop: Header=BB4_5351 Depth=2
	s_or_b64 exec, exec, s[30:31]
                                        ; implicit-def: $vgpr0
.LBB4_5442:                             ;   in Loop: Header=BB4_5351 Depth=2
	s_andn2_saveexec_b64 s[20:21], s[94:95]
; %bb.5443:                             ;   in Loop: Header=BB4_5351 Depth=2
	v_or_b32_e32 v29, 0x7e, v0
; %bb.5444:                             ;   in Loop: Header=BB4_5351 Depth=2
	s_or_b64 exec, exec, s[20:21]
                                        ; implicit-def: $vgpr17
.LBB4_5445:                             ;   in Loop: Header=BB4_5351 Depth=2
	s_andn2_saveexec_b64 s[20:21], s[92:93]
; %bb.5446:                             ;   in Loop: Header=BB4_5351 Depth=2
	v_or_b32_sdwa v29, v17, s51 dst_sel:DWORD dst_unused:UNUSED_PAD src0_sel:BYTE_3 src1_sel:DWORD
; %bb.5447:                             ;   in Loop: Header=BB4_5351 Depth=2
	s_or_b64 exec, exec, s[20:21]
	v_and_b32_e32 v16, 0xff, v19
	v_cmp_ne_u16_e64 s[20:21], 0, v16
	s_and_b64 vcc, exec, s[18:19]
	s_mov_b64 s[92:93], -1
                                        ; implicit-def: $vgpr17
	s_cbranch_vccnz .LBB4_5461
; %bb.5448:                             ;   in Loop: Header=BB4_5351 Depth=2
	v_mov_b32_e32 v18, 0
	v_mov_b32_e32 v0, 0
	s_and_saveexec_b64 s[92:93], s[20:21]
	s_cbranch_execz .LBB4_5454
; %bb.5449:                             ;   in Loop: Header=BB4_5351 Depth=2
	v_cmp_ne_u16_e32 vcc, s49, v16
	v_bfrev_b32_e32 v0, 1
	s_and_saveexec_b64 s[94:95], vcc
	s_cbranch_execz .LBB4_5453
; %bb.5450:                             ;   in Loop: Header=BB4_5351 Depth=2
	v_and_b32_e32 v17, 0x7f, v19
	v_cmp_ne_u32_e32 vcc, s51, v17
	v_mov_b32_e32 v0, 0x7f800001
	s_and_saveexec_b64 s[30:31], vcc
	s_cbranch_execz .LBB4_5452
; %bb.5451:                             ;   in Loop: Header=BB4_5351 Depth=2
	v_and_b32_e32 v0, 7, v16
	v_lshrrev_b32_e32 v23, 3, v17
	v_cmp_gt_u32_e32 vcc, 8, v17
	v_ffbh_u32_e32 v17, v0
	v_min_u32_e32 v17, 32, v17
	v_subrev_u32_e32 v36, 28, v17
	v_lshlrev_b64 v[36:37], v36, v[16:17]
	v_sub_u32_e32 v17, 29, v17
	v_and_b32_e32 v36, 7, v36
	v_cndmask_b32_e32 v17, v23, v17, vcc
	v_cndmask_b32_e32 v0, v0, v36, vcc
	v_lshlrev_b32_e32 v23, 24, v19
	v_lshlrev_b32_e32 v0, 20, v0
	v_and_b32_e32 v23, 0x80000000, v23
	v_lshl_add_u32 v17, v17, 23, v62
	v_or3_b32 v0, v23, v17, v0
.LBB4_5452:                             ;   in Loop: Header=BB4_5351 Depth=2
	s_or_b64 exec, exec, s[30:31]
.LBB4_5453:                             ;   in Loop: Header=BB4_5351 Depth=2
	s_or_b64 exec, exec, s[94:95]
.LBB4_5454:                             ;   in Loop: Header=BB4_5351 Depth=2
	s_or_b64 exec, exec, s[92:93]
	v_and_b32_e32 v17, 0xff, v35
	v_cmp_ne_u16_e32 vcc, 0, v17
	s_and_saveexec_b64 s[92:93], vcc
	s_cbranch_execz .LBB4_5460
; %bb.5455:                             ;   in Loop: Header=BB4_5351 Depth=2
	v_cmp_ne_u16_e32 vcc, s49, v17
	v_bfrev_b32_e32 v18, 1
	s_and_saveexec_b64 s[94:95], vcc
	s_cbranch_execz .LBB4_5459
; %bb.5456:                             ;   in Loop: Header=BB4_5351 Depth=2
	v_and_b32_e32 v23, 0x7f, v35
	v_cmp_ne_u32_e32 vcc, s51, v23
	v_mov_b32_e32 v18, 0x7f800001
	s_and_saveexec_b64 s[30:31], vcc
	s_cbranch_execz .LBB4_5458
; %bb.5457:                             ;   in Loop: Header=BB4_5351 Depth=2
	v_and_b32_e32 v36, 7, v17
	v_ffbh_u32_e32 v18, v36
	v_lshrrev_b32_e32 v37, 3, v23
	v_cmp_gt_u32_e32 vcc, 8, v23
	v_min_u32_e32 v23, 32, v18
	v_subrev_u32_e32 v18, 28, v23
	v_lshlrev_b64 v[17:18], v18, v[17:18]
	v_sub_u32_e32 v18, 29, v23
	v_and_b32_e32 v17, 7, v17
	v_cndmask_b32_e32 v18, v37, v18, vcc
	v_cndmask_b32_e32 v17, v36, v17, vcc
	v_lshlrev_b32_e32 v23, 24, v35
	v_lshlrev_b32_e32 v17, 20, v17
	v_and_b32_e32 v23, 0x80000000, v23
	v_lshl_add_u32 v18, v18, 23, v62
	v_or3_b32 v18, v23, v18, v17
.LBB4_5458:                             ;   in Loop: Header=BB4_5351 Depth=2
	s_or_b64 exec, exec, s[30:31]
.LBB4_5459:                             ;   in Loop: Header=BB4_5351 Depth=2
	s_or_b64 exec, exec, s[94:95]
.LBB4_5460:                             ;   in Loop: Header=BB4_5351 Depth=2
	s_or_b64 exec, exec, s[92:93]
	v_max_f32_e32 v17, v18, v18
	v_max_f32_e32 v0, v0, v0
	;; [unrolled: 1-line block ×3, first 2 shown]
	s_mov_b64 s[92:93], 0
.LBB4_5461:                             ;   in Loop: Header=BB4_5351 Depth=2
	s_and_b64 vcc, exec, s[92:93]
	s_cbranch_vccz .LBB4_5475
; %bb.5462:                             ;   in Loop: Header=BB4_5351 Depth=2
	v_mov_b32_e32 v17, 0
	v_mov_b32_e32 v0, 0
	s_and_saveexec_b64 s[92:93], s[20:21]
	s_cbranch_execz .LBB4_5468
; %bb.5463:                             ;   in Loop: Header=BB4_5351 Depth=2
	v_cmp_ne_u16_e32 vcc, s49, v16
	v_bfrev_b32_e32 v0, 1
	s_and_saveexec_b64 s[20:21], vcc
	s_cbranch_execz .LBB4_5467
; %bb.5464:                             ;   in Loop: Header=BB4_5351 Depth=2
	v_and_b32_e32 v18, 0x7f, v19
	v_cmp_ne_u32_e32 vcc, s51, v18
	v_mov_b32_e32 v0, 0x7f800001
	s_and_saveexec_b64 s[94:95], vcc
	s_cbranch_execz .LBB4_5466
; %bb.5465:                             ;   in Loop: Header=BB4_5351 Depth=2
	v_and_b32_e32 v0, 7, v16
	v_lshrrev_b32_e32 v23, 3, v18
	v_cmp_gt_u32_e32 vcc, 8, v18
	v_ffbh_u32_e32 v18, v0
	v_min_u32_e32 v18, 32, v18
	v_subrev_u32_e32 v36, 28, v18
	v_lshlrev_b64 v[36:37], v36, v[16:17]
	v_sub_u32_e32 v16, 29, v18
	v_and_b32_e32 v18, 7, v36
	v_cndmask_b32_e32 v16, v23, v16, vcc
	v_cndmask_b32_e32 v0, v0, v18, vcc
	v_lshlrev_b32_e32 v18, 24, v19
	v_lshlrev_b32_e32 v0, 20, v0
	v_and_b32_e32 v18, 0x80000000, v18
	v_lshl_add_u32 v16, v16, 23, v62
	v_or3_b32 v0, v18, v16, v0
.LBB4_5466:                             ;   in Loop: Header=BB4_5351 Depth=2
	s_or_b64 exec, exec, s[94:95]
.LBB4_5467:                             ;   in Loop: Header=BB4_5351 Depth=2
	s_or_b64 exec, exec, s[20:21]
.LBB4_5468:                             ;   in Loop: Header=BB4_5351 Depth=2
	s_or_b64 exec, exec, s[92:93]
	v_and_b32_e32 v16, 0xff, v35
	v_cmp_ne_u16_e32 vcc, 0, v16
	s_and_saveexec_b64 s[20:21], vcc
	s_cbranch_execz .LBB4_5474
; %bb.5469:                             ;   in Loop: Header=BB4_5351 Depth=2
	v_cmp_ne_u16_e32 vcc, s49, v16
	v_bfrev_b32_e32 v17, 1
	s_and_saveexec_b64 s[92:93], vcc
	s_cbranch_execz .LBB4_5473
; %bb.5470:                             ;   in Loop: Header=BB4_5351 Depth=2
	v_and_b32_e32 v18, 0x7f, v35
	v_cmp_ne_u32_e32 vcc, s51, v18
	v_mov_b32_e32 v17, 0x7f800001
	s_and_saveexec_b64 s[94:95], vcc
	s_cbranch_execz .LBB4_5472
; %bb.5471:                             ;   in Loop: Header=BB4_5351 Depth=2
	v_and_b32_e32 v19, 7, v16
	v_ffbh_u32_e32 v17, v19
	v_lshrrev_b32_e32 v23, 3, v18
	v_cmp_gt_u32_e32 vcc, 8, v18
	v_min_u32_e32 v18, 32, v17
	v_subrev_u32_e32 v17, 28, v18
	v_lshlrev_b64 v[16:17], v17, v[16:17]
	v_sub_u32_e32 v17, 29, v18
	v_and_b32_e32 v16, 7, v16
	v_cndmask_b32_e32 v17, v23, v17, vcc
	v_cndmask_b32_e32 v16, v19, v16, vcc
	v_lshlrev_b32_e32 v18, 24, v35
	v_lshlrev_b32_e32 v16, 20, v16
	v_and_b32_e32 v18, 0x80000000, v18
	v_lshl_add_u32 v17, v17, 23, v62
	v_or3_b32 v17, v18, v17, v16
.LBB4_5472:                             ;   in Loop: Header=BB4_5351 Depth=2
	s_or_b64 exec, exec, s[94:95]
.LBB4_5473:                             ;   in Loop: Header=BB4_5351 Depth=2
	s_or_b64 exec, exec, s[92:93]
.LBB4_5474:                             ;   in Loop: Header=BB4_5351 Depth=2
	s_or_b64 exec, exec, s[20:21]
	v_max_f32_e32 v16, v17, v17
	v_max_f32_e32 v0, v0, v0
	v_min_f32_e32 v17, v0, v16
.LBB4_5475:                             ;   in Loop: Header=BB4_5351 Depth=2
	v_and_b32_e32 v50, 0x7f800000, v17
	v_cmp_ne_u64_e32 vcc, s[62:63], v[50:51]
                                        ; implicit-def: $vgpr35
	s_and_saveexec_b64 s[20:21], vcc
	s_xor_b64 s[92:93], exec, s[20:21]
	s_cbranch_execz .LBB4_5493
; %bb.5476:                             ;   in Loop: Header=BB4_5351 Depth=2
	v_and_b32_e32 v50, 0x7fffffff, v17
	v_cmp_gt_u64_e32 vcc, s[72:73], v[50:51]
	v_and_b32_sdwa v0, v17, s49 dst_sel:DWORD dst_unused:UNUSED_PAD src0_sel:BYTE_3 src1_sel:DWORD
                                        ; implicit-def: $vgpr35
	s_and_saveexec_b64 s[20:21], vcc
	s_xor_b64 s[94:95], exec, s[20:21]
	s_cbranch_execz .LBB4_5490
; %bb.5477:                             ;   in Loop: Header=BB4_5351 Depth=2
	v_cmp_ne_u32_e32 vcc, 0, v17
	v_mov_b32_e32 v35, 0
	s_and_saveexec_b64 s[30:31], vcc
	s_cbranch_execz .LBB4_5489
; %bb.5478:                             ;   in Loop: Header=BB4_5351 Depth=2
	v_bfe_u32 v19, v17, 23, 8
	v_and_b32_e32 v16, 0x7fffff, v17
	v_cmp_gt_u32_e64 s[20:21], s53, v19
	v_sub_u32_e32 v17, 0x79, v19
	v_cmp_eq_u32_e32 vcc, 0, v19
	v_cndmask_b32_e64 v17, 0, v17, s[20:21]
	v_mov_b32_e32 v23, 0x78
	v_or_b32_e32 v18, 0x800000, v16
	v_cndmask_b32_e32 v23, v17, v23, vcc
	v_cndmask_b32_e32 v50, v18, v16, vcc
	v_add_u32_e32 v16, 20, v23
	v_lshlrev_b64 v[16:17], v16, -1
	v_add_u32_e32 v18, 19, v23
	v_lshlrev_b64 v[35:36], v18, 1
	v_bfi_b32 v17, v17, 0, 0
	v_bfi_b32 v16, v16, 0, v50
	v_cmp_eq_u64_e64 s[20:21], v[16:17], v[35:36]
	v_lshrrev_b64 v[16:17], v23, v[50:51]
	v_mov_b32_e32 v18, v17
	v_mov_b32_e32 v17, v16
	s_and_saveexec_b64 s[34:35], s[20:21]
; %bb.5479:                             ;   in Loop: Header=BB4_5351 Depth=2
	v_bfe_u32 v17, v16, 20, 1
	v_add_co_u32_e64 v17, s[20:21], v16, v17
	v_add_co_u32_e64 v17, s[20:21], -1, v17
; %bb.5480:                             ;   in Loop: Header=BB4_5351 Depth=2
	s_or_b64 exec, exec, s[34:35]
	v_add_u32_e32 v18, 0xffffff81, v19
	v_cndmask_b32_e32 v18, v18, v49, vcc
	v_lshrrev_b32_e32 v19, 23, v16
	v_add3_u32 v23, v23, v18, v19
	v_add_u32_e32 v19, 6, v23
	v_and_b32_e32 v17, 0xfffff, v17
	v_add_u32_e32 v50, v17, v16
	v_cmp_ne_u32_e32 vcc, 0, v19
                                        ; implicit-def: $vgpr16_vgpr17
                                        ; implicit-def: $vgpr18
	s_and_saveexec_b64 s[20:21], vcc
	s_xor_b64 s[20:21], exec, s[20:21]
; %bb.5481:                             ;   in Loop: Header=BB4_5351 Depth=2
	v_cmp_lt_u64_e32 vcc, s[74:75], v[50:51]
	v_add_u32_e32 v16, 7, v23
	v_cndmask_b32_e32 v18, v19, v16, vcc
	v_cndmask_b32_e64 v16, 0, 1, vcc
	v_lshrrev_b64 v[16:17], v16, v[50:51]
; %bb.5482:                             ;   in Loop: Header=BB4_5351 Depth=2
	s_andn2_saveexec_b64 s[20:21], s[20:21]
; %bb.5483:                             ;   in Loop: Header=BB4_5351 Depth=2
	v_mov_b32_e32 v16, v50
	v_bfe_u32 v18, v50, 23, 1
	v_mov_b32_e32 v17, v51
; %bb.5484:                             ;   in Loop: Header=BB4_5351 Depth=2
	s_or_b64 exec, exec, s[20:21]
	v_lshrrev_b64 v[16:17], 20, v[16:17]
	v_cmp_gt_i32_e32 vcc, 16, v18
	v_cndmask_b32_e32 v17, 0, v17, vcc
	v_cndmask_b32_e32 v16, 7, v16, vcc
	v_cmp_ne_u64_e32 vcc, 0, v[16:17]
	v_cmp_ne_u32_e64 s[20:21], 0, v18
	s_or_b64 s[20:21], s[20:21], vcc
                                        ; implicit-def: $vgpr35
	s_and_saveexec_b64 vcc, s[20:21]
	s_xor_b64 s[20:21], exec, vcc
; %bb.5485:                             ;   in Loop: Header=BB4_5351 Depth=2
	v_min_i32_e32 v17, 15, v18
	v_lshl_or_b32 v0, v17, 3, v0
	v_and_or_b32 v35, v16, 7, v0
                                        ; implicit-def: $vgpr0
; %bb.5486:                             ;   in Loop: Header=BB4_5351 Depth=2
	s_andn2_saveexec_b64 s[20:21], s[20:21]
; %bb.5487:                             ;   in Loop: Header=BB4_5351 Depth=2
	v_mov_b32_e32 v35, v0
; %bb.5488:                             ;   in Loop: Header=BB4_5351 Depth=2
	s_or_b64 exec, exec, s[20:21]
.LBB4_5489:                             ;   in Loop: Header=BB4_5351 Depth=2
	s_or_b64 exec, exec, s[30:31]
                                        ; implicit-def: $vgpr0
.LBB4_5490:                             ;   in Loop: Header=BB4_5351 Depth=2
	s_andn2_saveexec_b64 s[20:21], s[94:95]
; %bb.5491:                             ;   in Loop: Header=BB4_5351 Depth=2
	v_or_b32_e32 v35, 0x7e, v0
; %bb.5492:                             ;   in Loop: Header=BB4_5351 Depth=2
	s_or_b64 exec, exec, s[20:21]
                                        ; implicit-def: $vgpr17
.LBB4_5493:                             ;   in Loop: Header=BB4_5351 Depth=2
	s_andn2_saveexec_b64 s[20:21], s[92:93]
; %bb.5494:                             ;   in Loop: Header=BB4_5351 Depth=2
	v_or_b32_sdwa v35, v17, s51 dst_sel:DWORD dst_unused:UNUSED_PAD src0_sel:BYTE_3 src1_sel:DWORD
; %bb.5495:                             ;   in Loop: Header=BB4_5351 Depth=2
	s_or_b64 exec, exec, s[20:21]
	v_and_b32_e32 v16, 0xff, v41
	v_cmp_ne_u16_e64 s[20:21], 0, v16
	s_and_b64 vcc, exec, s[18:19]
	s_mov_b64 s[92:93], -1
                                        ; implicit-def: $vgpr17
	s_cbranch_vccnz .LBB4_5509
; %bb.5496:                             ;   in Loop: Header=BB4_5351 Depth=2
	v_mov_b32_e32 v18, 0
	v_mov_b32_e32 v0, 0
	s_and_saveexec_b64 s[92:93], s[20:21]
	s_cbranch_execz .LBB4_5502
; %bb.5497:                             ;   in Loop: Header=BB4_5351 Depth=2
	v_cmp_ne_u16_e32 vcc, s49, v16
	v_bfrev_b32_e32 v0, 1
	s_and_saveexec_b64 s[94:95], vcc
	s_cbranch_execz .LBB4_5501
; %bb.5498:                             ;   in Loop: Header=BB4_5351 Depth=2
	v_and_b32_e32 v17, 0x7f, v41
	v_cmp_ne_u32_e32 vcc, s51, v17
	v_mov_b32_e32 v0, 0x7f800001
	s_and_saveexec_b64 s[30:31], vcc
	s_cbranch_execz .LBB4_5500
; %bb.5499:                             ;   in Loop: Header=BB4_5351 Depth=2
	v_and_b32_e32 v0, 7, v16
	v_lshrrev_b32_e32 v19, 3, v17
	v_cmp_gt_u32_e32 vcc, 8, v17
	v_ffbh_u32_e32 v17, v0
	v_min_u32_e32 v17, 32, v17
	v_subrev_u32_e32 v23, 28, v17
	v_lshlrev_b64 v[36:37], v23, v[16:17]
	v_sub_u32_e32 v17, 29, v17
	v_and_b32_e32 v23, 7, v36
	v_cndmask_b32_e32 v17, v19, v17, vcc
	v_cndmask_b32_e32 v0, v0, v23, vcc
	v_lshlrev_b32_e32 v19, 24, v41
	v_lshlrev_b32_e32 v0, 20, v0
	v_and_b32_e32 v19, 0x80000000, v19
	v_lshl_add_u32 v17, v17, 23, v62
	v_or3_b32 v0, v19, v17, v0
.LBB4_5500:                             ;   in Loop: Header=BB4_5351 Depth=2
	s_or_b64 exec, exec, s[30:31]
.LBB4_5501:                             ;   in Loop: Header=BB4_5351 Depth=2
	s_or_b64 exec, exec, s[94:95]
.LBB4_5502:                             ;   in Loop: Header=BB4_5351 Depth=2
	s_or_b64 exec, exec, s[92:93]
	v_and_b32_e32 v17, 0xff, v54
	v_cmp_ne_u16_e32 vcc, 0, v17
	s_and_saveexec_b64 s[92:93], vcc
	s_cbranch_execz .LBB4_5508
; %bb.5503:                             ;   in Loop: Header=BB4_5351 Depth=2
	v_cmp_ne_u16_e32 vcc, s49, v17
	v_bfrev_b32_e32 v18, 1
	s_and_saveexec_b64 s[94:95], vcc
	s_cbranch_execz .LBB4_5507
; %bb.5504:                             ;   in Loop: Header=BB4_5351 Depth=2
	v_and_b32_e32 v19, 0x7f, v54
	v_cmp_ne_u32_e32 vcc, s51, v19
	v_mov_b32_e32 v18, 0x7f800001
	s_and_saveexec_b64 s[30:31], vcc
	s_cbranch_execz .LBB4_5506
; %bb.5505:                             ;   in Loop: Header=BB4_5351 Depth=2
	v_and_b32_e32 v23, 7, v17
	v_ffbh_u32_e32 v18, v23
	v_lshrrev_b32_e32 v36, 3, v19
	v_cmp_gt_u32_e32 vcc, 8, v19
	v_min_u32_e32 v19, 32, v18
	v_subrev_u32_e32 v18, 28, v19
	v_lshlrev_b64 v[17:18], v18, v[17:18]
	v_sub_u32_e32 v18, 29, v19
	v_and_b32_e32 v17, 7, v17
	v_cndmask_b32_e32 v18, v36, v18, vcc
	v_cndmask_b32_e32 v17, v23, v17, vcc
	v_lshlrev_b32_e32 v19, 24, v54
	v_lshlrev_b32_e32 v17, 20, v17
	v_and_b32_e32 v19, 0x80000000, v19
	v_lshl_add_u32 v18, v18, 23, v62
	v_or3_b32 v18, v19, v18, v17
.LBB4_5506:                             ;   in Loop: Header=BB4_5351 Depth=2
	s_or_b64 exec, exec, s[30:31]
.LBB4_5507:                             ;   in Loop: Header=BB4_5351 Depth=2
	s_or_b64 exec, exec, s[94:95]
.LBB4_5508:                             ;   in Loop: Header=BB4_5351 Depth=2
	s_or_b64 exec, exec, s[92:93]
	v_max_f32_e32 v17, v18, v18
	v_max_f32_e32 v0, v0, v0
	;; [unrolled: 1-line block ×3, first 2 shown]
	s_mov_b64 s[92:93], 0
.LBB4_5509:                             ;   in Loop: Header=BB4_5351 Depth=2
	s_and_b64 vcc, exec, s[92:93]
	s_cbranch_vccz .LBB4_5523
; %bb.5510:                             ;   in Loop: Header=BB4_5351 Depth=2
	v_mov_b32_e32 v17, 0
	v_mov_b32_e32 v0, 0
	s_and_saveexec_b64 s[92:93], s[20:21]
	s_cbranch_execz .LBB4_5516
; %bb.5511:                             ;   in Loop: Header=BB4_5351 Depth=2
	v_cmp_ne_u16_e32 vcc, s49, v16
	v_bfrev_b32_e32 v0, 1
	s_and_saveexec_b64 s[20:21], vcc
	s_cbranch_execz .LBB4_5515
; %bb.5512:                             ;   in Loop: Header=BB4_5351 Depth=2
	v_and_b32_e32 v18, 0x7f, v41
	v_cmp_ne_u32_e32 vcc, s51, v18
	v_mov_b32_e32 v0, 0x7f800001
	s_and_saveexec_b64 s[94:95], vcc
	s_cbranch_execz .LBB4_5514
; %bb.5513:                             ;   in Loop: Header=BB4_5351 Depth=2
	v_and_b32_e32 v0, 7, v16
	v_lshrrev_b32_e32 v23, 3, v18
	v_cmp_gt_u32_e32 vcc, 8, v18
	v_ffbh_u32_e32 v18, v0
	v_min_u32_e32 v36, 32, v18
	v_subrev_u32_e32 v18, 28, v36
	v_lshlrev_b64 v[18:19], v18, v[16:17]
	v_sub_u32_e32 v16, 29, v36
	v_and_b32_e32 v18, 7, v18
	v_cndmask_b32_e32 v16, v23, v16, vcc
	v_cndmask_b32_e32 v0, v0, v18, vcc
	v_lshlrev_b32_e32 v18, 24, v41
	v_lshlrev_b32_e32 v0, 20, v0
	v_and_b32_e32 v18, 0x80000000, v18
	v_lshl_add_u32 v16, v16, 23, v62
	v_or3_b32 v0, v18, v16, v0
.LBB4_5514:                             ;   in Loop: Header=BB4_5351 Depth=2
	s_or_b64 exec, exec, s[94:95]
.LBB4_5515:                             ;   in Loop: Header=BB4_5351 Depth=2
	s_or_b64 exec, exec, s[20:21]
.LBB4_5516:                             ;   in Loop: Header=BB4_5351 Depth=2
	s_or_b64 exec, exec, s[92:93]
	v_and_b32_e32 v16, 0xff, v54
	v_cmp_ne_u16_e32 vcc, 0, v16
	s_and_saveexec_b64 s[20:21], vcc
	s_cbranch_execz .LBB4_5522
; %bb.5517:                             ;   in Loop: Header=BB4_5351 Depth=2
	v_cmp_ne_u16_e32 vcc, s49, v16
	v_bfrev_b32_e32 v17, 1
	s_and_saveexec_b64 s[92:93], vcc
	s_cbranch_execz .LBB4_5521
; %bb.5518:                             ;   in Loop: Header=BB4_5351 Depth=2
	v_and_b32_e32 v18, 0x7f, v54
	v_cmp_ne_u32_e32 vcc, s51, v18
	v_mov_b32_e32 v17, 0x7f800001
	s_and_saveexec_b64 s[94:95], vcc
	s_cbranch_execz .LBB4_5520
; %bb.5519:                             ;   in Loop: Header=BB4_5351 Depth=2
	v_and_b32_e32 v19, 7, v16
	v_ffbh_u32_e32 v17, v19
	v_lshrrev_b32_e32 v23, 3, v18
	v_cmp_gt_u32_e32 vcc, 8, v18
	v_min_u32_e32 v18, 32, v17
	v_subrev_u32_e32 v17, 28, v18
	v_lshlrev_b64 v[16:17], v17, v[16:17]
	v_sub_u32_e32 v17, 29, v18
	v_and_b32_e32 v16, 7, v16
	v_cndmask_b32_e32 v17, v23, v17, vcc
	v_cndmask_b32_e32 v16, v19, v16, vcc
	v_lshlrev_b32_e32 v18, 24, v54
	v_lshlrev_b32_e32 v16, 20, v16
	v_and_b32_e32 v18, 0x80000000, v18
	v_lshl_add_u32 v17, v17, 23, v62
	v_or3_b32 v17, v18, v17, v16
.LBB4_5520:                             ;   in Loop: Header=BB4_5351 Depth=2
	s_or_b64 exec, exec, s[94:95]
.LBB4_5521:                             ;   in Loop: Header=BB4_5351 Depth=2
	s_or_b64 exec, exec, s[92:93]
.LBB4_5522:                             ;   in Loop: Header=BB4_5351 Depth=2
	s_or_b64 exec, exec, s[20:21]
	v_max_f32_e32 v16, v17, v17
	v_max_f32_e32 v0, v0, v0
	v_min_f32_e32 v17, v0, v16
.LBB4_5523:                             ;   in Loop: Header=BB4_5351 Depth=2
	v_and_b32_e32 v50, 0x7f800000, v17
	v_cmp_ne_u64_e32 vcc, s[62:63], v[50:51]
                                        ; implicit-def: $vgpr41
	s_and_saveexec_b64 s[20:21], vcc
	s_xor_b64 s[92:93], exec, s[20:21]
	s_cbranch_execz .LBB4_5541
; %bb.5524:                             ;   in Loop: Header=BB4_5351 Depth=2
	v_and_b32_e32 v50, 0x7fffffff, v17
	v_cmp_gt_u64_e32 vcc, s[72:73], v[50:51]
	v_and_b32_sdwa v0, v17, s49 dst_sel:DWORD dst_unused:UNUSED_PAD src0_sel:BYTE_3 src1_sel:DWORD
                                        ; implicit-def: $vgpr41
	s_and_saveexec_b64 s[20:21], vcc
	s_xor_b64 s[94:95], exec, s[20:21]
	s_cbranch_execz .LBB4_5538
; %bb.5525:                             ;   in Loop: Header=BB4_5351 Depth=2
	v_cmp_ne_u32_e32 vcc, 0, v17
	v_mov_b32_e32 v41, 0
	s_and_saveexec_b64 s[30:31], vcc
	s_cbranch_execz .LBB4_5537
; %bb.5526:                             ;   in Loop: Header=BB4_5351 Depth=2
	v_bfe_u32 v19, v17, 23, 8
	v_and_b32_e32 v16, 0x7fffff, v17
	v_cmp_gt_u32_e64 s[20:21], s53, v19
	v_sub_u32_e32 v17, 0x79, v19
	v_cmp_eq_u32_e32 vcc, 0, v19
	v_cndmask_b32_e64 v17, 0, v17, s[20:21]
	v_mov_b32_e32 v23, 0x78
	v_or_b32_e32 v18, 0x800000, v16
	v_cndmask_b32_e32 v23, v17, v23, vcc
	v_cndmask_b32_e32 v50, v18, v16, vcc
	v_add_u32_e32 v16, 20, v23
	v_lshlrev_b64 v[16:17], v16, -1
	v_add_u32_e32 v18, 19, v23
	v_lshlrev_b64 v[36:37], v18, 1
	v_bfi_b32 v17, v17, 0, 0
	v_bfi_b32 v16, v16, 0, v50
	v_cmp_eq_u64_e64 s[20:21], v[16:17], v[36:37]
	v_lshrrev_b64 v[16:17], v23, v[50:51]
	v_mov_b32_e32 v18, v17
	v_mov_b32_e32 v17, v16
	s_and_saveexec_b64 s[34:35], s[20:21]
; %bb.5527:                             ;   in Loop: Header=BB4_5351 Depth=2
	v_bfe_u32 v17, v16, 20, 1
	v_add_co_u32_e64 v17, s[20:21], v16, v17
	v_add_co_u32_e64 v17, s[20:21], -1, v17
; %bb.5528:                             ;   in Loop: Header=BB4_5351 Depth=2
	s_or_b64 exec, exec, s[34:35]
	v_add_u32_e32 v18, 0xffffff81, v19
	v_cndmask_b32_e32 v18, v18, v49, vcc
	v_lshrrev_b32_e32 v19, 23, v16
	v_add3_u32 v23, v23, v18, v19
	v_add_u32_e32 v19, 6, v23
	v_and_b32_e32 v17, 0xfffff, v17
	v_add_u32_e32 v50, v17, v16
	v_cmp_ne_u32_e32 vcc, 0, v19
                                        ; implicit-def: $vgpr16_vgpr17
                                        ; implicit-def: $vgpr18
	s_and_saveexec_b64 s[20:21], vcc
	s_xor_b64 s[20:21], exec, s[20:21]
; %bb.5529:                             ;   in Loop: Header=BB4_5351 Depth=2
	v_cmp_lt_u64_e32 vcc, s[74:75], v[50:51]
	v_add_u32_e32 v16, 7, v23
	v_cndmask_b32_e32 v18, v19, v16, vcc
	v_cndmask_b32_e64 v16, 0, 1, vcc
	v_lshrrev_b64 v[16:17], v16, v[50:51]
; %bb.5530:                             ;   in Loop: Header=BB4_5351 Depth=2
	s_andn2_saveexec_b64 s[20:21], s[20:21]
; %bb.5531:                             ;   in Loop: Header=BB4_5351 Depth=2
	v_mov_b32_e32 v16, v50
	v_bfe_u32 v18, v50, 23, 1
	v_mov_b32_e32 v17, v51
; %bb.5532:                             ;   in Loop: Header=BB4_5351 Depth=2
	s_or_b64 exec, exec, s[20:21]
	v_lshrrev_b64 v[16:17], 20, v[16:17]
	v_cmp_gt_i32_e32 vcc, 16, v18
	v_cndmask_b32_e32 v17, 0, v17, vcc
	v_cndmask_b32_e32 v16, 7, v16, vcc
	v_cmp_ne_u64_e32 vcc, 0, v[16:17]
	v_cmp_ne_u32_e64 s[20:21], 0, v18
	s_or_b64 s[20:21], s[20:21], vcc
                                        ; implicit-def: $vgpr41
	s_and_saveexec_b64 vcc, s[20:21]
	s_xor_b64 s[20:21], exec, vcc
; %bb.5533:                             ;   in Loop: Header=BB4_5351 Depth=2
	v_min_i32_e32 v17, 15, v18
	v_lshl_or_b32 v0, v17, 3, v0
	v_and_or_b32 v41, v16, 7, v0
                                        ; implicit-def: $vgpr0
; %bb.5534:                             ;   in Loop: Header=BB4_5351 Depth=2
	s_andn2_saveexec_b64 s[20:21], s[20:21]
; %bb.5535:                             ;   in Loop: Header=BB4_5351 Depth=2
	v_mov_b32_e32 v41, v0
; %bb.5536:                             ;   in Loop: Header=BB4_5351 Depth=2
	s_or_b64 exec, exec, s[20:21]
.LBB4_5537:                             ;   in Loop: Header=BB4_5351 Depth=2
	s_or_b64 exec, exec, s[30:31]
                                        ; implicit-def: $vgpr0
.LBB4_5538:                             ;   in Loop: Header=BB4_5351 Depth=2
	s_andn2_saveexec_b64 s[20:21], s[94:95]
; %bb.5539:                             ;   in Loop: Header=BB4_5351 Depth=2
	v_or_b32_e32 v41, 0x7e, v0
; %bb.5540:                             ;   in Loop: Header=BB4_5351 Depth=2
	s_or_b64 exec, exec, s[20:21]
                                        ; implicit-def: $vgpr17
.LBB4_5541:                             ;   in Loop: Header=BB4_5351 Depth=2
	s_andn2_saveexec_b64 s[20:21], s[92:93]
; %bb.5542:                             ;   in Loop: Header=BB4_5351 Depth=2
	v_or_b32_sdwa v41, v17, s51 dst_sel:DWORD dst_unused:UNUSED_PAD src0_sel:BYTE_3 src1_sel:DWORD
; %bb.5543:                             ;   in Loop: Header=BB4_5351 Depth=2
	s_or_b64 exec, exec, s[20:21]
	v_and_b32_e32 v16, 0xff, v61
	v_cmp_ne_u16_e64 s[20:21], 0, v16
	s_and_b64 vcc, exec, s[18:19]
	s_mov_b64 s[92:93], -1
                                        ; implicit-def: $vgpr17
	s_cbranch_vccnz .LBB4_5557
; %bb.5544:                             ;   in Loop: Header=BB4_5351 Depth=2
	v_mov_b32_e32 v18, 0
	v_mov_b32_e32 v0, 0
	s_and_saveexec_b64 s[92:93], s[20:21]
	s_cbranch_execz .LBB4_5550
; %bb.5545:                             ;   in Loop: Header=BB4_5351 Depth=2
	v_cmp_ne_u16_e32 vcc, s49, v16
	v_bfrev_b32_e32 v0, 1
	s_and_saveexec_b64 s[94:95], vcc
	s_cbranch_execz .LBB4_5549
; %bb.5546:                             ;   in Loop: Header=BB4_5351 Depth=2
	v_and_b32_e32 v17, 0x7f, v61
	v_cmp_ne_u32_e32 vcc, s51, v17
	v_mov_b32_e32 v0, 0x7f800001
	s_and_saveexec_b64 s[30:31], vcc
	s_cbranch_execz .LBB4_5548
; %bb.5547:                             ;   in Loop: Header=BB4_5351 Depth=2
	v_and_b32_e32 v0, 7, v16
	v_lshrrev_b32_e32 v19, 3, v17
	v_cmp_gt_u32_e32 vcc, 8, v17
	v_ffbh_u32_e32 v17, v0
	v_min_u32_e32 v17, 32, v17
	v_subrev_u32_e32 v23, 28, v17
	v_lshlrev_b64 v[36:37], v23, v[16:17]
	v_sub_u32_e32 v17, 29, v17
	v_and_b32_e32 v23, 7, v36
	v_cndmask_b32_e32 v17, v19, v17, vcc
	v_cndmask_b32_e32 v0, v0, v23, vcc
	v_lshlrev_b32_e32 v19, 24, v61
	v_lshlrev_b32_e32 v0, 20, v0
	v_and_b32_e32 v19, 0x80000000, v19
	v_lshl_add_u32 v17, v17, 23, v62
	v_or3_b32 v0, v19, v17, v0
.LBB4_5548:                             ;   in Loop: Header=BB4_5351 Depth=2
	s_or_b64 exec, exec, s[30:31]
.LBB4_5549:                             ;   in Loop: Header=BB4_5351 Depth=2
	s_or_b64 exec, exec, s[94:95]
.LBB4_5550:                             ;   in Loop: Header=BB4_5351 Depth=2
	s_or_b64 exec, exec, s[92:93]
	v_and_b32_e32 v17, 0xff, v43
	v_cmp_ne_u16_e32 vcc, 0, v17
	s_and_saveexec_b64 s[92:93], vcc
	s_cbranch_execz .LBB4_5556
; %bb.5551:                             ;   in Loop: Header=BB4_5351 Depth=2
	v_cmp_ne_u16_e32 vcc, s49, v17
	v_bfrev_b32_e32 v18, 1
	s_and_saveexec_b64 s[94:95], vcc
	s_cbranch_execz .LBB4_5555
; %bb.5552:                             ;   in Loop: Header=BB4_5351 Depth=2
	v_and_b32_e32 v19, 0x7f, v43
	v_cmp_ne_u32_e32 vcc, s51, v19
	v_mov_b32_e32 v18, 0x7f800001
	s_and_saveexec_b64 s[30:31], vcc
	s_cbranch_execz .LBB4_5554
; %bb.5553:                             ;   in Loop: Header=BB4_5351 Depth=2
	v_and_b32_e32 v23, 7, v17
	v_ffbh_u32_e32 v18, v23
	v_lshrrev_b32_e32 v36, 3, v19
	v_cmp_gt_u32_e32 vcc, 8, v19
	v_min_u32_e32 v19, 32, v18
	v_subrev_u32_e32 v18, 28, v19
	v_lshlrev_b64 v[17:18], v18, v[17:18]
	v_sub_u32_e32 v18, 29, v19
	v_and_b32_e32 v17, 7, v17
	v_cndmask_b32_e32 v18, v36, v18, vcc
	v_cndmask_b32_e32 v17, v23, v17, vcc
	v_lshlrev_b32_e32 v19, 24, v43
	v_lshlrev_b32_e32 v17, 20, v17
	v_and_b32_e32 v19, 0x80000000, v19
	v_lshl_add_u32 v18, v18, 23, v62
	v_or3_b32 v18, v19, v18, v17
.LBB4_5554:                             ;   in Loop: Header=BB4_5351 Depth=2
	s_or_b64 exec, exec, s[30:31]
.LBB4_5555:                             ;   in Loop: Header=BB4_5351 Depth=2
	s_or_b64 exec, exec, s[94:95]
.LBB4_5556:                             ;   in Loop: Header=BB4_5351 Depth=2
	s_or_b64 exec, exec, s[92:93]
	v_max_f32_e32 v17, v18, v18
	v_max_f32_e32 v0, v0, v0
	;; [unrolled: 1-line block ×3, first 2 shown]
	s_mov_b64 s[92:93], 0
.LBB4_5557:                             ;   in Loop: Header=BB4_5351 Depth=2
	s_and_b64 vcc, exec, s[92:93]
	s_cbranch_vccz .LBB4_5571
; %bb.5558:                             ;   in Loop: Header=BB4_5351 Depth=2
	v_mov_b32_e32 v17, 0
	v_mov_b32_e32 v0, 0
	s_and_saveexec_b64 s[92:93], s[20:21]
	s_cbranch_execz .LBB4_5564
; %bb.5559:                             ;   in Loop: Header=BB4_5351 Depth=2
	v_cmp_ne_u16_e32 vcc, s49, v16
	v_bfrev_b32_e32 v0, 1
	s_and_saveexec_b64 s[20:21], vcc
	s_cbranch_execz .LBB4_5563
; %bb.5560:                             ;   in Loop: Header=BB4_5351 Depth=2
	v_and_b32_e32 v18, 0x7f, v61
	v_cmp_ne_u32_e32 vcc, s51, v18
	v_mov_b32_e32 v0, 0x7f800001
	s_and_saveexec_b64 s[94:95], vcc
	s_cbranch_execz .LBB4_5562
; %bb.5561:                             ;   in Loop: Header=BB4_5351 Depth=2
	v_and_b32_e32 v0, 7, v16
	v_lshrrev_b32_e32 v23, 3, v18
	v_cmp_gt_u32_e32 vcc, 8, v18
	v_ffbh_u32_e32 v18, v0
	v_min_u32_e32 v36, 32, v18
	v_subrev_u32_e32 v18, 28, v36
	v_lshlrev_b64 v[18:19], v18, v[16:17]
	v_sub_u32_e32 v16, 29, v36
	v_and_b32_e32 v18, 7, v18
	v_cndmask_b32_e32 v16, v23, v16, vcc
	v_cndmask_b32_e32 v0, v0, v18, vcc
	v_lshlrev_b32_e32 v18, 24, v61
	v_lshlrev_b32_e32 v0, 20, v0
	v_and_b32_e32 v18, 0x80000000, v18
	v_lshl_add_u32 v16, v16, 23, v62
	v_or3_b32 v0, v18, v16, v0
.LBB4_5562:                             ;   in Loop: Header=BB4_5351 Depth=2
	s_or_b64 exec, exec, s[94:95]
.LBB4_5563:                             ;   in Loop: Header=BB4_5351 Depth=2
	s_or_b64 exec, exec, s[20:21]
.LBB4_5564:                             ;   in Loop: Header=BB4_5351 Depth=2
	s_or_b64 exec, exec, s[92:93]
	v_and_b32_e32 v16, 0xff, v43
	v_cmp_ne_u16_e32 vcc, 0, v16
	s_and_saveexec_b64 s[20:21], vcc
	s_cbranch_execz .LBB4_5570
; %bb.5565:                             ;   in Loop: Header=BB4_5351 Depth=2
	v_cmp_ne_u16_e32 vcc, s49, v16
	v_bfrev_b32_e32 v17, 1
	s_and_saveexec_b64 s[92:93], vcc
	s_cbranch_execz .LBB4_5569
; %bb.5566:                             ;   in Loop: Header=BB4_5351 Depth=2
	v_and_b32_e32 v18, 0x7f, v43
	v_cmp_ne_u32_e32 vcc, s51, v18
	v_mov_b32_e32 v17, 0x7f800001
	s_and_saveexec_b64 s[94:95], vcc
	s_cbranch_execz .LBB4_5568
; %bb.5567:                             ;   in Loop: Header=BB4_5351 Depth=2
	v_and_b32_e32 v19, 7, v16
	v_ffbh_u32_e32 v17, v19
	v_lshrrev_b32_e32 v23, 3, v18
	v_cmp_gt_u32_e32 vcc, 8, v18
	v_min_u32_e32 v18, 32, v17
	v_subrev_u32_e32 v17, 28, v18
	v_lshlrev_b64 v[16:17], v17, v[16:17]
	v_sub_u32_e32 v17, 29, v18
	v_and_b32_e32 v16, 7, v16
	v_cndmask_b32_e32 v17, v23, v17, vcc
	v_cndmask_b32_e32 v16, v19, v16, vcc
	v_lshlrev_b32_e32 v18, 24, v43
	v_lshlrev_b32_e32 v16, 20, v16
	v_and_b32_e32 v18, 0x80000000, v18
	v_lshl_add_u32 v17, v17, 23, v62
	v_or3_b32 v17, v18, v17, v16
.LBB4_5568:                             ;   in Loop: Header=BB4_5351 Depth=2
	s_or_b64 exec, exec, s[94:95]
.LBB4_5569:                             ;   in Loop: Header=BB4_5351 Depth=2
	s_or_b64 exec, exec, s[92:93]
.LBB4_5570:                             ;   in Loop: Header=BB4_5351 Depth=2
	s_or_b64 exec, exec, s[20:21]
	v_max_f32_e32 v16, v17, v17
	v_max_f32_e32 v0, v0, v0
	v_min_f32_e32 v17, v0, v16
.LBB4_5571:                             ;   in Loop: Header=BB4_5351 Depth=2
	v_and_b32_e32 v50, 0x7f800000, v17
	v_cmp_ne_u64_e32 vcc, s[62:63], v[50:51]
                                        ; implicit-def: $vgpr43
	s_and_saveexec_b64 s[20:21], vcc
	s_xor_b64 s[92:93], exec, s[20:21]
	s_cbranch_execz .LBB4_5589
; %bb.5572:                             ;   in Loop: Header=BB4_5351 Depth=2
	v_and_b32_e32 v50, 0x7fffffff, v17
	v_cmp_gt_u64_e32 vcc, s[72:73], v[50:51]
	v_and_b32_sdwa v0, v17, s49 dst_sel:DWORD dst_unused:UNUSED_PAD src0_sel:BYTE_3 src1_sel:DWORD
                                        ; implicit-def: $vgpr43
	s_and_saveexec_b64 s[20:21], vcc
	s_xor_b64 s[94:95], exec, s[20:21]
	s_cbranch_execz .LBB4_5586
; %bb.5573:                             ;   in Loop: Header=BB4_5351 Depth=2
	v_cmp_ne_u32_e32 vcc, 0, v17
	v_mov_b32_e32 v43, 0
	s_and_saveexec_b64 s[30:31], vcc
	s_cbranch_execz .LBB4_5585
; %bb.5574:                             ;   in Loop: Header=BB4_5351 Depth=2
	v_bfe_u32 v19, v17, 23, 8
	v_and_b32_e32 v16, 0x7fffff, v17
	v_cmp_gt_u32_e64 s[20:21], s53, v19
	v_sub_u32_e32 v17, 0x79, v19
	v_cmp_eq_u32_e32 vcc, 0, v19
	v_cndmask_b32_e64 v17, 0, v17, s[20:21]
	v_mov_b32_e32 v23, 0x78
	v_or_b32_e32 v18, 0x800000, v16
	v_cndmask_b32_e32 v23, v17, v23, vcc
	v_cndmask_b32_e32 v50, v18, v16, vcc
	v_add_u32_e32 v16, 20, v23
	v_lshlrev_b64 v[16:17], v16, -1
	v_add_u32_e32 v18, 19, v23
	v_lshlrev_b64 v[36:37], v18, 1
	v_bfi_b32 v17, v17, 0, 0
	v_bfi_b32 v16, v16, 0, v50
	v_cmp_eq_u64_e64 s[20:21], v[16:17], v[36:37]
	v_lshrrev_b64 v[16:17], v23, v[50:51]
	v_mov_b32_e32 v18, v17
	v_mov_b32_e32 v17, v16
	s_and_saveexec_b64 s[34:35], s[20:21]
; %bb.5575:                             ;   in Loop: Header=BB4_5351 Depth=2
	v_bfe_u32 v17, v16, 20, 1
	v_add_co_u32_e64 v17, s[20:21], v16, v17
	v_add_co_u32_e64 v17, s[20:21], -1, v17
; %bb.5576:                             ;   in Loop: Header=BB4_5351 Depth=2
	s_or_b64 exec, exec, s[34:35]
	v_add_u32_e32 v18, 0xffffff81, v19
	v_cndmask_b32_e32 v18, v18, v49, vcc
	v_lshrrev_b32_e32 v19, 23, v16
	v_add3_u32 v23, v23, v18, v19
	v_add_u32_e32 v19, 6, v23
	v_and_b32_e32 v17, 0xfffff, v17
	v_add_u32_e32 v50, v17, v16
	v_cmp_ne_u32_e32 vcc, 0, v19
                                        ; implicit-def: $vgpr16_vgpr17
                                        ; implicit-def: $vgpr18
	s_and_saveexec_b64 s[20:21], vcc
	s_xor_b64 s[20:21], exec, s[20:21]
; %bb.5577:                             ;   in Loop: Header=BB4_5351 Depth=2
	v_cmp_lt_u64_e32 vcc, s[74:75], v[50:51]
	v_add_u32_e32 v16, 7, v23
	v_cndmask_b32_e32 v18, v19, v16, vcc
	v_cndmask_b32_e64 v16, 0, 1, vcc
	v_lshrrev_b64 v[16:17], v16, v[50:51]
; %bb.5578:                             ;   in Loop: Header=BB4_5351 Depth=2
	s_andn2_saveexec_b64 s[20:21], s[20:21]
; %bb.5579:                             ;   in Loop: Header=BB4_5351 Depth=2
	v_mov_b32_e32 v16, v50
	v_bfe_u32 v18, v50, 23, 1
	v_mov_b32_e32 v17, v51
; %bb.5580:                             ;   in Loop: Header=BB4_5351 Depth=2
	s_or_b64 exec, exec, s[20:21]
	v_lshrrev_b64 v[16:17], 20, v[16:17]
	v_cmp_gt_i32_e32 vcc, 16, v18
	v_cndmask_b32_e32 v17, 0, v17, vcc
	v_cndmask_b32_e32 v16, 7, v16, vcc
	v_cmp_ne_u64_e32 vcc, 0, v[16:17]
	v_cmp_ne_u32_e64 s[20:21], 0, v18
	s_or_b64 s[20:21], s[20:21], vcc
                                        ; implicit-def: $vgpr43
	s_and_saveexec_b64 vcc, s[20:21]
	s_xor_b64 s[20:21], exec, vcc
; %bb.5581:                             ;   in Loop: Header=BB4_5351 Depth=2
	v_min_i32_e32 v17, 15, v18
	v_lshl_or_b32 v0, v17, 3, v0
	v_and_or_b32 v43, v16, 7, v0
                                        ; implicit-def: $vgpr0
; %bb.5582:                             ;   in Loop: Header=BB4_5351 Depth=2
	s_andn2_saveexec_b64 s[20:21], s[20:21]
; %bb.5583:                             ;   in Loop: Header=BB4_5351 Depth=2
	v_mov_b32_e32 v43, v0
; %bb.5584:                             ;   in Loop: Header=BB4_5351 Depth=2
	s_or_b64 exec, exec, s[20:21]
.LBB4_5585:                             ;   in Loop: Header=BB4_5351 Depth=2
	s_or_b64 exec, exec, s[30:31]
                                        ; implicit-def: $vgpr0
.LBB4_5586:                             ;   in Loop: Header=BB4_5351 Depth=2
	s_andn2_saveexec_b64 s[20:21], s[94:95]
; %bb.5587:                             ;   in Loop: Header=BB4_5351 Depth=2
	v_or_b32_e32 v43, 0x7e, v0
; %bb.5588:                             ;   in Loop: Header=BB4_5351 Depth=2
	s_or_b64 exec, exec, s[20:21]
                                        ; implicit-def: $vgpr17
.LBB4_5589:                             ;   in Loop: Header=BB4_5351 Depth=2
	s_andn2_saveexec_b64 s[20:21], s[92:93]
; %bb.5590:                             ;   in Loop: Header=BB4_5351 Depth=2
	v_or_b32_sdwa v43, v17, s51 dst_sel:DWORD dst_unused:UNUSED_PAD src0_sel:BYTE_3 src1_sel:DWORD
; %bb.5591:                             ;   in Loop: Header=BB4_5351 Depth=2
	s_or_b64 exec, exec, s[20:21]
	v_and_b32_e32 v16, 0xff, v60
	v_cmp_ne_u16_e64 s[20:21], 0, v16
	s_and_b64 vcc, exec, s[18:19]
	s_mov_b64 s[92:93], -1
                                        ; implicit-def: $vgpr17
	s_cbranch_vccnz .LBB4_5605
; %bb.5592:                             ;   in Loop: Header=BB4_5351 Depth=2
	v_mov_b32_e32 v18, 0
	v_mov_b32_e32 v0, 0
	s_and_saveexec_b64 s[92:93], s[20:21]
	s_cbranch_execz .LBB4_5598
; %bb.5593:                             ;   in Loop: Header=BB4_5351 Depth=2
	v_cmp_ne_u16_e32 vcc, s49, v16
	v_bfrev_b32_e32 v0, 1
	s_and_saveexec_b64 s[94:95], vcc
	s_cbranch_execz .LBB4_5597
; %bb.5594:                             ;   in Loop: Header=BB4_5351 Depth=2
	v_and_b32_e32 v17, 0x7f, v60
	v_cmp_ne_u32_e32 vcc, s51, v17
	v_mov_b32_e32 v0, 0x7f800001
	s_and_saveexec_b64 s[30:31], vcc
	s_cbranch_execz .LBB4_5596
; %bb.5595:                             ;   in Loop: Header=BB4_5351 Depth=2
	v_and_b32_e32 v0, 7, v16
	v_lshrrev_b32_e32 v19, 3, v17
	v_cmp_gt_u32_e32 vcc, 8, v17
	v_ffbh_u32_e32 v17, v0
	v_min_u32_e32 v17, 32, v17
	v_subrev_u32_e32 v23, 28, v17
	v_lshlrev_b64 v[36:37], v23, v[16:17]
	v_sub_u32_e32 v17, 29, v17
	v_and_b32_e32 v23, 7, v36
	v_cndmask_b32_e32 v17, v19, v17, vcc
	v_cndmask_b32_e32 v0, v0, v23, vcc
	v_lshlrev_b32_e32 v19, 24, v60
	v_lshlrev_b32_e32 v0, 20, v0
	v_and_b32_e32 v19, 0x80000000, v19
	v_lshl_add_u32 v17, v17, 23, v62
	v_or3_b32 v0, v19, v17, v0
.LBB4_5596:                             ;   in Loop: Header=BB4_5351 Depth=2
	s_or_b64 exec, exec, s[30:31]
.LBB4_5597:                             ;   in Loop: Header=BB4_5351 Depth=2
	s_or_b64 exec, exec, s[94:95]
.LBB4_5598:                             ;   in Loop: Header=BB4_5351 Depth=2
	s_or_b64 exec, exec, s[92:93]
	v_and_b32_e32 v17, 0xff, v46
	v_cmp_ne_u16_e32 vcc, 0, v17
	s_and_saveexec_b64 s[92:93], vcc
	s_cbranch_execz .LBB4_5604
; %bb.5599:                             ;   in Loop: Header=BB4_5351 Depth=2
	v_cmp_ne_u16_e32 vcc, s49, v17
	v_bfrev_b32_e32 v18, 1
	s_and_saveexec_b64 s[94:95], vcc
	s_cbranch_execz .LBB4_5603
; %bb.5600:                             ;   in Loop: Header=BB4_5351 Depth=2
	v_and_b32_e32 v19, 0x7f, v46
	v_cmp_ne_u32_e32 vcc, s51, v19
	v_mov_b32_e32 v18, 0x7f800001
	s_and_saveexec_b64 s[30:31], vcc
	s_cbranch_execz .LBB4_5602
; %bb.5601:                             ;   in Loop: Header=BB4_5351 Depth=2
	v_and_b32_e32 v23, 7, v17
	v_ffbh_u32_e32 v18, v23
	v_lshrrev_b32_e32 v36, 3, v19
	v_cmp_gt_u32_e32 vcc, 8, v19
	v_min_u32_e32 v19, 32, v18
	v_subrev_u32_e32 v18, 28, v19
	v_lshlrev_b64 v[17:18], v18, v[17:18]
	v_sub_u32_e32 v18, 29, v19
	v_and_b32_e32 v17, 7, v17
	v_cndmask_b32_e32 v18, v36, v18, vcc
	v_cndmask_b32_e32 v17, v23, v17, vcc
	v_lshlrev_b32_e32 v19, 24, v46
	v_lshlrev_b32_e32 v17, 20, v17
	v_and_b32_e32 v19, 0x80000000, v19
	v_lshl_add_u32 v18, v18, 23, v62
	v_or3_b32 v18, v19, v18, v17
.LBB4_5602:                             ;   in Loop: Header=BB4_5351 Depth=2
	s_or_b64 exec, exec, s[30:31]
.LBB4_5603:                             ;   in Loop: Header=BB4_5351 Depth=2
	s_or_b64 exec, exec, s[94:95]
.LBB4_5604:                             ;   in Loop: Header=BB4_5351 Depth=2
	s_or_b64 exec, exec, s[92:93]
	v_max_f32_e32 v17, v18, v18
	v_max_f32_e32 v0, v0, v0
	;; [unrolled: 1-line block ×3, first 2 shown]
	s_mov_b64 s[92:93], 0
.LBB4_5605:                             ;   in Loop: Header=BB4_5351 Depth=2
	s_and_b64 vcc, exec, s[92:93]
	s_cbranch_vccz .LBB4_5619
; %bb.5606:                             ;   in Loop: Header=BB4_5351 Depth=2
	v_mov_b32_e32 v17, 0
	v_mov_b32_e32 v0, 0
	s_and_saveexec_b64 s[92:93], s[20:21]
	s_cbranch_execz .LBB4_5612
; %bb.5607:                             ;   in Loop: Header=BB4_5351 Depth=2
	v_cmp_ne_u16_e32 vcc, s49, v16
	v_bfrev_b32_e32 v0, 1
	s_and_saveexec_b64 s[20:21], vcc
	s_cbranch_execz .LBB4_5611
; %bb.5608:                             ;   in Loop: Header=BB4_5351 Depth=2
	v_and_b32_e32 v18, 0x7f, v60
	v_cmp_ne_u32_e32 vcc, s51, v18
	v_mov_b32_e32 v0, 0x7f800001
	s_and_saveexec_b64 s[94:95], vcc
	s_cbranch_execz .LBB4_5610
; %bb.5609:                             ;   in Loop: Header=BB4_5351 Depth=2
	v_and_b32_e32 v0, 7, v16
	v_lshrrev_b32_e32 v23, 3, v18
	v_cmp_gt_u32_e32 vcc, 8, v18
	v_ffbh_u32_e32 v18, v0
	v_min_u32_e32 v36, 32, v18
	v_subrev_u32_e32 v18, 28, v36
	v_lshlrev_b64 v[18:19], v18, v[16:17]
	v_sub_u32_e32 v16, 29, v36
	v_and_b32_e32 v18, 7, v18
	v_cndmask_b32_e32 v16, v23, v16, vcc
	v_cndmask_b32_e32 v0, v0, v18, vcc
	v_lshlrev_b32_e32 v18, 24, v60
	v_lshlrev_b32_e32 v0, 20, v0
	v_and_b32_e32 v18, 0x80000000, v18
	v_lshl_add_u32 v16, v16, 23, v62
	v_or3_b32 v0, v18, v16, v0
.LBB4_5610:                             ;   in Loop: Header=BB4_5351 Depth=2
	s_or_b64 exec, exec, s[94:95]
.LBB4_5611:                             ;   in Loop: Header=BB4_5351 Depth=2
	s_or_b64 exec, exec, s[20:21]
.LBB4_5612:                             ;   in Loop: Header=BB4_5351 Depth=2
	s_or_b64 exec, exec, s[92:93]
	v_and_b32_e32 v16, 0xff, v46
	v_cmp_ne_u16_e32 vcc, 0, v16
	s_and_saveexec_b64 s[20:21], vcc
	s_cbranch_execz .LBB4_5618
; %bb.5613:                             ;   in Loop: Header=BB4_5351 Depth=2
	v_cmp_ne_u16_e32 vcc, s49, v16
	v_bfrev_b32_e32 v17, 1
	s_and_saveexec_b64 s[92:93], vcc
	s_cbranch_execz .LBB4_5617
; %bb.5614:                             ;   in Loop: Header=BB4_5351 Depth=2
	v_and_b32_e32 v18, 0x7f, v46
	v_cmp_ne_u32_e32 vcc, s51, v18
	v_mov_b32_e32 v17, 0x7f800001
	s_and_saveexec_b64 s[94:95], vcc
	s_cbranch_execz .LBB4_5616
; %bb.5615:                             ;   in Loop: Header=BB4_5351 Depth=2
	v_and_b32_e32 v19, 7, v16
	v_ffbh_u32_e32 v17, v19
	v_lshrrev_b32_e32 v23, 3, v18
	v_cmp_gt_u32_e32 vcc, 8, v18
	v_min_u32_e32 v18, 32, v17
	v_subrev_u32_e32 v17, 28, v18
	v_lshlrev_b64 v[16:17], v17, v[16:17]
	v_sub_u32_e32 v17, 29, v18
	v_and_b32_e32 v16, 7, v16
	v_cndmask_b32_e32 v17, v23, v17, vcc
	v_cndmask_b32_e32 v16, v19, v16, vcc
	v_lshlrev_b32_e32 v18, 24, v46
	v_lshlrev_b32_e32 v16, 20, v16
	v_and_b32_e32 v18, 0x80000000, v18
	v_lshl_add_u32 v17, v17, 23, v62
	v_or3_b32 v17, v18, v17, v16
.LBB4_5616:                             ;   in Loop: Header=BB4_5351 Depth=2
	s_or_b64 exec, exec, s[94:95]
.LBB4_5617:                             ;   in Loop: Header=BB4_5351 Depth=2
	s_or_b64 exec, exec, s[92:93]
.LBB4_5618:                             ;   in Loop: Header=BB4_5351 Depth=2
	s_or_b64 exec, exec, s[20:21]
	v_max_f32_e32 v16, v17, v17
	v_max_f32_e32 v0, v0, v0
	v_min_f32_e32 v17, v0, v16
.LBB4_5619:                             ;   in Loop: Header=BB4_5351 Depth=2
	v_and_b32_e32 v50, 0x7f800000, v17
	v_cmp_ne_u64_e32 vcc, s[62:63], v[50:51]
                                        ; implicit-def: $vgpr46
	s_and_saveexec_b64 s[20:21], vcc
	s_xor_b64 s[92:93], exec, s[20:21]
	s_cbranch_execz .LBB4_5637
; %bb.5620:                             ;   in Loop: Header=BB4_5351 Depth=2
	v_and_b32_e32 v50, 0x7fffffff, v17
	v_cmp_gt_u64_e32 vcc, s[72:73], v[50:51]
	v_and_b32_sdwa v0, v17, s49 dst_sel:DWORD dst_unused:UNUSED_PAD src0_sel:BYTE_3 src1_sel:DWORD
                                        ; implicit-def: $vgpr46
	s_and_saveexec_b64 s[20:21], vcc
	s_xor_b64 s[94:95], exec, s[20:21]
	s_cbranch_execz .LBB4_5634
; %bb.5621:                             ;   in Loop: Header=BB4_5351 Depth=2
	v_cmp_ne_u32_e32 vcc, 0, v17
	v_mov_b32_e32 v46, 0
	s_and_saveexec_b64 s[30:31], vcc
	s_cbranch_execz .LBB4_5633
; %bb.5622:                             ;   in Loop: Header=BB4_5351 Depth=2
	v_bfe_u32 v19, v17, 23, 8
	v_and_b32_e32 v16, 0x7fffff, v17
	v_cmp_gt_u32_e64 s[20:21], s53, v19
	v_sub_u32_e32 v17, 0x79, v19
	v_cmp_eq_u32_e32 vcc, 0, v19
	v_cndmask_b32_e64 v17, 0, v17, s[20:21]
	v_mov_b32_e32 v23, 0x78
	v_or_b32_e32 v18, 0x800000, v16
	v_cndmask_b32_e32 v23, v17, v23, vcc
	v_cndmask_b32_e32 v50, v18, v16, vcc
	v_add_u32_e32 v16, 20, v23
	v_lshlrev_b64 v[16:17], v16, -1
	v_add_u32_e32 v18, 19, v23
	v_lshlrev_b64 v[36:37], v18, 1
	v_bfi_b32 v17, v17, 0, 0
	v_bfi_b32 v16, v16, 0, v50
	v_cmp_eq_u64_e64 s[20:21], v[16:17], v[36:37]
	v_lshrrev_b64 v[16:17], v23, v[50:51]
	v_mov_b32_e32 v18, v17
	v_mov_b32_e32 v17, v16
	s_and_saveexec_b64 s[34:35], s[20:21]
; %bb.5623:                             ;   in Loop: Header=BB4_5351 Depth=2
	v_bfe_u32 v17, v16, 20, 1
	v_add_co_u32_e64 v17, s[20:21], v16, v17
	v_add_co_u32_e64 v17, s[20:21], -1, v17
; %bb.5624:                             ;   in Loop: Header=BB4_5351 Depth=2
	s_or_b64 exec, exec, s[34:35]
	v_add_u32_e32 v18, 0xffffff81, v19
	v_cndmask_b32_e32 v18, v18, v49, vcc
	v_lshrrev_b32_e32 v19, 23, v16
	v_add3_u32 v23, v23, v18, v19
	v_add_u32_e32 v19, 6, v23
	v_and_b32_e32 v17, 0xfffff, v17
	v_add_u32_e32 v50, v17, v16
	v_cmp_ne_u32_e32 vcc, 0, v19
                                        ; implicit-def: $vgpr16_vgpr17
                                        ; implicit-def: $vgpr18
	s_and_saveexec_b64 s[20:21], vcc
	s_xor_b64 s[20:21], exec, s[20:21]
; %bb.5625:                             ;   in Loop: Header=BB4_5351 Depth=2
	v_cmp_lt_u64_e32 vcc, s[74:75], v[50:51]
	v_add_u32_e32 v16, 7, v23
	v_cndmask_b32_e32 v18, v19, v16, vcc
	v_cndmask_b32_e64 v16, 0, 1, vcc
	v_lshrrev_b64 v[16:17], v16, v[50:51]
; %bb.5626:                             ;   in Loop: Header=BB4_5351 Depth=2
	s_andn2_saveexec_b64 s[20:21], s[20:21]
; %bb.5627:                             ;   in Loop: Header=BB4_5351 Depth=2
	v_mov_b32_e32 v16, v50
	v_bfe_u32 v18, v50, 23, 1
	v_mov_b32_e32 v17, v51
; %bb.5628:                             ;   in Loop: Header=BB4_5351 Depth=2
	s_or_b64 exec, exec, s[20:21]
	v_lshrrev_b64 v[16:17], 20, v[16:17]
	v_cmp_gt_i32_e32 vcc, 16, v18
	v_cndmask_b32_e32 v17, 0, v17, vcc
	v_cndmask_b32_e32 v16, 7, v16, vcc
	v_cmp_ne_u64_e32 vcc, 0, v[16:17]
	v_cmp_ne_u32_e64 s[20:21], 0, v18
	s_or_b64 s[20:21], s[20:21], vcc
                                        ; implicit-def: $vgpr46
	s_and_saveexec_b64 vcc, s[20:21]
	s_xor_b64 s[20:21], exec, vcc
; %bb.5629:                             ;   in Loop: Header=BB4_5351 Depth=2
	v_min_i32_e32 v17, 15, v18
	v_lshl_or_b32 v0, v17, 3, v0
	v_and_or_b32 v46, v16, 7, v0
                                        ; implicit-def: $vgpr0
; %bb.5630:                             ;   in Loop: Header=BB4_5351 Depth=2
	s_andn2_saveexec_b64 s[20:21], s[20:21]
; %bb.5631:                             ;   in Loop: Header=BB4_5351 Depth=2
	v_mov_b32_e32 v46, v0
; %bb.5632:                             ;   in Loop: Header=BB4_5351 Depth=2
	s_or_b64 exec, exec, s[20:21]
.LBB4_5633:                             ;   in Loop: Header=BB4_5351 Depth=2
	s_or_b64 exec, exec, s[30:31]
                                        ; implicit-def: $vgpr0
.LBB4_5634:                             ;   in Loop: Header=BB4_5351 Depth=2
	s_andn2_saveexec_b64 s[20:21], s[94:95]
; %bb.5635:                             ;   in Loop: Header=BB4_5351 Depth=2
	v_or_b32_e32 v46, 0x7e, v0
; %bb.5636:                             ;   in Loop: Header=BB4_5351 Depth=2
	s_or_b64 exec, exec, s[20:21]
                                        ; implicit-def: $vgpr17
.LBB4_5637:                             ;   in Loop: Header=BB4_5351 Depth=2
	s_andn2_saveexec_b64 s[20:21], s[92:93]
; %bb.5638:                             ;   in Loop: Header=BB4_5351 Depth=2
	v_or_b32_sdwa v46, v17, s51 dst_sel:DWORD dst_unused:UNUSED_PAD src0_sel:BYTE_3 src1_sel:DWORD
; %bb.5639:                             ;   in Loop: Header=BB4_5351 Depth=2
	s_or_b64 exec, exec, s[20:21]
	v_and_b32_e32 v16, 0xff, v56
	v_cmp_ne_u16_e64 s[20:21], 0, v16
	s_and_b64 vcc, exec, s[18:19]
	s_mov_b64 s[92:93], -1
                                        ; implicit-def: $vgpr17
	s_cbranch_vccnz .LBB4_5653
; %bb.5640:                             ;   in Loop: Header=BB4_5351 Depth=2
	v_mov_b32_e32 v18, 0
	v_mov_b32_e32 v0, 0
	s_and_saveexec_b64 s[92:93], s[20:21]
	s_cbranch_execz .LBB4_5646
; %bb.5641:                             ;   in Loop: Header=BB4_5351 Depth=2
	v_cmp_ne_u16_e32 vcc, s49, v16
	v_bfrev_b32_e32 v0, 1
	s_and_saveexec_b64 s[94:95], vcc
	s_cbranch_execz .LBB4_5645
; %bb.5642:                             ;   in Loop: Header=BB4_5351 Depth=2
	v_and_b32_e32 v17, 0x7f, v56
	v_cmp_ne_u32_e32 vcc, s51, v17
	v_mov_b32_e32 v0, 0x7f800001
	s_and_saveexec_b64 s[30:31], vcc
	s_cbranch_execz .LBB4_5644
; %bb.5643:                             ;   in Loop: Header=BB4_5351 Depth=2
	v_and_b32_e32 v0, 7, v16
	v_lshrrev_b32_e32 v19, 3, v17
	v_cmp_gt_u32_e32 vcc, 8, v17
	v_ffbh_u32_e32 v17, v0
	v_min_u32_e32 v17, 32, v17
	v_subrev_u32_e32 v23, 28, v17
	v_lshlrev_b64 v[36:37], v23, v[16:17]
	v_sub_u32_e32 v17, 29, v17
	v_and_b32_e32 v23, 7, v36
	v_cndmask_b32_e32 v17, v19, v17, vcc
	v_cndmask_b32_e32 v0, v0, v23, vcc
	v_lshlrev_b32_e32 v19, 24, v56
	v_lshlrev_b32_e32 v0, 20, v0
	v_and_b32_e32 v19, 0x80000000, v19
	v_lshl_add_u32 v17, v17, 23, v62
	v_or3_b32 v0, v19, v17, v0
.LBB4_5644:                             ;   in Loop: Header=BB4_5351 Depth=2
	s_or_b64 exec, exec, s[30:31]
.LBB4_5645:                             ;   in Loop: Header=BB4_5351 Depth=2
	s_or_b64 exec, exec, s[94:95]
.LBB4_5646:                             ;   in Loop: Header=BB4_5351 Depth=2
	s_or_b64 exec, exec, s[92:93]
	v_and_b32_e32 v17, 0xff, v1
	v_cmp_ne_u16_e32 vcc, 0, v17
	s_and_saveexec_b64 s[92:93], vcc
	s_cbranch_execz .LBB4_5652
; %bb.5647:                             ;   in Loop: Header=BB4_5351 Depth=2
	v_cmp_ne_u16_e32 vcc, s49, v17
	v_bfrev_b32_e32 v18, 1
	s_and_saveexec_b64 s[94:95], vcc
	s_cbranch_execz .LBB4_5651
; %bb.5648:                             ;   in Loop: Header=BB4_5351 Depth=2
	v_and_b32_e32 v19, 0x7f, v1
	v_cmp_ne_u32_e32 vcc, s51, v19
	v_mov_b32_e32 v18, 0x7f800001
	s_and_saveexec_b64 s[30:31], vcc
	s_cbranch_execz .LBB4_5650
; %bb.5649:                             ;   in Loop: Header=BB4_5351 Depth=2
	v_and_b32_e32 v23, 7, v17
	v_ffbh_u32_e32 v18, v23
	v_lshrrev_b32_e32 v36, 3, v19
	v_cmp_gt_u32_e32 vcc, 8, v19
	v_min_u32_e32 v19, 32, v18
	v_subrev_u32_e32 v18, 28, v19
	v_lshlrev_b64 v[17:18], v18, v[17:18]
	v_sub_u32_e32 v18, 29, v19
	v_and_b32_e32 v17, 7, v17
	v_cndmask_b32_e32 v18, v36, v18, vcc
	v_cndmask_b32_e32 v17, v23, v17, vcc
	v_lshlrev_b32_e32 v19, 24, v1
	v_lshlrev_b32_e32 v17, 20, v17
	v_and_b32_e32 v19, 0x80000000, v19
	v_lshl_add_u32 v18, v18, 23, v62
	v_or3_b32 v18, v19, v18, v17
.LBB4_5650:                             ;   in Loop: Header=BB4_5351 Depth=2
	s_or_b64 exec, exec, s[30:31]
.LBB4_5651:                             ;   in Loop: Header=BB4_5351 Depth=2
	s_or_b64 exec, exec, s[94:95]
.LBB4_5652:                             ;   in Loop: Header=BB4_5351 Depth=2
	s_or_b64 exec, exec, s[92:93]
	v_max_f32_e32 v17, v18, v18
	v_max_f32_e32 v0, v0, v0
	;; [unrolled: 1-line block ×3, first 2 shown]
	s_mov_b64 s[92:93], 0
.LBB4_5653:                             ;   in Loop: Header=BB4_5351 Depth=2
	s_and_b64 vcc, exec, s[92:93]
	s_cbranch_vccz .LBB4_5667
; %bb.5654:                             ;   in Loop: Header=BB4_5351 Depth=2
	v_mov_b32_e32 v17, 0
	v_mov_b32_e32 v0, 0
	s_and_saveexec_b64 s[92:93], s[20:21]
	s_cbranch_execz .LBB4_5660
; %bb.5655:                             ;   in Loop: Header=BB4_5351 Depth=2
	v_cmp_ne_u16_e32 vcc, s49, v16
	v_bfrev_b32_e32 v0, 1
	s_and_saveexec_b64 s[20:21], vcc
	s_cbranch_execz .LBB4_5659
; %bb.5656:                             ;   in Loop: Header=BB4_5351 Depth=2
	v_and_b32_e32 v18, 0x7f, v56
	v_cmp_ne_u32_e32 vcc, s51, v18
	v_mov_b32_e32 v0, 0x7f800001
	s_and_saveexec_b64 s[94:95], vcc
	s_cbranch_execz .LBB4_5658
; %bb.5657:                             ;   in Loop: Header=BB4_5351 Depth=2
	v_and_b32_e32 v0, 7, v16
	v_lshrrev_b32_e32 v23, 3, v18
	v_cmp_gt_u32_e32 vcc, 8, v18
	v_ffbh_u32_e32 v18, v0
	v_min_u32_e32 v36, 32, v18
	v_subrev_u32_e32 v18, 28, v36
	v_lshlrev_b64 v[18:19], v18, v[16:17]
	v_sub_u32_e32 v16, 29, v36
	v_and_b32_e32 v18, 7, v18
	v_cndmask_b32_e32 v16, v23, v16, vcc
	v_cndmask_b32_e32 v0, v0, v18, vcc
	v_lshlrev_b32_e32 v18, 24, v56
	v_lshlrev_b32_e32 v0, 20, v0
	v_and_b32_e32 v18, 0x80000000, v18
	v_lshl_add_u32 v16, v16, 23, v62
	v_or3_b32 v0, v18, v16, v0
.LBB4_5658:                             ;   in Loop: Header=BB4_5351 Depth=2
	s_or_b64 exec, exec, s[94:95]
.LBB4_5659:                             ;   in Loop: Header=BB4_5351 Depth=2
	s_or_b64 exec, exec, s[20:21]
.LBB4_5660:                             ;   in Loop: Header=BB4_5351 Depth=2
	s_or_b64 exec, exec, s[92:93]
	v_and_b32_e32 v16, 0xff, v1
	v_cmp_ne_u16_e32 vcc, 0, v16
	s_and_saveexec_b64 s[20:21], vcc
	s_cbranch_execz .LBB4_5666
; %bb.5661:                             ;   in Loop: Header=BB4_5351 Depth=2
	v_cmp_ne_u16_e32 vcc, s49, v16
	v_bfrev_b32_e32 v17, 1
	s_and_saveexec_b64 s[92:93], vcc
	s_cbranch_execz .LBB4_5665
; %bb.5662:                             ;   in Loop: Header=BB4_5351 Depth=2
	v_and_b32_e32 v18, 0x7f, v1
	v_cmp_ne_u32_e32 vcc, s51, v18
	v_mov_b32_e32 v17, 0x7f800001
	s_and_saveexec_b64 s[94:95], vcc
	s_cbranch_execz .LBB4_5664
; %bb.5663:                             ;   in Loop: Header=BB4_5351 Depth=2
	v_and_b32_e32 v19, 7, v16
	v_ffbh_u32_e32 v17, v19
	v_lshrrev_b32_e32 v23, 3, v18
	v_cmp_gt_u32_e32 vcc, 8, v18
	v_min_u32_e32 v18, 32, v17
	v_subrev_u32_e32 v17, 28, v18
	v_lshlrev_b64 v[16:17], v17, v[16:17]
	v_sub_u32_e32 v17, 29, v18
	v_and_b32_e32 v16, 7, v16
	v_cndmask_b32_e32 v17, v23, v17, vcc
	v_cndmask_b32_e32 v16, v19, v16, vcc
	v_lshlrev_b32_e32 v1, 24, v1
	v_lshlrev_b32_e32 v16, 20, v16
	v_and_b32_e32 v1, 0x80000000, v1
	v_lshl_add_u32 v17, v17, 23, v62
	v_or3_b32 v17, v1, v17, v16
.LBB4_5664:                             ;   in Loop: Header=BB4_5351 Depth=2
	s_or_b64 exec, exec, s[94:95]
.LBB4_5665:                             ;   in Loop: Header=BB4_5351 Depth=2
	s_or_b64 exec, exec, s[92:93]
.LBB4_5666:                             ;   in Loop: Header=BB4_5351 Depth=2
	s_or_b64 exec, exec, s[20:21]
	v_max_f32_e32 v1, v17, v17
	v_max_f32_e32 v0, v0, v0
	v_min_f32_e32 v17, v0, v1
.LBB4_5667:                             ;   in Loop: Header=BB4_5351 Depth=2
	v_and_b32_e32 v50, 0x7f800000, v17
	v_cmp_ne_u64_e32 vcc, s[62:63], v[50:51]
                                        ; implicit-def: $vgpr56
	s_and_saveexec_b64 s[20:21], vcc
	s_xor_b64 s[92:93], exec, s[20:21]
	s_cbranch_execz .LBB4_5685
; %bb.5668:                             ;   in Loop: Header=BB4_5351 Depth=2
	v_and_b32_e32 v50, 0x7fffffff, v17
	v_cmp_gt_u64_e32 vcc, s[72:73], v[50:51]
	v_and_b32_sdwa v0, v17, s49 dst_sel:DWORD dst_unused:UNUSED_PAD src0_sel:BYTE_3 src1_sel:DWORD
                                        ; implicit-def: $vgpr56
	s_and_saveexec_b64 s[20:21], vcc
	s_xor_b64 s[94:95], exec, s[20:21]
	s_cbranch_execz .LBB4_5682
; %bb.5669:                             ;   in Loop: Header=BB4_5351 Depth=2
	v_cmp_ne_u32_e32 vcc, 0, v17
	v_mov_b32_e32 v56, 0
	s_and_saveexec_b64 s[30:31], vcc
	s_cbranch_execz .LBB4_5681
; %bb.5670:                             ;   in Loop: Header=BB4_5351 Depth=2
	v_bfe_u32 v1, v17, 23, 8
	v_and_b32_e32 v16, 0x7fffff, v17
	v_cmp_gt_u32_e64 s[20:21], s53, v1
	v_sub_u32_e32 v17, 0x79, v1
	v_cmp_eq_u32_e32 vcc, 0, v1
	v_cndmask_b32_e64 v17, 0, v17, s[20:21]
	v_mov_b32_e32 v19, 0x78
	v_or_b32_e32 v18, 0x800000, v16
	v_cndmask_b32_e32 v19, v17, v19, vcc
	v_cndmask_b32_e32 v50, v18, v16, vcc
	v_add_u32_e32 v16, 20, v19
	v_lshlrev_b64 v[16:17], v16, -1
	v_add_u32_e32 v18, 19, v19
	v_lshlrev_b64 v[36:37], v18, 1
	v_bfi_b32 v17, v17, 0, 0
	v_bfi_b32 v16, v16, 0, v50
	v_cmp_eq_u64_e64 s[20:21], v[16:17], v[36:37]
	v_lshrrev_b64 v[16:17], v19, v[50:51]
	v_mov_b32_e32 v18, v17
	v_mov_b32_e32 v17, v16
	s_and_saveexec_b64 s[34:35], s[20:21]
; %bb.5671:                             ;   in Loop: Header=BB4_5351 Depth=2
	v_bfe_u32 v17, v16, 20, 1
	v_add_co_u32_e64 v17, s[20:21], v16, v17
	v_add_co_u32_e64 v17, s[20:21], -1, v17
; %bb.5672:                             ;   in Loop: Header=BB4_5351 Depth=2
	s_or_b64 exec, exec, s[34:35]
	v_add_u32_e32 v1, 0xffffff81, v1
	v_cndmask_b32_e32 v1, v1, v49, vcc
	v_lshrrev_b32_e32 v18, 23, v16
	v_add3_u32 v19, v19, v1, v18
	v_add_u32_e32 v18, 6, v19
	v_and_b32_e32 v1, 0xfffff, v17
	v_add_u32_e32 v50, v1, v16
	v_cmp_ne_u32_e32 vcc, 0, v18
                                        ; implicit-def: $vgpr16_vgpr17
                                        ; implicit-def: $vgpr1
	s_and_saveexec_b64 s[20:21], vcc
	s_xor_b64 s[20:21], exec, s[20:21]
; %bb.5673:                             ;   in Loop: Header=BB4_5351 Depth=2
	v_cmp_lt_u64_e32 vcc, s[74:75], v[50:51]
	v_add_u32_e32 v1, 7, v19
	v_cndmask_b32_e64 v16, 0, 1, vcc
	v_lshrrev_b64 v[16:17], v16, v[50:51]
	v_cndmask_b32_e32 v1, v18, v1, vcc
; %bb.5674:                             ;   in Loop: Header=BB4_5351 Depth=2
	s_andn2_saveexec_b64 s[20:21], s[20:21]
; %bb.5675:                             ;   in Loop: Header=BB4_5351 Depth=2
	v_mov_b32_e32 v16, v50
	v_bfe_u32 v1, v50, 23, 1
	v_mov_b32_e32 v17, v51
; %bb.5676:                             ;   in Loop: Header=BB4_5351 Depth=2
	s_or_b64 exec, exec, s[20:21]
	v_lshrrev_b64 v[16:17], 20, v[16:17]
	v_cmp_gt_i32_e32 vcc, 16, v1
	v_cndmask_b32_e32 v17, 0, v17, vcc
	v_cndmask_b32_e32 v16, 7, v16, vcc
	v_cmp_ne_u64_e32 vcc, 0, v[16:17]
	v_cmp_ne_u32_e64 s[20:21], 0, v1
	s_or_b64 s[20:21], s[20:21], vcc
                                        ; implicit-def: $vgpr56
	s_and_saveexec_b64 vcc, s[20:21]
	s_xor_b64 s[20:21], exec, vcc
; %bb.5677:                             ;   in Loop: Header=BB4_5351 Depth=2
	v_min_i32_e32 v1, 15, v1
	v_lshl_or_b32 v0, v1, 3, v0
	v_and_or_b32 v56, v16, 7, v0
                                        ; implicit-def: $vgpr0
; %bb.5678:                             ;   in Loop: Header=BB4_5351 Depth=2
	s_andn2_saveexec_b64 s[20:21], s[20:21]
; %bb.5679:                             ;   in Loop: Header=BB4_5351 Depth=2
	v_mov_b32_e32 v56, v0
; %bb.5680:                             ;   in Loop: Header=BB4_5351 Depth=2
	s_or_b64 exec, exec, s[20:21]
.LBB4_5681:                             ;   in Loop: Header=BB4_5351 Depth=2
	s_or_b64 exec, exec, s[30:31]
                                        ; implicit-def: $vgpr0
.LBB4_5682:                             ;   in Loop: Header=BB4_5351 Depth=2
	s_andn2_saveexec_b64 s[20:21], s[94:95]
; %bb.5683:                             ;   in Loop: Header=BB4_5351 Depth=2
	v_or_b32_e32 v56, 0x7e, v0
; %bb.5684:                             ;   in Loop: Header=BB4_5351 Depth=2
	s_or_b64 exec, exec, s[20:21]
                                        ; implicit-def: $vgpr17
.LBB4_5685:                             ;   in Loop: Header=BB4_5351 Depth=2
	s_andn2_saveexec_b64 s[20:21], s[92:93]
; %bb.5686:                             ;   in Loop: Header=BB4_5351 Depth=2
	v_or_b32_sdwa v56, v17, s51 dst_sel:DWORD dst_unused:UNUSED_PAD src0_sel:BYTE_3 src1_sel:DWORD
; %bb.5687:                             ;   in Loop: Header=BB4_5351 Depth=2
	s_or_b64 exec, exec, s[20:21]
	v_and_b32_e32 v16, 0xff, v59
	v_cmp_ne_u16_e64 s[20:21], 0, v16
	s_and_b64 vcc, exec, s[18:19]
	s_mov_b64 s[92:93], -1
                                        ; implicit-def: $vgpr1
	s_cbranch_vccnz .LBB4_5701
; %bb.5688:                             ;   in Loop: Header=BB4_5351 Depth=2
	v_mov_b32_e32 v1, 0
	v_mov_b32_e32 v0, 0
	s_and_saveexec_b64 s[92:93], s[20:21]
	s_cbranch_execz .LBB4_5694
; %bb.5689:                             ;   in Loop: Header=BB4_5351 Depth=2
	v_cmp_ne_u16_e32 vcc, s49, v16
	v_bfrev_b32_e32 v0, 1
	s_and_saveexec_b64 s[94:95], vcc
	s_cbranch_execz .LBB4_5693
; %bb.5690:                             ;   in Loop: Header=BB4_5351 Depth=2
	v_and_b32_e32 v17, 0x7f, v59
	v_cmp_ne_u32_e32 vcc, s51, v17
	v_mov_b32_e32 v0, 0x7f800001
	s_and_saveexec_b64 s[30:31], vcc
	s_cbranch_execz .LBB4_5692
; %bb.5691:                             ;   in Loop: Header=BB4_5351 Depth=2
	v_and_b32_e32 v0, 7, v16
	v_lshrrev_b32_e32 v19, 3, v17
	v_cmp_gt_u32_e32 vcc, 8, v17
	v_ffbh_u32_e32 v17, v0
	v_min_u32_e32 v23, 32, v17
	v_subrev_u32_e32 v17, 28, v23
	v_lshlrev_b64 v[17:18], v17, v[16:17]
	v_sub_u32_e32 v18, 29, v23
	v_and_b32_e32 v17, 7, v17
	v_cndmask_b32_e32 v18, v19, v18, vcc
	v_cndmask_b32_e32 v0, v0, v17, vcc
	v_lshlrev_b32_e32 v17, 24, v59
	v_lshlrev_b32_e32 v0, 20, v0
	v_and_b32_e32 v17, 0x80000000, v17
	v_lshl_add_u32 v18, v18, 23, v62
	v_or3_b32 v0, v17, v18, v0
.LBB4_5692:                             ;   in Loop: Header=BB4_5351 Depth=2
	s_or_b64 exec, exec, s[30:31]
.LBB4_5693:                             ;   in Loop: Header=BB4_5351 Depth=2
	s_or_b64 exec, exec, s[94:95]
.LBB4_5694:                             ;   in Loop: Header=BB4_5351 Depth=2
	s_or_b64 exec, exec, s[92:93]
	v_and_b32_e32 v17, 0xff, v26
	v_cmp_ne_u16_e32 vcc, 0, v17
	s_and_saveexec_b64 s[92:93], vcc
	s_cbranch_execz .LBB4_5700
; %bb.5695:                             ;   in Loop: Header=BB4_5351 Depth=2
	v_cmp_ne_u16_e32 vcc, s49, v17
	v_bfrev_b32_e32 v1, 1
	s_and_saveexec_b64 s[94:95], vcc
	s_cbranch_execz .LBB4_5699
; %bb.5696:                             ;   in Loop: Header=BB4_5351 Depth=2
	v_and_b32_e32 v18, 0x7f, v26
	v_cmp_ne_u32_e32 vcc, s51, v18
	v_mov_b32_e32 v1, 0x7f800001
	s_and_saveexec_b64 s[30:31], vcc
	s_cbranch_execz .LBB4_5698
; %bb.5697:                             ;   in Loop: Header=BB4_5351 Depth=2
	v_and_b32_e32 v1, 7, v17
	v_lshrrev_b32_e32 v19, 3, v18
	v_cmp_gt_u32_e32 vcc, 8, v18
	v_ffbh_u32_e32 v18, v1
	v_min_u32_e32 v23, 32, v18
	v_subrev_u32_e32 v18, 28, v23
	v_lshlrev_b64 v[17:18], v18, v[17:18]
	v_sub_u32_e32 v18, 29, v23
	v_and_b32_e32 v17, 7, v17
	v_cndmask_b32_e32 v18, v19, v18, vcc
	v_cndmask_b32_e32 v1, v1, v17, vcc
	v_lshlrev_b32_e32 v17, 24, v26
	v_lshlrev_b32_e32 v1, 20, v1
	v_and_b32_e32 v17, 0x80000000, v17
	v_lshl_add_u32 v18, v18, 23, v62
	v_or3_b32 v1, v17, v18, v1
.LBB4_5698:                             ;   in Loop: Header=BB4_5351 Depth=2
	s_or_b64 exec, exec, s[30:31]
.LBB4_5699:                             ;   in Loop: Header=BB4_5351 Depth=2
	s_or_b64 exec, exec, s[94:95]
.LBB4_5700:                             ;   in Loop: Header=BB4_5351 Depth=2
	s_or_b64 exec, exec, s[92:93]
	v_max_f32_e32 v1, v1, v1
	v_max_f32_e32 v0, v0, v0
	;; [unrolled: 1-line block ×3, first 2 shown]
	s_mov_b64 s[92:93], 0
.LBB4_5701:                             ;   in Loop: Header=BB4_5351 Depth=2
	s_and_b64 vcc, exec, s[92:93]
	s_cbranch_vccz .LBB4_5715
; %bb.5702:                             ;   in Loop: Header=BB4_5351 Depth=2
	v_mov_b32_e32 v1, 0
	v_mov_b32_e32 v0, 0
	s_and_saveexec_b64 s[92:93], s[20:21]
	s_cbranch_execz .LBB4_5708
; %bb.5703:                             ;   in Loop: Header=BB4_5351 Depth=2
	v_cmp_ne_u16_e32 vcc, s49, v16
	v_bfrev_b32_e32 v0, 1
	s_and_saveexec_b64 s[20:21], vcc
	s_cbranch_execz .LBB4_5707
; %bb.5704:                             ;   in Loop: Header=BB4_5351 Depth=2
	v_and_b32_e32 v17, 0x7f, v59
	v_cmp_ne_u32_e32 vcc, s51, v17
	v_mov_b32_e32 v0, 0x7f800001
	s_and_saveexec_b64 s[94:95], vcc
	s_cbranch_execz .LBB4_5706
; %bb.5705:                             ;   in Loop: Header=BB4_5351 Depth=2
	v_and_b32_e32 v0, 7, v16
	v_lshrrev_b32_e32 v18, 3, v17
	v_cmp_gt_u32_e32 vcc, 8, v17
	v_ffbh_u32_e32 v17, v0
	v_min_u32_e32 v19, 32, v17
	v_subrev_u32_e32 v17, 28, v19
	v_lshlrev_b64 v[16:17], v17, v[16:17]
	v_sub_u32_e32 v17, 29, v19
	v_and_b32_e32 v16, 7, v16
	v_cndmask_b32_e32 v17, v18, v17, vcc
	v_cndmask_b32_e32 v0, v0, v16, vcc
	v_lshlrev_b32_e32 v16, 24, v59
	v_lshlrev_b32_e32 v0, 20, v0
	v_and_b32_e32 v16, 0x80000000, v16
	v_lshl_add_u32 v17, v17, 23, v62
	v_or3_b32 v0, v16, v17, v0
.LBB4_5706:                             ;   in Loop: Header=BB4_5351 Depth=2
	s_or_b64 exec, exec, s[94:95]
.LBB4_5707:                             ;   in Loop: Header=BB4_5351 Depth=2
	s_or_b64 exec, exec, s[20:21]
.LBB4_5708:                             ;   in Loop: Header=BB4_5351 Depth=2
	s_or_b64 exec, exec, s[92:93]
	v_and_b32_e32 v16, 0xff, v26
	v_cmp_ne_u16_e32 vcc, 0, v16
	s_and_saveexec_b64 s[20:21], vcc
	s_cbranch_execz .LBB4_5714
; %bb.5709:                             ;   in Loop: Header=BB4_5351 Depth=2
	v_cmp_ne_u16_e32 vcc, s49, v16
	v_bfrev_b32_e32 v1, 1
	s_and_saveexec_b64 s[92:93], vcc
	s_cbranch_execz .LBB4_5713
; %bb.5710:                             ;   in Loop: Header=BB4_5351 Depth=2
	v_and_b32_e32 v17, 0x7f, v26
	v_cmp_ne_u32_e32 vcc, s51, v17
	v_mov_b32_e32 v1, 0x7f800001
	s_and_saveexec_b64 s[94:95], vcc
	s_cbranch_execz .LBB4_5712
; %bb.5711:                             ;   in Loop: Header=BB4_5351 Depth=2
	v_and_b32_e32 v1, 7, v16
	v_lshrrev_b32_e32 v18, 3, v17
	v_cmp_gt_u32_e32 vcc, 8, v17
	v_ffbh_u32_e32 v17, v1
	v_min_u32_e32 v19, 32, v17
	v_subrev_u32_e32 v17, 28, v19
	v_lshlrev_b64 v[16:17], v17, v[16:17]
	v_sub_u32_e32 v17, 29, v19
	v_and_b32_e32 v16, 7, v16
	v_cndmask_b32_e32 v17, v18, v17, vcc
	v_cndmask_b32_e32 v1, v1, v16, vcc
	v_lshlrev_b32_e32 v16, 24, v26
	v_lshlrev_b32_e32 v1, 20, v1
	v_and_b32_e32 v16, 0x80000000, v16
	v_lshl_add_u32 v17, v17, 23, v62
	v_or3_b32 v1, v16, v17, v1
.LBB4_5712:                             ;   in Loop: Header=BB4_5351 Depth=2
	s_or_b64 exec, exec, s[94:95]
.LBB4_5713:                             ;   in Loop: Header=BB4_5351 Depth=2
	s_or_b64 exec, exec, s[92:93]
.LBB4_5714:                             ;   in Loop: Header=BB4_5351 Depth=2
	s_or_b64 exec, exec, s[20:21]
	v_max_f32_e32 v1, v1, v1
	v_max_f32_e32 v0, v0, v0
	v_min_f32_e32 v1, v0, v1
.LBB4_5715:                             ;   in Loop: Header=BB4_5351 Depth=2
	v_and_b32_e32 v50, 0x7f800000, v1
	v_cmp_ne_u64_e32 vcc, s[62:63], v[50:51]
                                        ; implicit-def: $vgpr59
	s_and_saveexec_b64 s[20:21], vcc
	s_xor_b64 s[92:93], exec, s[20:21]
	s_cbranch_execz .LBB4_5733
; %bb.5716:                             ;   in Loop: Header=BB4_5351 Depth=2
	v_and_b32_e32 v50, 0x7fffffff, v1
	v_cmp_gt_u64_e32 vcc, s[72:73], v[50:51]
	v_and_b32_sdwa v0, v1, s49 dst_sel:DWORD dst_unused:UNUSED_PAD src0_sel:BYTE_3 src1_sel:DWORD
                                        ; implicit-def: $vgpr59
	s_and_saveexec_b64 s[20:21], vcc
	s_xor_b64 s[94:95], exec, s[20:21]
	s_cbranch_execz .LBB4_5730
; %bb.5717:                             ;   in Loop: Header=BB4_5351 Depth=2
	v_cmp_ne_u32_e32 vcc, 0, v1
	v_mov_b32_e32 v59, 0
	s_and_saveexec_b64 s[30:31], vcc
	s_cbranch_execz .LBB4_5729
; %bb.5718:                             ;   in Loop: Header=BB4_5351 Depth=2
	v_and_b32_e32 v16, 0x7fffff, v1
	v_bfe_u32 v1, v1, 23, 8
	v_cmp_gt_u32_e64 s[20:21], s53, v1
	v_sub_u32_e32 v17, 0x79, v1
	v_cmp_eq_u32_e32 vcc, 0, v1
	v_cndmask_b32_e64 v17, 0, v17, s[20:21]
	v_mov_b32_e32 v19, 0x78
	v_or_b32_e32 v18, 0x800000, v16
	v_cndmask_b32_e32 v19, v17, v19, vcc
	v_cndmask_b32_e32 v50, v18, v16, vcc
	v_add_u32_e32 v16, 20, v19
	v_lshlrev_b64 v[16:17], v16, -1
	v_add_u32_e32 v18, 19, v19
	v_lshlrev_b64 v[36:37], v18, 1
	v_bfi_b32 v17, v17, 0, 0
	v_bfi_b32 v16, v16, 0, v50
	v_cmp_eq_u64_e64 s[20:21], v[16:17], v[36:37]
	v_lshrrev_b64 v[16:17], v19, v[50:51]
	v_mov_b32_e32 v18, v17
	v_mov_b32_e32 v17, v16
	s_and_saveexec_b64 s[34:35], s[20:21]
; %bb.5719:                             ;   in Loop: Header=BB4_5351 Depth=2
	v_bfe_u32 v17, v16, 20, 1
	v_add_co_u32_e64 v17, s[20:21], v16, v17
	v_add_co_u32_e64 v17, s[20:21], -1, v17
; %bb.5720:                             ;   in Loop: Header=BB4_5351 Depth=2
	s_or_b64 exec, exec, s[34:35]
	v_add_u32_e32 v1, 0xffffff81, v1
	v_cndmask_b32_e32 v1, v1, v49, vcc
	v_lshrrev_b32_e32 v18, 23, v16
	v_add3_u32 v19, v19, v1, v18
	v_add_u32_e32 v18, 6, v19
	v_and_b32_e32 v1, 0xfffff, v17
	v_add_u32_e32 v50, v1, v16
	v_cmp_ne_u32_e32 vcc, 0, v18
                                        ; implicit-def: $vgpr16_vgpr17
                                        ; implicit-def: $vgpr1
	s_and_saveexec_b64 s[20:21], vcc
	s_xor_b64 s[20:21], exec, s[20:21]
; %bb.5721:                             ;   in Loop: Header=BB4_5351 Depth=2
	v_cmp_lt_u64_e32 vcc, s[74:75], v[50:51]
	v_add_u32_e32 v1, 7, v19
	v_cndmask_b32_e64 v16, 0, 1, vcc
	v_lshrrev_b64 v[16:17], v16, v[50:51]
	v_cndmask_b32_e32 v1, v18, v1, vcc
; %bb.5722:                             ;   in Loop: Header=BB4_5351 Depth=2
	s_andn2_saveexec_b64 s[20:21], s[20:21]
; %bb.5723:                             ;   in Loop: Header=BB4_5351 Depth=2
	v_mov_b32_e32 v16, v50
	v_bfe_u32 v1, v50, 23, 1
	v_mov_b32_e32 v17, v51
; %bb.5724:                             ;   in Loop: Header=BB4_5351 Depth=2
	s_or_b64 exec, exec, s[20:21]
	v_lshrrev_b64 v[16:17], 20, v[16:17]
	v_cmp_gt_i32_e32 vcc, 16, v1
	v_cndmask_b32_e32 v17, 0, v17, vcc
	v_cndmask_b32_e32 v16, 7, v16, vcc
	v_cmp_ne_u64_e32 vcc, 0, v[16:17]
	v_cmp_ne_u32_e64 s[20:21], 0, v1
	s_or_b64 s[20:21], s[20:21], vcc
                                        ; implicit-def: $vgpr59
	s_and_saveexec_b64 vcc, s[20:21]
	s_xor_b64 s[20:21], exec, vcc
; %bb.5725:                             ;   in Loop: Header=BB4_5351 Depth=2
	v_min_i32_e32 v1, 15, v1
	v_lshl_or_b32 v0, v1, 3, v0
	v_and_or_b32 v59, v16, 7, v0
                                        ; implicit-def: $vgpr0
; %bb.5726:                             ;   in Loop: Header=BB4_5351 Depth=2
	s_andn2_saveexec_b64 s[20:21], s[20:21]
; %bb.5727:                             ;   in Loop: Header=BB4_5351 Depth=2
	v_mov_b32_e32 v59, v0
; %bb.5728:                             ;   in Loop: Header=BB4_5351 Depth=2
	s_or_b64 exec, exec, s[20:21]
.LBB4_5729:                             ;   in Loop: Header=BB4_5351 Depth=2
	s_or_b64 exec, exec, s[30:31]
                                        ; implicit-def: $vgpr0
.LBB4_5730:                             ;   in Loop: Header=BB4_5351 Depth=2
	s_andn2_saveexec_b64 s[20:21], s[94:95]
; %bb.5731:                             ;   in Loop: Header=BB4_5351 Depth=2
	v_or_b32_e32 v59, 0x7e, v0
; %bb.5732:                             ;   in Loop: Header=BB4_5351 Depth=2
	s_or_b64 exec, exec, s[20:21]
                                        ; implicit-def: $vgpr1
.LBB4_5733:                             ;   in Loop: Header=BB4_5351 Depth=2
	s_andn2_saveexec_b64 s[20:21], s[92:93]
; %bb.5734:                             ;   in Loop: Header=BB4_5351 Depth=2
	v_or_b32_sdwa v59, v1, s51 dst_sel:DWORD dst_unused:UNUSED_PAD src0_sel:BYTE_3 src1_sel:DWORD
; %bb.5735:                             ;   in Loop: Header=BB4_5351 Depth=2
	s_or_b64 exec, exec, s[20:21]
	v_and_b32_e32 v16, 0xff, v58
	v_cmp_ne_u16_e64 s[20:21], 0, v16
	s_and_b64 vcc, exec, s[18:19]
	s_mov_b64 s[92:93], -1
                                        ; implicit-def: $vgpr1
	s_cbranch_vccnz .LBB4_5749
; %bb.5736:                             ;   in Loop: Header=BB4_5351 Depth=2
	v_mov_b32_e32 v1, 0
	v_mov_b32_e32 v0, 0
	s_and_saveexec_b64 s[92:93], s[20:21]
	s_cbranch_execz .LBB4_5742
; %bb.5737:                             ;   in Loop: Header=BB4_5351 Depth=2
	v_cmp_ne_u16_e32 vcc, s49, v16
	v_bfrev_b32_e32 v0, 1
	s_and_saveexec_b64 s[94:95], vcc
	s_cbranch_execz .LBB4_5741
; %bb.5738:                             ;   in Loop: Header=BB4_5351 Depth=2
	v_and_b32_e32 v17, 0x7f, v58
	v_cmp_ne_u32_e32 vcc, s51, v17
	v_mov_b32_e32 v0, 0x7f800001
	s_and_saveexec_b64 s[30:31], vcc
	s_cbranch_execz .LBB4_5740
; %bb.5739:                             ;   in Loop: Header=BB4_5351 Depth=2
	v_and_b32_e32 v0, 7, v16
	v_lshrrev_b32_e32 v19, 3, v17
	v_cmp_gt_u32_e32 vcc, 8, v17
	v_ffbh_u32_e32 v17, v0
	v_min_u32_e32 v23, 32, v17
	v_subrev_u32_e32 v17, 28, v23
	v_lshlrev_b64 v[17:18], v17, v[16:17]
	v_sub_u32_e32 v18, 29, v23
	v_and_b32_e32 v17, 7, v17
	v_cndmask_b32_e32 v18, v19, v18, vcc
	v_cndmask_b32_e32 v0, v0, v17, vcc
	v_lshlrev_b32_e32 v17, 24, v58
	v_lshlrev_b32_e32 v0, 20, v0
	v_and_b32_e32 v17, 0x80000000, v17
	v_lshl_add_u32 v18, v18, 23, v62
	v_or3_b32 v0, v17, v18, v0
.LBB4_5740:                             ;   in Loop: Header=BB4_5351 Depth=2
	s_or_b64 exec, exec, s[30:31]
.LBB4_5741:                             ;   in Loop: Header=BB4_5351 Depth=2
	s_or_b64 exec, exec, s[94:95]
.LBB4_5742:                             ;   in Loop: Header=BB4_5351 Depth=2
	s_or_b64 exec, exec, s[92:93]
	v_and_b32_e32 v17, 0xff, v57
	v_cmp_ne_u16_e32 vcc, 0, v17
	s_and_saveexec_b64 s[92:93], vcc
	s_cbranch_execz .LBB4_5748
; %bb.5743:                             ;   in Loop: Header=BB4_5351 Depth=2
	v_cmp_ne_u16_e32 vcc, s49, v17
	v_bfrev_b32_e32 v1, 1
	s_and_saveexec_b64 s[94:95], vcc
	s_cbranch_execz .LBB4_5747
; %bb.5744:                             ;   in Loop: Header=BB4_5351 Depth=2
	v_and_b32_e32 v18, 0x7f, v57
	v_cmp_ne_u32_e32 vcc, s51, v18
	v_mov_b32_e32 v1, 0x7f800001
	s_and_saveexec_b64 s[30:31], vcc
	s_cbranch_execz .LBB4_5746
; %bb.5745:                             ;   in Loop: Header=BB4_5351 Depth=2
	v_and_b32_e32 v1, 7, v17
	v_lshrrev_b32_e32 v19, 3, v18
	v_cmp_gt_u32_e32 vcc, 8, v18
	v_ffbh_u32_e32 v18, v1
	v_min_u32_e32 v23, 32, v18
	v_subrev_u32_e32 v18, 28, v23
	v_lshlrev_b64 v[17:18], v18, v[17:18]
	v_sub_u32_e32 v18, 29, v23
	v_and_b32_e32 v17, 7, v17
	v_cndmask_b32_e32 v18, v19, v18, vcc
	v_cndmask_b32_e32 v1, v1, v17, vcc
	v_lshlrev_b32_e32 v17, 24, v57
	v_lshlrev_b32_e32 v1, 20, v1
	v_and_b32_e32 v17, 0x80000000, v17
	v_lshl_add_u32 v18, v18, 23, v62
	v_or3_b32 v1, v17, v18, v1
.LBB4_5746:                             ;   in Loop: Header=BB4_5351 Depth=2
	s_or_b64 exec, exec, s[30:31]
.LBB4_5747:                             ;   in Loop: Header=BB4_5351 Depth=2
	s_or_b64 exec, exec, s[94:95]
.LBB4_5748:                             ;   in Loop: Header=BB4_5351 Depth=2
	s_or_b64 exec, exec, s[92:93]
	v_max_f32_e32 v1, v1, v1
	v_max_f32_e32 v0, v0, v0
	;; [unrolled: 1-line block ×3, first 2 shown]
	s_mov_b64 s[92:93], 0
.LBB4_5749:                             ;   in Loop: Header=BB4_5351 Depth=2
	s_and_b64 vcc, exec, s[92:93]
	s_cbranch_vccz .LBB4_5763
; %bb.5750:                             ;   in Loop: Header=BB4_5351 Depth=2
	v_mov_b32_e32 v1, 0
	v_mov_b32_e32 v0, 0
	s_and_saveexec_b64 s[92:93], s[20:21]
	s_cbranch_execz .LBB4_5756
; %bb.5751:                             ;   in Loop: Header=BB4_5351 Depth=2
	v_cmp_ne_u16_e32 vcc, s49, v16
	v_bfrev_b32_e32 v0, 1
	s_and_saveexec_b64 s[20:21], vcc
	s_cbranch_execz .LBB4_5755
; %bb.5752:                             ;   in Loop: Header=BB4_5351 Depth=2
	v_and_b32_e32 v17, 0x7f, v58
	v_cmp_ne_u32_e32 vcc, s51, v17
	v_mov_b32_e32 v0, 0x7f800001
	s_and_saveexec_b64 s[94:95], vcc
	s_cbranch_execz .LBB4_5754
; %bb.5753:                             ;   in Loop: Header=BB4_5351 Depth=2
	v_and_b32_e32 v0, 7, v16
	v_lshrrev_b32_e32 v18, 3, v17
	v_cmp_gt_u32_e32 vcc, 8, v17
	v_ffbh_u32_e32 v17, v0
	v_min_u32_e32 v19, 32, v17
	v_subrev_u32_e32 v17, 28, v19
	v_lshlrev_b64 v[16:17], v17, v[16:17]
	v_sub_u32_e32 v17, 29, v19
	v_and_b32_e32 v16, 7, v16
	v_cndmask_b32_e32 v17, v18, v17, vcc
	v_cndmask_b32_e32 v0, v0, v16, vcc
	v_lshlrev_b32_e32 v16, 24, v58
	v_lshlrev_b32_e32 v0, 20, v0
	v_and_b32_e32 v16, 0x80000000, v16
	v_lshl_add_u32 v17, v17, 23, v62
	v_or3_b32 v0, v16, v17, v0
.LBB4_5754:                             ;   in Loop: Header=BB4_5351 Depth=2
	s_or_b64 exec, exec, s[94:95]
.LBB4_5755:                             ;   in Loop: Header=BB4_5351 Depth=2
	s_or_b64 exec, exec, s[20:21]
.LBB4_5756:                             ;   in Loop: Header=BB4_5351 Depth=2
	s_or_b64 exec, exec, s[92:93]
	v_and_b32_e32 v16, 0xff, v57
	v_cmp_ne_u16_e32 vcc, 0, v16
	s_and_saveexec_b64 s[20:21], vcc
	s_cbranch_execz .LBB4_5762
; %bb.5757:                             ;   in Loop: Header=BB4_5351 Depth=2
	v_cmp_ne_u16_e32 vcc, s49, v16
	v_bfrev_b32_e32 v1, 1
	s_and_saveexec_b64 s[92:93], vcc
	s_cbranch_execz .LBB4_5761
; %bb.5758:                             ;   in Loop: Header=BB4_5351 Depth=2
	v_and_b32_e32 v17, 0x7f, v57
	v_cmp_ne_u32_e32 vcc, s51, v17
	v_mov_b32_e32 v1, 0x7f800001
	s_and_saveexec_b64 s[94:95], vcc
	s_cbranch_execz .LBB4_5760
; %bb.5759:                             ;   in Loop: Header=BB4_5351 Depth=2
	v_and_b32_e32 v1, 7, v16
	v_lshrrev_b32_e32 v18, 3, v17
	v_cmp_gt_u32_e32 vcc, 8, v17
	v_ffbh_u32_e32 v17, v1
	v_min_u32_e32 v19, 32, v17
	v_subrev_u32_e32 v17, 28, v19
	v_lshlrev_b64 v[16:17], v17, v[16:17]
	v_sub_u32_e32 v17, 29, v19
	v_and_b32_e32 v16, 7, v16
	v_cndmask_b32_e32 v17, v18, v17, vcc
	v_cndmask_b32_e32 v1, v1, v16, vcc
	v_lshlrev_b32_e32 v16, 24, v57
	v_lshlrev_b32_e32 v1, 20, v1
	v_and_b32_e32 v16, 0x80000000, v16
	v_lshl_add_u32 v17, v17, 23, v62
	v_or3_b32 v1, v16, v17, v1
.LBB4_5760:                             ;   in Loop: Header=BB4_5351 Depth=2
	s_or_b64 exec, exec, s[94:95]
.LBB4_5761:                             ;   in Loop: Header=BB4_5351 Depth=2
	s_or_b64 exec, exec, s[92:93]
.LBB4_5762:                             ;   in Loop: Header=BB4_5351 Depth=2
	s_or_b64 exec, exec, s[20:21]
	v_max_f32_e32 v1, v1, v1
	v_max_f32_e32 v0, v0, v0
	v_min_f32_e32 v1, v0, v1
.LBB4_5763:                             ;   in Loop: Header=BB4_5351 Depth=2
	v_and_b32_e32 v50, 0x7f800000, v1
	v_cmp_ne_u64_e32 vcc, s[62:63], v[50:51]
                                        ; implicit-def: $vgpr26
	s_and_saveexec_b64 s[20:21], vcc
	s_xor_b64 s[92:93], exec, s[20:21]
	s_cbranch_execz .LBB4_5781
; %bb.5764:                             ;   in Loop: Header=BB4_5351 Depth=2
	v_and_b32_e32 v50, 0x7fffffff, v1
	v_cmp_gt_u64_e32 vcc, s[72:73], v[50:51]
	v_and_b32_sdwa v0, v1, s49 dst_sel:DWORD dst_unused:UNUSED_PAD src0_sel:BYTE_3 src1_sel:DWORD
                                        ; implicit-def: $vgpr26
	s_and_saveexec_b64 s[20:21], vcc
	s_xor_b64 s[94:95], exec, s[20:21]
	s_cbranch_execz .LBB4_5778
; %bb.5765:                             ;   in Loop: Header=BB4_5351 Depth=2
	v_cmp_ne_u32_e32 vcc, 0, v1
	v_mov_b32_e32 v26, 0
	s_and_saveexec_b64 s[30:31], vcc
	s_cbranch_execz .LBB4_5777
; %bb.5766:                             ;   in Loop: Header=BB4_5351 Depth=2
	v_and_b32_e32 v16, 0x7fffff, v1
	v_bfe_u32 v1, v1, 23, 8
	v_cmp_gt_u32_e64 s[20:21], s53, v1
	v_sub_u32_e32 v17, 0x79, v1
	v_cmp_eq_u32_e32 vcc, 0, v1
	v_cndmask_b32_e64 v17, 0, v17, s[20:21]
	v_mov_b32_e32 v19, 0x78
	v_or_b32_e32 v18, 0x800000, v16
	v_cndmask_b32_e32 v19, v17, v19, vcc
	v_cndmask_b32_e32 v50, v18, v16, vcc
	v_add_u32_e32 v16, 20, v19
	v_lshlrev_b64 v[16:17], v16, -1
	v_add_u32_e32 v18, 19, v19
	v_lshlrev_b64 v[36:37], v18, 1
	v_bfi_b32 v17, v17, 0, 0
	v_bfi_b32 v16, v16, 0, v50
	v_cmp_eq_u64_e64 s[20:21], v[16:17], v[36:37]
	v_lshrrev_b64 v[16:17], v19, v[50:51]
	v_mov_b32_e32 v18, v17
	v_mov_b32_e32 v17, v16
	s_and_saveexec_b64 s[34:35], s[20:21]
; %bb.5767:                             ;   in Loop: Header=BB4_5351 Depth=2
	v_bfe_u32 v17, v16, 20, 1
	v_add_co_u32_e64 v17, s[20:21], v16, v17
	v_add_co_u32_e64 v17, s[20:21], -1, v17
; %bb.5768:                             ;   in Loop: Header=BB4_5351 Depth=2
	s_or_b64 exec, exec, s[34:35]
	v_add_u32_e32 v1, 0xffffff81, v1
	v_cndmask_b32_e32 v1, v1, v49, vcc
	v_lshrrev_b32_e32 v18, 23, v16
	v_add3_u32 v19, v19, v1, v18
	v_add_u32_e32 v18, 6, v19
	v_and_b32_e32 v1, 0xfffff, v17
	v_add_u32_e32 v50, v1, v16
	v_cmp_ne_u32_e32 vcc, 0, v18
                                        ; implicit-def: $vgpr16_vgpr17
                                        ; implicit-def: $vgpr1
	s_and_saveexec_b64 s[20:21], vcc
	s_xor_b64 s[20:21], exec, s[20:21]
; %bb.5769:                             ;   in Loop: Header=BB4_5351 Depth=2
	v_cmp_lt_u64_e32 vcc, s[74:75], v[50:51]
	v_add_u32_e32 v1, 7, v19
	v_cndmask_b32_e64 v16, 0, 1, vcc
	v_lshrrev_b64 v[16:17], v16, v[50:51]
	v_cndmask_b32_e32 v1, v18, v1, vcc
; %bb.5770:                             ;   in Loop: Header=BB4_5351 Depth=2
	s_andn2_saveexec_b64 s[20:21], s[20:21]
; %bb.5771:                             ;   in Loop: Header=BB4_5351 Depth=2
	v_mov_b32_e32 v16, v50
	v_bfe_u32 v1, v50, 23, 1
	v_mov_b32_e32 v17, v51
; %bb.5772:                             ;   in Loop: Header=BB4_5351 Depth=2
	s_or_b64 exec, exec, s[20:21]
	v_lshrrev_b64 v[16:17], 20, v[16:17]
	v_cmp_gt_i32_e32 vcc, 16, v1
	v_cndmask_b32_e32 v17, 0, v17, vcc
	v_cndmask_b32_e32 v16, 7, v16, vcc
	v_cmp_ne_u64_e32 vcc, 0, v[16:17]
	v_cmp_ne_u32_e64 s[20:21], 0, v1
	s_or_b64 s[20:21], s[20:21], vcc
                                        ; implicit-def: $vgpr26
	s_and_saveexec_b64 vcc, s[20:21]
	s_xor_b64 s[20:21], exec, vcc
; %bb.5773:                             ;   in Loop: Header=BB4_5351 Depth=2
	v_min_i32_e32 v1, 15, v1
	v_lshl_or_b32 v0, v1, 3, v0
	v_and_or_b32 v26, v16, 7, v0
                                        ; implicit-def: $vgpr0
; %bb.5774:                             ;   in Loop: Header=BB4_5351 Depth=2
	s_andn2_saveexec_b64 s[20:21], s[20:21]
; %bb.5775:                             ;   in Loop: Header=BB4_5351 Depth=2
	v_mov_b32_e32 v26, v0
; %bb.5776:                             ;   in Loop: Header=BB4_5351 Depth=2
	s_or_b64 exec, exec, s[20:21]
.LBB4_5777:                             ;   in Loop: Header=BB4_5351 Depth=2
	s_or_b64 exec, exec, s[30:31]
                                        ; implicit-def: $vgpr0
.LBB4_5778:                             ;   in Loop: Header=BB4_5351 Depth=2
	s_andn2_saveexec_b64 s[20:21], s[94:95]
; %bb.5779:                             ;   in Loop: Header=BB4_5351 Depth=2
	v_or_b32_e32 v26, 0x7e, v0
; %bb.5780:                             ;   in Loop: Header=BB4_5351 Depth=2
	s_or_b64 exec, exec, s[20:21]
                                        ; implicit-def: $vgpr1
.LBB4_5781:                             ;   in Loop: Header=BB4_5351 Depth=2
	s_andn2_saveexec_b64 s[20:21], s[92:93]
; %bb.5782:                             ;   in Loop: Header=BB4_5351 Depth=2
	v_or_b32_sdwa v26, v1, s51 dst_sel:DWORD dst_unused:UNUSED_PAD src0_sel:BYTE_3 src1_sel:DWORD
; %bb.5783:                             ;   in Loop: Header=BB4_5351 Depth=2
	s_or_b64 exec, exec, s[20:21]
	v_and_b32_e32 v16, 0xff, v47
	v_cmp_ne_u16_e64 s[20:21], 0, v16
	s_and_b64 vcc, exec, s[18:19]
	s_mov_b64 s[92:93], -1
                                        ; implicit-def: $vgpr17
	s_cbranch_vccnz .LBB4_5797
; %bb.5784:                             ;   in Loop: Header=BB4_5351 Depth=2
	v_mov_b32_e32 v1, 0
	v_mov_b32_e32 v0, 0
	s_and_saveexec_b64 s[92:93], s[20:21]
	s_cbranch_execz .LBB4_5790
; %bb.5785:                             ;   in Loop: Header=BB4_5351 Depth=2
	v_cmp_ne_u16_e32 vcc, s49, v16
	v_bfrev_b32_e32 v0, 1
	s_and_saveexec_b64 s[94:95], vcc
	s_cbranch_execz .LBB4_5789
; %bb.5786:                             ;   in Loop: Header=BB4_5351 Depth=2
	v_and_b32_e32 v17, 0x7f, v47
	v_cmp_ne_u32_e32 vcc, s51, v17
	v_mov_b32_e32 v0, 0x7f800001
	s_and_saveexec_b64 s[30:31], vcc
	s_cbranch_execz .LBB4_5788
; %bb.5787:                             ;   in Loop: Header=BB4_5351 Depth=2
	v_and_b32_e32 v0, 7, v16
	v_lshrrev_b32_e32 v19, 3, v17
	v_cmp_gt_u32_e32 vcc, 8, v17
	v_ffbh_u32_e32 v17, v0
	v_min_u32_e32 v23, 32, v17
	v_subrev_u32_e32 v17, 28, v23
	v_lshlrev_b64 v[17:18], v17, v[16:17]
	v_sub_u32_e32 v18, 29, v23
	v_and_b32_e32 v17, 7, v17
	v_cndmask_b32_e32 v18, v19, v18, vcc
	v_cndmask_b32_e32 v0, v0, v17, vcc
	v_lshlrev_b32_e32 v17, 24, v47
	v_lshlrev_b32_e32 v0, 20, v0
	v_and_b32_e32 v17, 0x80000000, v17
	v_lshl_add_u32 v18, v18, 23, v62
	v_or3_b32 v0, v17, v18, v0
.LBB4_5788:                             ;   in Loop: Header=BB4_5351 Depth=2
	s_or_b64 exec, exec, s[30:31]
.LBB4_5789:                             ;   in Loop: Header=BB4_5351 Depth=2
	s_or_b64 exec, exec, s[94:95]
.LBB4_5790:                             ;   in Loop: Header=BB4_5351 Depth=2
	s_or_b64 exec, exec, s[92:93]
	v_and_b32_e32 v17, 0xff, v31
	v_cmp_ne_u16_e32 vcc, 0, v17
	s_and_saveexec_b64 s[92:93], vcc
	s_cbranch_execz .LBB4_5796
; %bb.5791:                             ;   in Loop: Header=BB4_5351 Depth=2
	v_cmp_ne_u16_e32 vcc, s49, v17
	v_bfrev_b32_e32 v1, 1
	s_and_saveexec_b64 s[94:95], vcc
	s_cbranch_execz .LBB4_5795
; %bb.5792:                             ;   in Loop: Header=BB4_5351 Depth=2
	v_and_b32_e32 v18, 0x7f, v31
	v_cmp_ne_u32_e32 vcc, s51, v18
	v_mov_b32_e32 v1, 0x7f800001
	s_and_saveexec_b64 s[30:31], vcc
	s_cbranch_execz .LBB4_5794
; %bb.5793:                             ;   in Loop: Header=BB4_5351 Depth=2
	v_and_b32_e32 v1, 7, v17
	v_lshrrev_b32_e32 v19, 3, v18
	v_cmp_gt_u32_e32 vcc, 8, v18
	v_ffbh_u32_e32 v18, v1
	v_min_u32_e32 v23, 32, v18
	v_subrev_u32_e32 v18, 28, v23
	v_lshlrev_b64 v[17:18], v18, v[17:18]
	v_sub_u32_e32 v18, 29, v23
	v_and_b32_e32 v17, 7, v17
	v_cndmask_b32_e32 v18, v19, v18, vcc
	v_cndmask_b32_e32 v1, v1, v17, vcc
	v_lshlrev_b32_e32 v17, 24, v31
	v_lshlrev_b32_e32 v1, 20, v1
	v_and_b32_e32 v17, 0x80000000, v17
	v_lshl_add_u32 v18, v18, 23, v62
	v_or3_b32 v1, v17, v18, v1
.LBB4_5794:                             ;   in Loop: Header=BB4_5351 Depth=2
	s_or_b64 exec, exec, s[30:31]
.LBB4_5795:                             ;   in Loop: Header=BB4_5351 Depth=2
	s_or_b64 exec, exec, s[94:95]
.LBB4_5796:                             ;   in Loop: Header=BB4_5351 Depth=2
	s_or_b64 exec, exec, s[92:93]
	v_max_f32_e32 v1, v1, v1
	v_max_f32_e32 v0, v0, v0
	;; [unrolled: 1-line block ×3, first 2 shown]
	s_mov_b64 s[92:93], 0
.LBB4_5797:                             ;   in Loop: Header=BB4_5351 Depth=2
	s_and_b64 vcc, exec, s[92:93]
	s_cbranch_vccz .LBB4_5811
; %bb.5798:                             ;   in Loop: Header=BB4_5351 Depth=2
	v_mov_b32_e32 v1, 0
	v_mov_b32_e32 v0, 0
	s_and_saveexec_b64 s[92:93], s[20:21]
	s_cbranch_execz .LBB4_5804
; %bb.5799:                             ;   in Loop: Header=BB4_5351 Depth=2
	v_cmp_ne_u16_e32 vcc, s49, v16
	v_bfrev_b32_e32 v0, 1
	s_and_saveexec_b64 s[20:21], vcc
	s_cbranch_execz .LBB4_5803
; %bb.5800:                             ;   in Loop: Header=BB4_5351 Depth=2
	v_and_b32_e32 v17, 0x7f, v47
	v_cmp_ne_u32_e32 vcc, s51, v17
	v_mov_b32_e32 v0, 0x7f800001
	s_and_saveexec_b64 s[94:95], vcc
	s_cbranch_execz .LBB4_5802
; %bb.5801:                             ;   in Loop: Header=BB4_5351 Depth=2
	v_and_b32_e32 v0, 7, v16
	v_lshrrev_b32_e32 v18, 3, v17
	v_cmp_gt_u32_e32 vcc, 8, v17
	v_ffbh_u32_e32 v17, v0
	v_min_u32_e32 v19, 32, v17
	v_subrev_u32_e32 v17, 28, v19
	v_lshlrev_b64 v[16:17], v17, v[16:17]
	v_sub_u32_e32 v17, 29, v19
	v_and_b32_e32 v16, 7, v16
	v_cndmask_b32_e32 v17, v18, v17, vcc
	v_cndmask_b32_e32 v0, v0, v16, vcc
	v_lshlrev_b32_e32 v16, 24, v47
	v_lshlrev_b32_e32 v0, 20, v0
	v_and_b32_e32 v16, 0x80000000, v16
	v_lshl_add_u32 v17, v17, 23, v62
	v_or3_b32 v0, v16, v17, v0
.LBB4_5802:                             ;   in Loop: Header=BB4_5351 Depth=2
	s_or_b64 exec, exec, s[94:95]
.LBB4_5803:                             ;   in Loop: Header=BB4_5351 Depth=2
	s_or_b64 exec, exec, s[20:21]
.LBB4_5804:                             ;   in Loop: Header=BB4_5351 Depth=2
	s_or_b64 exec, exec, s[92:93]
	v_and_b32_e32 v16, 0xff, v31
	v_cmp_ne_u16_e32 vcc, 0, v16
	s_and_saveexec_b64 s[20:21], vcc
	s_cbranch_execz .LBB4_5810
; %bb.5805:                             ;   in Loop: Header=BB4_5351 Depth=2
	v_cmp_ne_u16_e32 vcc, s49, v16
	v_bfrev_b32_e32 v1, 1
	s_and_saveexec_b64 s[92:93], vcc
	s_cbranch_execz .LBB4_5809
; %bb.5806:                             ;   in Loop: Header=BB4_5351 Depth=2
	v_and_b32_e32 v17, 0x7f, v31
	v_cmp_ne_u32_e32 vcc, s51, v17
	v_mov_b32_e32 v1, 0x7f800001
	s_and_saveexec_b64 s[94:95], vcc
	s_cbranch_execz .LBB4_5808
; %bb.5807:                             ;   in Loop: Header=BB4_5351 Depth=2
	v_and_b32_e32 v1, 7, v16
	v_lshrrev_b32_e32 v18, 3, v17
	v_cmp_gt_u32_e32 vcc, 8, v17
	v_ffbh_u32_e32 v17, v1
	v_min_u32_e32 v19, 32, v17
	v_subrev_u32_e32 v17, 28, v19
	v_lshlrev_b64 v[16:17], v17, v[16:17]
	v_sub_u32_e32 v17, 29, v19
	v_and_b32_e32 v16, 7, v16
	v_cndmask_b32_e32 v17, v18, v17, vcc
	v_cndmask_b32_e32 v1, v1, v16, vcc
	v_lshlrev_b32_e32 v16, 24, v31
	v_lshlrev_b32_e32 v1, 20, v1
	v_and_b32_e32 v16, 0x80000000, v16
	v_lshl_add_u32 v17, v17, 23, v62
	v_or3_b32 v1, v16, v17, v1
.LBB4_5808:                             ;   in Loop: Header=BB4_5351 Depth=2
	s_or_b64 exec, exec, s[94:95]
.LBB4_5809:                             ;   in Loop: Header=BB4_5351 Depth=2
	s_or_b64 exec, exec, s[92:93]
.LBB4_5810:                             ;   in Loop: Header=BB4_5351 Depth=2
	s_or_b64 exec, exec, s[20:21]
	v_max_f32_e32 v1, v1, v1
	v_max_f32_e32 v0, v0, v0
	v_min_f32_e32 v17, v0, v1
.LBB4_5811:                             ;   in Loop: Header=BB4_5351 Depth=2
	v_and_b32_e32 v50, 0x7f800000, v17
	v_cmp_ne_u64_e32 vcc, s[62:63], v[50:51]
                                        ; implicit-def: $vgpr1
	s_and_saveexec_b64 s[20:21], vcc
	s_xor_b64 s[92:93], exec, s[20:21]
	s_cbranch_execz .LBB4_5829
; %bb.5812:                             ;   in Loop: Header=BB4_5351 Depth=2
	v_and_b32_e32 v50, 0x7fffffff, v17
	v_cmp_gt_u64_e32 vcc, s[72:73], v[50:51]
	v_and_b32_sdwa v0, v17, s49 dst_sel:DWORD dst_unused:UNUSED_PAD src0_sel:BYTE_3 src1_sel:DWORD
                                        ; implicit-def: $vgpr1
	s_and_saveexec_b64 s[20:21], vcc
	s_xor_b64 s[94:95], exec, s[20:21]
	s_cbranch_execz .LBB4_5826
; %bb.5813:                             ;   in Loop: Header=BB4_5351 Depth=2
	v_cmp_ne_u32_e32 vcc, 0, v17
	v_mov_b32_e32 v1, 0
	s_and_saveexec_b64 s[30:31], vcc
	s_cbranch_execz .LBB4_5825
; %bb.5814:                             ;   in Loop: Header=BB4_5351 Depth=2
	v_bfe_u32 v1, v17, 23, 8
	v_and_b32_e32 v16, 0x7fffff, v17
	v_cmp_gt_u32_e64 s[20:21], s53, v1
	v_sub_u32_e32 v17, 0x79, v1
	v_cmp_eq_u32_e32 vcc, 0, v1
	v_cndmask_b32_e64 v17, 0, v17, s[20:21]
	v_mov_b32_e32 v19, 0x78
	v_or_b32_e32 v18, 0x800000, v16
	v_cndmask_b32_e32 v19, v17, v19, vcc
	v_cndmask_b32_e32 v50, v18, v16, vcc
	v_add_u32_e32 v16, 20, v19
	v_lshlrev_b64 v[16:17], v16, -1
	v_add_u32_e32 v18, 19, v19
	v_lshlrev_b64 v[36:37], v18, 1
	v_bfi_b32 v17, v17, 0, 0
	v_bfi_b32 v16, v16, 0, v50
	v_cmp_eq_u64_e64 s[20:21], v[16:17], v[36:37]
	v_lshrrev_b64 v[16:17], v19, v[50:51]
	v_mov_b32_e32 v18, v17
	v_mov_b32_e32 v17, v16
	s_and_saveexec_b64 s[34:35], s[20:21]
; %bb.5815:                             ;   in Loop: Header=BB4_5351 Depth=2
	v_bfe_u32 v17, v16, 20, 1
	v_add_co_u32_e64 v17, s[20:21], v16, v17
	v_add_co_u32_e64 v17, s[20:21], -1, v17
; %bb.5816:                             ;   in Loop: Header=BB4_5351 Depth=2
	s_or_b64 exec, exec, s[34:35]
	v_add_u32_e32 v1, 0xffffff81, v1
	v_cndmask_b32_e32 v1, v1, v49, vcc
	v_lshrrev_b32_e32 v18, 23, v16
	v_add3_u32 v19, v19, v1, v18
	v_add_u32_e32 v1, 6, v19
	v_and_b32_e32 v17, 0xfffff, v17
	v_add_u32_e32 v50, v17, v16
	v_cmp_ne_u32_e32 vcc, 0, v1
                                        ; implicit-def: $vgpr16_vgpr17
                                        ; implicit-def: $vgpr18
	s_and_saveexec_b64 s[20:21], vcc
	s_xor_b64 s[20:21], exec, s[20:21]
; %bb.5817:                             ;   in Loop: Header=BB4_5351 Depth=2
	v_cmp_lt_u64_e32 vcc, s[74:75], v[50:51]
	v_add_u32_e32 v16, 7, v19
	v_cndmask_b32_e32 v18, v1, v16, vcc
	v_cndmask_b32_e64 v1, 0, 1, vcc
	v_lshrrev_b64 v[16:17], v1, v[50:51]
; %bb.5818:                             ;   in Loop: Header=BB4_5351 Depth=2
	s_andn2_saveexec_b64 s[20:21], s[20:21]
; %bb.5819:                             ;   in Loop: Header=BB4_5351 Depth=2
	v_mov_b32_e32 v16, v50
	v_bfe_u32 v18, v50, 23, 1
	v_mov_b32_e32 v17, v51
; %bb.5820:                             ;   in Loop: Header=BB4_5351 Depth=2
	s_or_b64 exec, exec, s[20:21]
	v_lshrrev_b64 v[16:17], 20, v[16:17]
	v_cmp_gt_i32_e32 vcc, 16, v18
	v_cndmask_b32_e32 v17, 0, v17, vcc
	v_cndmask_b32_e32 v16, 7, v16, vcc
	v_cmp_ne_u64_e32 vcc, 0, v[16:17]
	v_cmp_ne_u32_e64 s[20:21], 0, v18
	s_or_b64 s[20:21], s[20:21], vcc
                                        ; implicit-def: $vgpr1
	s_and_saveexec_b64 vcc, s[20:21]
	s_xor_b64 s[20:21], exec, vcc
; %bb.5821:                             ;   in Loop: Header=BB4_5351 Depth=2
	v_min_i32_e32 v1, 15, v18
	v_lshl_or_b32 v0, v1, 3, v0
	v_and_or_b32 v1, v16, 7, v0
                                        ; implicit-def: $vgpr0
; %bb.5822:                             ;   in Loop: Header=BB4_5351 Depth=2
	s_andn2_saveexec_b64 s[20:21], s[20:21]
; %bb.5823:                             ;   in Loop: Header=BB4_5351 Depth=2
	v_mov_b32_e32 v1, v0
; %bb.5824:                             ;   in Loop: Header=BB4_5351 Depth=2
	s_or_b64 exec, exec, s[20:21]
.LBB4_5825:                             ;   in Loop: Header=BB4_5351 Depth=2
	s_or_b64 exec, exec, s[30:31]
                                        ; implicit-def: $vgpr0
.LBB4_5826:                             ;   in Loop: Header=BB4_5351 Depth=2
	s_andn2_saveexec_b64 s[20:21], s[94:95]
; %bb.5827:                             ;   in Loop: Header=BB4_5351 Depth=2
	v_or_b32_e32 v1, 0x7e, v0
; %bb.5828:                             ;   in Loop: Header=BB4_5351 Depth=2
	s_or_b64 exec, exec, s[20:21]
                                        ; implicit-def: $vgpr17
.LBB4_5829:                             ;   in Loop: Header=BB4_5351 Depth=2
	s_andn2_saveexec_b64 s[20:21], s[92:93]
; %bb.5830:                             ;   in Loop: Header=BB4_5351 Depth=2
	v_or_b32_sdwa v1, v17, s51 dst_sel:DWORD dst_unused:UNUSED_PAD src0_sel:BYTE_3 src1_sel:DWORD
; %bb.5831:                             ;   in Loop: Header=BB4_5351 Depth=2
	s_or_b64 exec, exec, s[20:21]
	v_and_b32_e32 v16, 0xff, v45
	v_cmp_ne_u16_e64 s[20:21], 0, v16
	s_and_b64 vcc, exec, s[18:19]
	s_mov_b64 s[92:93], -1
                                        ; implicit-def: $vgpr17
	s_cbranch_vccnz .LBB4_5845
; %bb.5832:                             ;   in Loop: Header=BB4_5351 Depth=2
	v_mov_b32_e32 v18, 0
	v_mov_b32_e32 v0, 0
	s_and_saveexec_b64 s[92:93], s[20:21]
	s_cbranch_execz .LBB4_5838
; %bb.5833:                             ;   in Loop: Header=BB4_5351 Depth=2
	v_cmp_ne_u16_e32 vcc, s49, v16
	v_bfrev_b32_e32 v0, 1
	s_and_saveexec_b64 s[94:95], vcc
	s_cbranch_execz .LBB4_5837
; %bb.5834:                             ;   in Loop: Header=BB4_5351 Depth=2
	v_and_b32_e32 v17, 0x7f, v45
	v_cmp_ne_u32_e32 vcc, s51, v17
	v_mov_b32_e32 v0, 0x7f800001
	s_and_saveexec_b64 s[30:31], vcc
	s_cbranch_execz .LBB4_5836
; %bb.5835:                             ;   in Loop: Header=BB4_5351 Depth=2
	v_and_b32_e32 v0, 7, v16
	v_lshrrev_b32_e32 v19, 3, v17
	v_cmp_gt_u32_e32 vcc, 8, v17
	v_ffbh_u32_e32 v17, v0
	v_min_u32_e32 v17, 32, v17
	v_subrev_u32_e32 v23, 28, v17
	v_lshlrev_b64 v[36:37], v23, v[16:17]
	v_sub_u32_e32 v17, 29, v17
	v_and_b32_e32 v23, 7, v36
	v_cndmask_b32_e32 v17, v19, v17, vcc
	v_cndmask_b32_e32 v0, v0, v23, vcc
	v_lshlrev_b32_e32 v19, 24, v45
	v_lshlrev_b32_e32 v0, 20, v0
	v_and_b32_e32 v19, 0x80000000, v19
	v_lshl_add_u32 v17, v17, 23, v62
	v_or3_b32 v0, v19, v17, v0
.LBB4_5836:                             ;   in Loop: Header=BB4_5351 Depth=2
	s_or_b64 exec, exec, s[30:31]
.LBB4_5837:                             ;   in Loop: Header=BB4_5351 Depth=2
	s_or_b64 exec, exec, s[94:95]
.LBB4_5838:                             ;   in Loop: Header=BB4_5351 Depth=2
	s_or_b64 exec, exec, s[92:93]
	v_and_b32_e32 v17, 0xff, v44
	v_cmp_ne_u16_e32 vcc, 0, v17
	s_and_saveexec_b64 s[92:93], vcc
	s_cbranch_execz .LBB4_5844
; %bb.5839:                             ;   in Loop: Header=BB4_5351 Depth=2
	v_cmp_ne_u16_e32 vcc, s49, v17
	v_bfrev_b32_e32 v18, 1
	s_and_saveexec_b64 s[94:95], vcc
	s_cbranch_execz .LBB4_5843
; %bb.5840:                             ;   in Loop: Header=BB4_5351 Depth=2
	v_and_b32_e32 v19, 0x7f, v44
	v_cmp_ne_u32_e32 vcc, s51, v19
	v_mov_b32_e32 v18, 0x7f800001
	s_and_saveexec_b64 s[30:31], vcc
	s_cbranch_execz .LBB4_5842
; %bb.5841:                             ;   in Loop: Header=BB4_5351 Depth=2
	v_and_b32_e32 v23, 7, v17
	v_ffbh_u32_e32 v18, v23
	v_lshrrev_b32_e32 v31, 3, v19
	v_cmp_gt_u32_e32 vcc, 8, v19
	v_min_u32_e32 v19, 32, v18
	v_subrev_u32_e32 v18, 28, v19
	v_lshlrev_b64 v[17:18], v18, v[17:18]
	v_sub_u32_e32 v18, 29, v19
	v_and_b32_e32 v17, 7, v17
	v_cndmask_b32_e32 v18, v31, v18, vcc
	v_cndmask_b32_e32 v17, v23, v17, vcc
	v_lshlrev_b32_e32 v19, 24, v44
	v_lshlrev_b32_e32 v17, 20, v17
	v_and_b32_e32 v19, 0x80000000, v19
	v_lshl_add_u32 v18, v18, 23, v62
	v_or3_b32 v18, v19, v18, v17
.LBB4_5842:                             ;   in Loop: Header=BB4_5351 Depth=2
	s_or_b64 exec, exec, s[30:31]
.LBB4_5843:                             ;   in Loop: Header=BB4_5351 Depth=2
	s_or_b64 exec, exec, s[94:95]
.LBB4_5844:                             ;   in Loop: Header=BB4_5351 Depth=2
	s_or_b64 exec, exec, s[92:93]
	v_max_f32_e32 v17, v18, v18
	v_max_f32_e32 v0, v0, v0
	;; [unrolled: 1-line block ×3, first 2 shown]
	s_mov_b64 s[92:93], 0
.LBB4_5845:                             ;   in Loop: Header=BB4_5351 Depth=2
	s_and_b64 vcc, exec, s[92:93]
	s_cbranch_vccz .LBB4_5859
; %bb.5846:                             ;   in Loop: Header=BB4_5351 Depth=2
	v_mov_b32_e32 v17, 0
	v_mov_b32_e32 v0, 0
	s_and_saveexec_b64 s[92:93], s[20:21]
	s_cbranch_execz .LBB4_5852
; %bb.5847:                             ;   in Loop: Header=BB4_5351 Depth=2
	v_cmp_ne_u16_e32 vcc, s49, v16
	v_bfrev_b32_e32 v0, 1
	s_and_saveexec_b64 s[20:21], vcc
	s_cbranch_execz .LBB4_5851
; %bb.5848:                             ;   in Loop: Header=BB4_5351 Depth=2
	v_and_b32_e32 v18, 0x7f, v45
	v_cmp_ne_u32_e32 vcc, s51, v18
	v_mov_b32_e32 v0, 0x7f800001
	s_and_saveexec_b64 s[94:95], vcc
	s_cbranch_execz .LBB4_5850
; %bb.5849:                             ;   in Loop: Header=BB4_5351 Depth=2
	v_and_b32_e32 v0, 7, v16
	v_lshrrev_b32_e32 v23, 3, v18
	v_cmp_gt_u32_e32 vcc, 8, v18
	v_ffbh_u32_e32 v18, v0
	v_min_u32_e32 v31, 32, v18
	v_subrev_u32_e32 v18, 28, v31
	v_lshlrev_b64 v[18:19], v18, v[16:17]
	v_sub_u32_e32 v16, 29, v31
	v_and_b32_e32 v18, 7, v18
	v_cndmask_b32_e32 v16, v23, v16, vcc
	v_cndmask_b32_e32 v0, v0, v18, vcc
	v_lshlrev_b32_e32 v18, 24, v45
	v_lshlrev_b32_e32 v0, 20, v0
	v_and_b32_e32 v18, 0x80000000, v18
	v_lshl_add_u32 v16, v16, 23, v62
	v_or3_b32 v0, v18, v16, v0
.LBB4_5850:                             ;   in Loop: Header=BB4_5351 Depth=2
	s_or_b64 exec, exec, s[94:95]
.LBB4_5851:                             ;   in Loop: Header=BB4_5351 Depth=2
	s_or_b64 exec, exec, s[20:21]
.LBB4_5852:                             ;   in Loop: Header=BB4_5351 Depth=2
	s_or_b64 exec, exec, s[92:93]
	v_and_b32_e32 v16, 0xff, v44
	v_cmp_ne_u16_e32 vcc, 0, v16
	s_and_saveexec_b64 s[20:21], vcc
	s_cbranch_execz .LBB4_5858
; %bb.5853:                             ;   in Loop: Header=BB4_5351 Depth=2
	v_cmp_ne_u16_e32 vcc, s49, v16
	v_bfrev_b32_e32 v17, 1
	s_and_saveexec_b64 s[92:93], vcc
	s_cbranch_execz .LBB4_5857
; %bb.5854:                             ;   in Loop: Header=BB4_5351 Depth=2
	v_and_b32_e32 v18, 0x7f, v44
	v_cmp_ne_u32_e32 vcc, s51, v18
	v_mov_b32_e32 v17, 0x7f800001
	s_and_saveexec_b64 s[94:95], vcc
	s_cbranch_execz .LBB4_5856
; %bb.5855:                             ;   in Loop: Header=BB4_5351 Depth=2
	v_and_b32_e32 v19, 7, v16
	v_ffbh_u32_e32 v17, v19
	v_lshrrev_b32_e32 v23, 3, v18
	v_cmp_gt_u32_e32 vcc, 8, v18
	v_min_u32_e32 v18, 32, v17
	v_subrev_u32_e32 v17, 28, v18
	v_lshlrev_b64 v[16:17], v17, v[16:17]
	v_sub_u32_e32 v17, 29, v18
	v_and_b32_e32 v16, 7, v16
	v_cndmask_b32_e32 v17, v23, v17, vcc
	v_cndmask_b32_e32 v16, v19, v16, vcc
	v_lshlrev_b32_e32 v18, 24, v44
	v_lshlrev_b32_e32 v16, 20, v16
	v_and_b32_e32 v18, 0x80000000, v18
	v_lshl_add_u32 v17, v17, 23, v62
	v_or3_b32 v17, v18, v17, v16
.LBB4_5856:                             ;   in Loop: Header=BB4_5351 Depth=2
	s_or_b64 exec, exec, s[94:95]
.LBB4_5857:                             ;   in Loop: Header=BB4_5351 Depth=2
	s_or_b64 exec, exec, s[92:93]
.LBB4_5858:                             ;   in Loop: Header=BB4_5351 Depth=2
	s_or_b64 exec, exec, s[20:21]
	v_max_f32_e32 v16, v17, v17
	v_max_f32_e32 v0, v0, v0
	v_min_f32_e32 v17, v0, v16
.LBB4_5859:                             ;   in Loop: Header=BB4_5351 Depth=2
	v_and_b32_e32 v50, 0x7f800000, v17
	v_cmp_ne_u64_e32 vcc, s[62:63], v[50:51]
                                        ; implicit-def: $vgpr31
	s_and_saveexec_b64 s[20:21], vcc
	s_xor_b64 s[92:93], exec, s[20:21]
	s_cbranch_execz .LBB4_5877
; %bb.5860:                             ;   in Loop: Header=BB4_5351 Depth=2
	v_and_b32_e32 v50, 0x7fffffff, v17
	v_cmp_gt_u64_e32 vcc, s[72:73], v[50:51]
	v_and_b32_sdwa v0, v17, s49 dst_sel:DWORD dst_unused:UNUSED_PAD src0_sel:BYTE_3 src1_sel:DWORD
                                        ; implicit-def: $vgpr31
	s_and_saveexec_b64 s[20:21], vcc
	s_xor_b64 s[94:95], exec, s[20:21]
	s_cbranch_execz .LBB4_5874
; %bb.5861:                             ;   in Loop: Header=BB4_5351 Depth=2
	v_cmp_ne_u32_e32 vcc, 0, v17
	v_mov_b32_e32 v31, 0
	s_and_saveexec_b64 s[30:31], vcc
	s_cbranch_execz .LBB4_5873
; %bb.5862:                             ;   in Loop: Header=BB4_5351 Depth=2
	v_bfe_u32 v19, v17, 23, 8
	v_and_b32_e32 v16, 0x7fffff, v17
	v_cmp_gt_u32_e64 s[20:21], s53, v19
	v_sub_u32_e32 v17, 0x79, v19
	v_cmp_eq_u32_e32 vcc, 0, v19
	v_cndmask_b32_e64 v17, 0, v17, s[20:21]
	v_mov_b32_e32 v23, 0x78
	v_or_b32_e32 v18, 0x800000, v16
	v_cndmask_b32_e32 v23, v17, v23, vcc
	v_cndmask_b32_e32 v50, v18, v16, vcc
	v_add_u32_e32 v16, 20, v23
	v_lshlrev_b64 v[16:17], v16, -1
	v_add_u32_e32 v18, 19, v23
	v_lshlrev_b64 v[36:37], v18, 1
	v_bfi_b32 v17, v17, 0, 0
	v_bfi_b32 v16, v16, 0, v50
	v_cmp_eq_u64_e64 s[20:21], v[16:17], v[36:37]
	v_lshrrev_b64 v[16:17], v23, v[50:51]
	v_mov_b32_e32 v18, v17
	v_mov_b32_e32 v17, v16
	s_and_saveexec_b64 s[34:35], s[20:21]
; %bb.5863:                             ;   in Loop: Header=BB4_5351 Depth=2
	v_bfe_u32 v17, v16, 20, 1
	v_add_co_u32_e64 v17, s[20:21], v16, v17
	v_add_co_u32_e64 v17, s[20:21], -1, v17
; %bb.5864:                             ;   in Loop: Header=BB4_5351 Depth=2
	s_or_b64 exec, exec, s[34:35]
	v_add_u32_e32 v18, 0xffffff81, v19
	v_cndmask_b32_e32 v18, v18, v49, vcc
	v_lshrrev_b32_e32 v19, 23, v16
	v_add3_u32 v23, v23, v18, v19
	v_add_u32_e32 v19, 6, v23
	v_and_b32_e32 v17, 0xfffff, v17
	v_add_u32_e32 v50, v17, v16
	v_cmp_ne_u32_e32 vcc, 0, v19
                                        ; implicit-def: $vgpr16_vgpr17
                                        ; implicit-def: $vgpr18
	s_and_saveexec_b64 s[20:21], vcc
	s_xor_b64 s[20:21], exec, s[20:21]
; %bb.5865:                             ;   in Loop: Header=BB4_5351 Depth=2
	v_cmp_lt_u64_e32 vcc, s[74:75], v[50:51]
	v_add_u32_e32 v16, 7, v23
	v_cndmask_b32_e32 v18, v19, v16, vcc
	v_cndmask_b32_e64 v16, 0, 1, vcc
	v_lshrrev_b64 v[16:17], v16, v[50:51]
; %bb.5866:                             ;   in Loop: Header=BB4_5351 Depth=2
	s_andn2_saveexec_b64 s[20:21], s[20:21]
; %bb.5867:                             ;   in Loop: Header=BB4_5351 Depth=2
	v_mov_b32_e32 v16, v50
	v_bfe_u32 v18, v50, 23, 1
	v_mov_b32_e32 v17, v51
; %bb.5868:                             ;   in Loop: Header=BB4_5351 Depth=2
	s_or_b64 exec, exec, s[20:21]
	v_lshrrev_b64 v[16:17], 20, v[16:17]
	v_cmp_gt_i32_e32 vcc, 16, v18
	v_cndmask_b32_e32 v17, 0, v17, vcc
	v_cndmask_b32_e32 v16, 7, v16, vcc
	v_cmp_ne_u64_e32 vcc, 0, v[16:17]
	v_cmp_ne_u32_e64 s[20:21], 0, v18
	s_or_b64 s[20:21], s[20:21], vcc
                                        ; implicit-def: $vgpr31
	s_and_saveexec_b64 vcc, s[20:21]
	s_xor_b64 s[20:21], exec, vcc
; %bb.5869:                             ;   in Loop: Header=BB4_5351 Depth=2
	v_min_i32_e32 v17, 15, v18
	v_lshl_or_b32 v0, v17, 3, v0
	v_and_or_b32 v31, v16, 7, v0
                                        ; implicit-def: $vgpr0
; %bb.5870:                             ;   in Loop: Header=BB4_5351 Depth=2
	s_andn2_saveexec_b64 s[20:21], s[20:21]
; %bb.5871:                             ;   in Loop: Header=BB4_5351 Depth=2
	v_mov_b32_e32 v31, v0
; %bb.5872:                             ;   in Loop: Header=BB4_5351 Depth=2
	s_or_b64 exec, exec, s[20:21]
.LBB4_5873:                             ;   in Loop: Header=BB4_5351 Depth=2
	s_or_b64 exec, exec, s[30:31]
                                        ; implicit-def: $vgpr0
.LBB4_5874:                             ;   in Loop: Header=BB4_5351 Depth=2
	s_andn2_saveexec_b64 s[20:21], s[94:95]
; %bb.5875:                             ;   in Loop: Header=BB4_5351 Depth=2
	v_or_b32_e32 v31, 0x7e, v0
; %bb.5876:                             ;   in Loop: Header=BB4_5351 Depth=2
	s_or_b64 exec, exec, s[20:21]
                                        ; implicit-def: $vgpr17
.LBB4_5877:                             ;   in Loop: Header=BB4_5351 Depth=2
	s_andn2_saveexec_b64 s[20:21], s[92:93]
; %bb.5878:                             ;   in Loop: Header=BB4_5351 Depth=2
	v_or_b32_sdwa v31, v17, s51 dst_sel:DWORD dst_unused:UNUSED_PAD src0_sel:BYTE_3 src1_sel:DWORD
; %bb.5879:                             ;   in Loop: Header=BB4_5351 Depth=2
	s_or_b64 exec, exec, s[20:21]
	v_and_b32_e32 v16, 0xff, v42
	v_cmp_ne_u16_e64 s[20:21], 0, v16
	s_and_b64 vcc, exec, s[18:19]
	s_mov_b64 s[92:93], -1
                                        ; implicit-def: $vgpr17
	s_cbranch_vccnz .LBB4_5893
; %bb.5880:                             ;   in Loop: Header=BB4_5351 Depth=2
	v_mov_b32_e32 v18, 0
	v_mov_b32_e32 v0, 0
	s_and_saveexec_b64 s[92:93], s[20:21]
	s_cbranch_execz .LBB4_5886
; %bb.5881:                             ;   in Loop: Header=BB4_5351 Depth=2
	v_cmp_ne_u16_e32 vcc, s49, v16
	v_bfrev_b32_e32 v0, 1
	s_and_saveexec_b64 s[94:95], vcc
	s_cbranch_execz .LBB4_5885
; %bb.5882:                             ;   in Loop: Header=BB4_5351 Depth=2
	v_and_b32_e32 v17, 0x7f, v42
	v_cmp_ne_u32_e32 vcc, s51, v17
	v_mov_b32_e32 v0, 0x7f800001
	s_and_saveexec_b64 s[30:31], vcc
	s_cbranch_execz .LBB4_5884
; %bb.5883:                             ;   in Loop: Header=BB4_5351 Depth=2
	v_and_b32_e32 v0, 7, v16
	v_lshrrev_b32_e32 v19, 3, v17
	v_cmp_gt_u32_e32 vcc, 8, v17
	v_ffbh_u32_e32 v17, v0
	v_min_u32_e32 v17, 32, v17
	v_subrev_u32_e32 v23, 28, v17
	v_lshlrev_b64 v[36:37], v23, v[16:17]
	v_sub_u32_e32 v17, 29, v17
	v_and_b32_e32 v23, 7, v36
	v_cndmask_b32_e32 v17, v19, v17, vcc
	v_cndmask_b32_e32 v0, v0, v23, vcc
	v_lshlrev_b32_e32 v19, 24, v42
	v_lshlrev_b32_e32 v0, 20, v0
	v_and_b32_e32 v19, 0x80000000, v19
	v_lshl_add_u32 v17, v17, 23, v62
	v_or3_b32 v0, v19, v17, v0
.LBB4_5884:                             ;   in Loop: Header=BB4_5351 Depth=2
	s_or_b64 exec, exec, s[30:31]
.LBB4_5885:                             ;   in Loop: Header=BB4_5351 Depth=2
	s_or_b64 exec, exec, s[94:95]
.LBB4_5886:                             ;   in Loop: Header=BB4_5351 Depth=2
	s_or_b64 exec, exec, s[92:93]
	v_and_b32_e32 v17, 0xff, v40
	v_cmp_ne_u16_e32 vcc, 0, v17
	s_and_saveexec_b64 s[92:93], vcc
	s_cbranch_execz .LBB4_5892
; %bb.5887:                             ;   in Loop: Header=BB4_5351 Depth=2
	v_cmp_ne_u16_e32 vcc, s49, v17
	v_bfrev_b32_e32 v18, 1
	s_and_saveexec_b64 s[94:95], vcc
	s_cbranch_execz .LBB4_5891
; %bb.5888:                             ;   in Loop: Header=BB4_5351 Depth=2
	v_and_b32_e32 v19, 0x7f, v40
	v_cmp_ne_u32_e32 vcc, s51, v19
	v_mov_b32_e32 v18, 0x7f800001
	s_and_saveexec_b64 s[30:31], vcc
	s_cbranch_execz .LBB4_5890
; %bb.5889:                             ;   in Loop: Header=BB4_5351 Depth=2
	v_and_b32_e32 v23, 7, v17
	v_ffbh_u32_e32 v18, v23
	v_lshrrev_b32_e32 v36, 3, v19
	v_cmp_gt_u32_e32 vcc, 8, v19
	v_min_u32_e32 v19, 32, v18
	v_subrev_u32_e32 v18, 28, v19
	v_lshlrev_b64 v[17:18], v18, v[17:18]
	v_sub_u32_e32 v18, 29, v19
	v_and_b32_e32 v17, 7, v17
	v_cndmask_b32_e32 v18, v36, v18, vcc
	v_cndmask_b32_e32 v17, v23, v17, vcc
	v_lshlrev_b32_e32 v19, 24, v40
	v_lshlrev_b32_e32 v17, 20, v17
	v_and_b32_e32 v19, 0x80000000, v19
	v_lshl_add_u32 v18, v18, 23, v62
	v_or3_b32 v18, v19, v18, v17
.LBB4_5890:                             ;   in Loop: Header=BB4_5351 Depth=2
	s_or_b64 exec, exec, s[30:31]
.LBB4_5891:                             ;   in Loop: Header=BB4_5351 Depth=2
	s_or_b64 exec, exec, s[94:95]
.LBB4_5892:                             ;   in Loop: Header=BB4_5351 Depth=2
	s_or_b64 exec, exec, s[92:93]
	v_max_f32_e32 v17, v18, v18
	v_max_f32_e32 v0, v0, v0
	;; [unrolled: 1-line block ×3, first 2 shown]
	s_mov_b64 s[92:93], 0
.LBB4_5893:                             ;   in Loop: Header=BB4_5351 Depth=2
	s_and_b64 vcc, exec, s[92:93]
	s_cbranch_vccz .LBB4_5907
; %bb.5894:                             ;   in Loop: Header=BB4_5351 Depth=2
	v_mov_b32_e32 v17, 0
	v_mov_b32_e32 v0, 0
	s_and_saveexec_b64 s[92:93], s[20:21]
	s_cbranch_execz .LBB4_5900
; %bb.5895:                             ;   in Loop: Header=BB4_5351 Depth=2
	v_cmp_ne_u16_e32 vcc, s49, v16
	v_bfrev_b32_e32 v0, 1
	s_and_saveexec_b64 s[20:21], vcc
	s_cbranch_execz .LBB4_5899
; %bb.5896:                             ;   in Loop: Header=BB4_5351 Depth=2
	v_and_b32_e32 v18, 0x7f, v42
	v_cmp_ne_u32_e32 vcc, s51, v18
	v_mov_b32_e32 v0, 0x7f800001
	s_and_saveexec_b64 s[94:95], vcc
	s_cbranch_execz .LBB4_5898
; %bb.5897:                             ;   in Loop: Header=BB4_5351 Depth=2
	v_and_b32_e32 v0, 7, v16
	v_lshrrev_b32_e32 v23, 3, v18
	v_cmp_gt_u32_e32 vcc, 8, v18
	v_ffbh_u32_e32 v18, v0
	v_min_u32_e32 v36, 32, v18
	v_subrev_u32_e32 v18, 28, v36
	v_lshlrev_b64 v[18:19], v18, v[16:17]
	v_sub_u32_e32 v16, 29, v36
	v_and_b32_e32 v18, 7, v18
	v_cndmask_b32_e32 v16, v23, v16, vcc
	v_cndmask_b32_e32 v0, v0, v18, vcc
	v_lshlrev_b32_e32 v18, 24, v42
	v_lshlrev_b32_e32 v0, 20, v0
	v_and_b32_e32 v18, 0x80000000, v18
	v_lshl_add_u32 v16, v16, 23, v62
	v_or3_b32 v0, v18, v16, v0
.LBB4_5898:                             ;   in Loop: Header=BB4_5351 Depth=2
	s_or_b64 exec, exec, s[94:95]
.LBB4_5899:                             ;   in Loop: Header=BB4_5351 Depth=2
	s_or_b64 exec, exec, s[20:21]
.LBB4_5900:                             ;   in Loop: Header=BB4_5351 Depth=2
	s_or_b64 exec, exec, s[92:93]
	v_and_b32_e32 v16, 0xff, v40
	v_cmp_ne_u16_e32 vcc, 0, v16
	s_and_saveexec_b64 s[20:21], vcc
	s_cbranch_execz .LBB4_5906
; %bb.5901:                             ;   in Loop: Header=BB4_5351 Depth=2
	v_cmp_ne_u16_e32 vcc, s49, v16
	v_bfrev_b32_e32 v17, 1
	s_and_saveexec_b64 s[92:93], vcc
	s_cbranch_execz .LBB4_5905
; %bb.5902:                             ;   in Loop: Header=BB4_5351 Depth=2
	v_and_b32_e32 v18, 0x7f, v40
	v_cmp_ne_u32_e32 vcc, s51, v18
	v_mov_b32_e32 v17, 0x7f800001
	s_and_saveexec_b64 s[94:95], vcc
	s_cbranch_execz .LBB4_5904
; %bb.5903:                             ;   in Loop: Header=BB4_5351 Depth=2
	v_and_b32_e32 v19, 7, v16
	v_ffbh_u32_e32 v17, v19
	v_lshrrev_b32_e32 v23, 3, v18
	v_cmp_gt_u32_e32 vcc, 8, v18
	v_min_u32_e32 v18, 32, v17
	v_subrev_u32_e32 v17, 28, v18
	v_lshlrev_b64 v[16:17], v17, v[16:17]
	v_sub_u32_e32 v17, 29, v18
	v_and_b32_e32 v16, 7, v16
	v_cndmask_b32_e32 v17, v23, v17, vcc
	v_cndmask_b32_e32 v16, v19, v16, vcc
	v_lshlrev_b32_e32 v18, 24, v40
	v_lshlrev_b32_e32 v16, 20, v16
	v_and_b32_e32 v18, 0x80000000, v18
	v_lshl_add_u32 v17, v17, 23, v62
	v_or3_b32 v17, v18, v17, v16
.LBB4_5904:                             ;   in Loop: Header=BB4_5351 Depth=2
	s_or_b64 exec, exec, s[94:95]
.LBB4_5905:                             ;   in Loop: Header=BB4_5351 Depth=2
	s_or_b64 exec, exec, s[92:93]
.LBB4_5906:                             ;   in Loop: Header=BB4_5351 Depth=2
	s_or_b64 exec, exec, s[20:21]
	v_max_f32_e32 v16, v17, v17
	v_max_f32_e32 v0, v0, v0
	v_min_f32_e32 v17, v0, v16
.LBB4_5907:                             ;   in Loop: Header=BB4_5351 Depth=2
	v_and_b32_e32 v50, 0x7f800000, v17
	v_cmp_ne_u64_e32 vcc, s[62:63], v[50:51]
                                        ; implicit-def: $vgpr40
	s_and_saveexec_b64 s[20:21], vcc
	s_xor_b64 s[92:93], exec, s[20:21]
	s_cbranch_execz .LBB4_5925
; %bb.5908:                             ;   in Loop: Header=BB4_5351 Depth=2
	v_and_b32_e32 v50, 0x7fffffff, v17
	v_cmp_gt_u64_e32 vcc, s[72:73], v[50:51]
	v_and_b32_sdwa v0, v17, s49 dst_sel:DWORD dst_unused:UNUSED_PAD src0_sel:BYTE_3 src1_sel:DWORD
                                        ; implicit-def: $vgpr40
	s_and_saveexec_b64 s[20:21], vcc
	s_xor_b64 s[94:95], exec, s[20:21]
	s_cbranch_execz .LBB4_5922
; %bb.5909:                             ;   in Loop: Header=BB4_5351 Depth=2
	v_cmp_ne_u32_e32 vcc, 0, v17
	v_mov_b32_e32 v40, 0
	s_and_saveexec_b64 s[30:31], vcc
	s_cbranch_execz .LBB4_5921
; %bb.5910:                             ;   in Loop: Header=BB4_5351 Depth=2
	v_bfe_u32 v19, v17, 23, 8
	v_and_b32_e32 v16, 0x7fffff, v17
	v_cmp_gt_u32_e64 s[20:21], s53, v19
	v_sub_u32_e32 v17, 0x79, v19
	v_cmp_eq_u32_e32 vcc, 0, v19
	v_cndmask_b32_e64 v17, 0, v17, s[20:21]
	v_mov_b32_e32 v23, 0x78
	v_or_b32_e32 v18, 0x800000, v16
	v_cndmask_b32_e32 v23, v17, v23, vcc
	v_cndmask_b32_e32 v50, v18, v16, vcc
	v_add_u32_e32 v16, 20, v23
	v_lshlrev_b64 v[16:17], v16, -1
	v_add_u32_e32 v18, 19, v23
	v_lshlrev_b64 v[36:37], v18, 1
	v_bfi_b32 v17, v17, 0, 0
	v_bfi_b32 v16, v16, 0, v50
	v_cmp_eq_u64_e64 s[20:21], v[16:17], v[36:37]
	v_lshrrev_b64 v[16:17], v23, v[50:51]
	v_mov_b32_e32 v18, v17
	v_mov_b32_e32 v17, v16
	s_and_saveexec_b64 s[34:35], s[20:21]
; %bb.5911:                             ;   in Loop: Header=BB4_5351 Depth=2
	v_bfe_u32 v17, v16, 20, 1
	v_add_co_u32_e64 v17, s[20:21], v16, v17
	v_add_co_u32_e64 v17, s[20:21], -1, v17
; %bb.5912:                             ;   in Loop: Header=BB4_5351 Depth=2
	s_or_b64 exec, exec, s[34:35]
	v_add_u32_e32 v18, 0xffffff81, v19
	v_cndmask_b32_e32 v18, v18, v49, vcc
	v_lshrrev_b32_e32 v19, 23, v16
	v_add3_u32 v23, v23, v18, v19
	v_add_u32_e32 v19, 6, v23
	v_and_b32_e32 v17, 0xfffff, v17
	v_add_u32_e32 v50, v17, v16
	v_cmp_ne_u32_e32 vcc, 0, v19
                                        ; implicit-def: $vgpr16_vgpr17
                                        ; implicit-def: $vgpr18
	s_and_saveexec_b64 s[20:21], vcc
	s_xor_b64 s[20:21], exec, s[20:21]
; %bb.5913:                             ;   in Loop: Header=BB4_5351 Depth=2
	v_cmp_lt_u64_e32 vcc, s[74:75], v[50:51]
	v_add_u32_e32 v16, 7, v23
	v_cndmask_b32_e32 v18, v19, v16, vcc
	v_cndmask_b32_e64 v16, 0, 1, vcc
	v_lshrrev_b64 v[16:17], v16, v[50:51]
; %bb.5914:                             ;   in Loop: Header=BB4_5351 Depth=2
	s_andn2_saveexec_b64 s[20:21], s[20:21]
; %bb.5915:                             ;   in Loop: Header=BB4_5351 Depth=2
	v_mov_b32_e32 v16, v50
	v_bfe_u32 v18, v50, 23, 1
	v_mov_b32_e32 v17, v51
; %bb.5916:                             ;   in Loop: Header=BB4_5351 Depth=2
	s_or_b64 exec, exec, s[20:21]
	v_lshrrev_b64 v[16:17], 20, v[16:17]
	v_cmp_gt_i32_e32 vcc, 16, v18
	v_cndmask_b32_e32 v17, 0, v17, vcc
	v_cndmask_b32_e32 v16, 7, v16, vcc
	v_cmp_ne_u64_e32 vcc, 0, v[16:17]
	v_cmp_ne_u32_e64 s[20:21], 0, v18
	s_or_b64 s[20:21], s[20:21], vcc
                                        ; implicit-def: $vgpr40
	s_and_saveexec_b64 vcc, s[20:21]
	s_xor_b64 s[20:21], exec, vcc
; %bb.5917:                             ;   in Loop: Header=BB4_5351 Depth=2
	v_min_i32_e32 v17, 15, v18
	v_lshl_or_b32 v0, v17, 3, v0
	v_and_or_b32 v40, v16, 7, v0
                                        ; implicit-def: $vgpr0
; %bb.5918:                             ;   in Loop: Header=BB4_5351 Depth=2
	s_andn2_saveexec_b64 s[20:21], s[20:21]
; %bb.5919:                             ;   in Loop: Header=BB4_5351 Depth=2
	v_mov_b32_e32 v40, v0
; %bb.5920:                             ;   in Loop: Header=BB4_5351 Depth=2
	s_or_b64 exec, exec, s[20:21]
.LBB4_5921:                             ;   in Loop: Header=BB4_5351 Depth=2
	s_or_b64 exec, exec, s[30:31]
                                        ; implicit-def: $vgpr0
.LBB4_5922:                             ;   in Loop: Header=BB4_5351 Depth=2
	s_andn2_saveexec_b64 s[20:21], s[94:95]
; %bb.5923:                             ;   in Loop: Header=BB4_5351 Depth=2
	v_or_b32_e32 v40, 0x7e, v0
; %bb.5924:                             ;   in Loop: Header=BB4_5351 Depth=2
	s_or_b64 exec, exec, s[20:21]
                                        ; implicit-def: $vgpr17
.LBB4_5925:                             ;   in Loop: Header=BB4_5351 Depth=2
	s_andn2_saveexec_b64 s[20:21], s[92:93]
; %bb.5926:                             ;   in Loop: Header=BB4_5351 Depth=2
	v_or_b32_sdwa v40, v17, s51 dst_sel:DWORD dst_unused:UNUSED_PAD src0_sel:BYTE_3 src1_sel:DWORD
; %bb.5927:                             ;   in Loop: Header=BB4_5351 Depth=2
	s_or_b64 exec, exec, s[20:21]
	v_and_b32_e32 v16, 0xff, v55
	v_cmp_ne_u16_e64 s[20:21], 0, v16
	s_and_b64 vcc, exec, s[18:19]
	s_mov_b64 s[92:93], -1
                                        ; implicit-def: $vgpr17
	s_cbranch_vccnz .LBB4_5941
; %bb.5928:                             ;   in Loop: Header=BB4_5351 Depth=2
	v_mov_b32_e32 v18, 0
	v_mov_b32_e32 v0, 0
	s_and_saveexec_b64 s[92:93], s[20:21]
	s_cbranch_execz .LBB4_5934
; %bb.5929:                             ;   in Loop: Header=BB4_5351 Depth=2
	v_cmp_ne_u16_e32 vcc, s49, v16
	v_bfrev_b32_e32 v0, 1
	s_and_saveexec_b64 s[94:95], vcc
	s_cbranch_execz .LBB4_5933
; %bb.5930:                             ;   in Loop: Header=BB4_5351 Depth=2
	v_and_b32_e32 v17, 0x7f, v55
	v_cmp_ne_u32_e32 vcc, s51, v17
	v_mov_b32_e32 v0, 0x7f800001
	s_and_saveexec_b64 s[30:31], vcc
	s_cbranch_execz .LBB4_5932
; %bb.5931:                             ;   in Loop: Header=BB4_5351 Depth=2
	v_and_b32_e32 v0, 7, v16
	v_lshrrev_b32_e32 v19, 3, v17
	v_cmp_gt_u32_e32 vcc, 8, v17
	v_ffbh_u32_e32 v17, v0
	v_min_u32_e32 v17, 32, v17
	v_subrev_u32_e32 v23, 28, v17
	v_lshlrev_b64 v[36:37], v23, v[16:17]
	v_sub_u32_e32 v17, 29, v17
	v_and_b32_e32 v23, 7, v36
	v_cndmask_b32_e32 v17, v19, v17, vcc
	v_cndmask_b32_e32 v0, v0, v23, vcc
	v_lshlrev_b32_e32 v19, 24, v55
	v_lshlrev_b32_e32 v0, 20, v0
	v_and_b32_e32 v19, 0x80000000, v19
	v_lshl_add_u32 v17, v17, 23, v62
	v_or3_b32 v0, v19, v17, v0
.LBB4_5932:                             ;   in Loop: Header=BB4_5351 Depth=2
	s_or_b64 exec, exec, s[30:31]
.LBB4_5933:                             ;   in Loop: Header=BB4_5351 Depth=2
	s_or_b64 exec, exec, s[94:95]
.LBB4_5934:                             ;   in Loop: Header=BB4_5351 Depth=2
	s_or_b64 exec, exec, s[92:93]
	v_and_b32_e32 v17, 0xff, v27
	v_cmp_ne_u16_e32 vcc, 0, v17
	s_and_saveexec_b64 s[92:93], vcc
	s_cbranch_execz .LBB4_5940
; %bb.5935:                             ;   in Loop: Header=BB4_5351 Depth=2
	v_cmp_ne_u16_e32 vcc, s49, v17
	v_bfrev_b32_e32 v18, 1
	s_and_saveexec_b64 s[94:95], vcc
	s_cbranch_execz .LBB4_5939
; %bb.5936:                             ;   in Loop: Header=BB4_5351 Depth=2
	v_and_b32_e32 v19, 0x7f, v27
	v_cmp_ne_u32_e32 vcc, s51, v19
	v_mov_b32_e32 v18, 0x7f800001
	s_and_saveexec_b64 s[30:31], vcc
	s_cbranch_execz .LBB4_5938
; %bb.5937:                             ;   in Loop: Header=BB4_5351 Depth=2
	v_and_b32_e32 v23, 7, v17
	v_ffbh_u32_e32 v18, v23
	v_lshrrev_b32_e32 v36, 3, v19
	v_cmp_gt_u32_e32 vcc, 8, v19
	v_min_u32_e32 v19, 32, v18
	v_subrev_u32_e32 v18, 28, v19
	v_lshlrev_b64 v[17:18], v18, v[17:18]
	v_sub_u32_e32 v18, 29, v19
	v_and_b32_e32 v17, 7, v17
	v_cndmask_b32_e32 v18, v36, v18, vcc
	v_cndmask_b32_e32 v17, v23, v17, vcc
	v_lshlrev_b32_e32 v19, 24, v27
	v_lshlrev_b32_e32 v17, 20, v17
	v_and_b32_e32 v19, 0x80000000, v19
	v_lshl_add_u32 v18, v18, 23, v62
	v_or3_b32 v18, v19, v18, v17
.LBB4_5938:                             ;   in Loop: Header=BB4_5351 Depth=2
	s_or_b64 exec, exec, s[30:31]
.LBB4_5939:                             ;   in Loop: Header=BB4_5351 Depth=2
	s_or_b64 exec, exec, s[94:95]
.LBB4_5940:                             ;   in Loop: Header=BB4_5351 Depth=2
	s_or_b64 exec, exec, s[92:93]
	v_max_f32_e32 v17, v18, v18
	v_max_f32_e32 v0, v0, v0
	;; [unrolled: 1-line block ×3, first 2 shown]
	s_mov_b64 s[92:93], 0
.LBB4_5941:                             ;   in Loop: Header=BB4_5351 Depth=2
	s_and_b64 vcc, exec, s[92:93]
	s_cbranch_vccz .LBB4_5955
; %bb.5942:                             ;   in Loop: Header=BB4_5351 Depth=2
	v_mov_b32_e32 v17, 0
	v_mov_b32_e32 v0, 0
	s_and_saveexec_b64 s[92:93], s[20:21]
	s_cbranch_execz .LBB4_5948
; %bb.5943:                             ;   in Loop: Header=BB4_5351 Depth=2
	v_cmp_ne_u16_e32 vcc, s49, v16
	v_bfrev_b32_e32 v0, 1
	s_and_saveexec_b64 s[20:21], vcc
	s_cbranch_execz .LBB4_5947
; %bb.5944:                             ;   in Loop: Header=BB4_5351 Depth=2
	v_and_b32_e32 v18, 0x7f, v55
	v_cmp_ne_u32_e32 vcc, s51, v18
	v_mov_b32_e32 v0, 0x7f800001
	s_and_saveexec_b64 s[94:95], vcc
	s_cbranch_execz .LBB4_5946
; %bb.5945:                             ;   in Loop: Header=BB4_5351 Depth=2
	v_and_b32_e32 v0, 7, v16
	v_lshrrev_b32_e32 v23, 3, v18
	v_cmp_gt_u32_e32 vcc, 8, v18
	v_ffbh_u32_e32 v18, v0
	v_min_u32_e32 v36, 32, v18
	v_subrev_u32_e32 v18, 28, v36
	v_lshlrev_b64 v[18:19], v18, v[16:17]
	v_sub_u32_e32 v16, 29, v36
	v_and_b32_e32 v18, 7, v18
	v_cndmask_b32_e32 v16, v23, v16, vcc
	v_cndmask_b32_e32 v0, v0, v18, vcc
	v_lshlrev_b32_e32 v18, 24, v55
	v_lshlrev_b32_e32 v0, 20, v0
	v_and_b32_e32 v18, 0x80000000, v18
	v_lshl_add_u32 v16, v16, 23, v62
	v_or3_b32 v0, v18, v16, v0
.LBB4_5946:                             ;   in Loop: Header=BB4_5351 Depth=2
	s_or_b64 exec, exec, s[94:95]
.LBB4_5947:                             ;   in Loop: Header=BB4_5351 Depth=2
	s_or_b64 exec, exec, s[20:21]
.LBB4_5948:                             ;   in Loop: Header=BB4_5351 Depth=2
	s_or_b64 exec, exec, s[92:93]
	v_and_b32_e32 v16, 0xff, v27
	v_cmp_ne_u16_e32 vcc, 0, v16
	s_and_saveexec_b64 s[20:21], vcc
	s_cbranch_execz .LBB4_5954
; %bb.5949:                             ;   in Loop: Header=BB4_5351 Depth=2
	v_cmp_ne_u16_e32 vcc, s49, v16
	v_bfrev_b32_e32 v17, 1
	s_and_saveexec_b64 s[92:93], vcc
	s_cbranch_execz .LBB4_5953
; %bb.5950:                             ;   in Loop: Header=BB4_5351 Depth=2
	v_and_b32_e32 v18, 0x7f, v27
	v_cmp_ne_u32_e32 vcc, s51, v18
	v_mov_b32_e32 v17, 0x7f800001
	s_and_saveexec_b64 s[94:95], vcc
	s_cbranch_execz .LBB4_5952
; %bb.5951:                             ;   in Loop: Header=BB4_5351 Depth=2
	v_and_b32_e32 v19, 7, v16
	v_ffbh_u32_e32 v17, v19
	v_lshrrev_b32_e32 v23, 3, v18
	v_cmp_gt_u32_e32 vcc, 8, v18
	v_min_u32_e32 v18, 32, v17
	v_subrev_u32_e32 v17, 28, v18
	v_lshlrev_b64 v[16:17], v17, v[16:17]
	v_sub_u32_e32 v17, 29, v18
	v_and_b32_e32 v16, 7, v16
	v_cndmask_b32_e32 v17, v23, v17, vcc
	v_cndmask_b32_e32 v16, v19, v16, vcc
	v_lshlrev_b32_e32 v18, 24, v27
	v_lshlrev_b32_e32 v16, 20, v16
	v_and_b32_e32 v18, 0x80000000, v18
	v_lshl_add_u32 v17, v17, 23, v62
	v_or3_b32 v17, v18, v17, v16
.LBB4_5952:                             ;   in Loop: Header=BB4_5351 Depth=2
	s_or_b64 exec, exec, s[94:95]
.LBB4_5953:                             ;   in Loop: Header=BB4_5351 Depth=2
	s_or_b64 exec, exec, s[92:93]
.LBB4_5954:                             ;   in Loop: Header=BB4_5351 Depth=2
	s_or_b64 exec, exec, s[20:21]
	v_max_f32_e32 v16, v17, v17
	v_max_f32_e32 v0, v0, v0
	v_min_f32_e32 v17, v0, v16
.LBB4_5955:                             ;   in Loop: Header=BB4_5351 Depth=2
	v_and_b32_e32 v50, 0x7f800000, v17
	v_cmp_ne_u64_e32 vcc, s[62:63], v[50:51]
                                        ; implicit-def: $vgpr27
	s_and_saveexec_b64 s[20:21], vcc
	s_xor_b64 s[92:93], exec, s[20:21]
	s_cbranch_execz .LBB4_5973
; %bb.5956:                             ;   in Loop: Header=BB4_5351 Depth=2
	v_and_b32_e32 v50, 0x7fffffff, v17
	v_cmp_gt_u64_e32 vcc, s[72:73], v[50:51]
	v_and_b32_sdwa v0, v17, s49 dst_sel:DWORD dst_unused:UNUSED_PAD src0_sel:BYTE_3 src1_sel:DWORD
                                        ; implicit-def: $vgpr27
	s_and_saveexec_b64 s[20:21], vcc
	s_xor_b64 s[94:95], exec, s[20:21]
	s_cbranch_execz .LBB4_5970
; %bb.5957:                             ;   in Loop: Header=BB4_5351 Depth=2
	v_cmp_ne_u32_e32 vcc, 0, v17
	v_mov_b32_e32 v27, 0
	s_and_saveexec_b64 s[30:31], vcc
	s_cbranch_execz .LBB4_5969
; %bb.5958:                             ;   in Loop: Header=BB4_5351 Depth=2
	v_bfe_u32 v19, v17, 23, 8
	v_and_b32_e32 v16, 0x7fffff, v17
	v_cmp_gt_u32_e64 s[20:21], s53, v19
	v_sub_u32_e32 v17, 0x79, v19
	v_cmp_eq_u32_e32 vcc, 0, v19
	v_cndmask_b32_e64 v17, 0, v17, s[20:21]
	v_mov_b32_e32 v23, 0x78
	v_or_b32_e32 v18, 0x800000, v16
	v_cndmask_b32_e32 v23, v17, v23, vcc
	v_cndmask_b32_e32 v50, v18, v16, vcc
	v_add_u32_e32 v16, 20, v23
	v_lshlrev_b64 v[16:17], v16, -1
	v_add_u32_e32 v18, 19, v23
	v_lshlrev_b64 v[36:37], v18, 1
	v_bfi_b32 v17, v17, 0, 0
	v_bfi_b32 v16, v16, 0, v50
	v_cmp_eq_u64_e64 s[20:21], v[16:17], v[36:37]
	v_lshrrev_b64 v[16:17], v23, v[50:51]
	v_mov_b32_e32 v18, v17
	v_mov_b32_e32 v17, v16
	s_and_saveexec_b64 s[34:35], s[20:21]
; %bb.5959:                             ;   in Loop: Header=BB4_5351 Depth=2
	v_bfe_u32 v17, v16, 20, 1
	v_add_co_u32_e64 v17, s[20:21], v16, v17
	v_add_co_u32_e64 v17, s[20:21], -1, v17
; %bb.5960:                             ;   in Loop: Header=BB4_5351 Depth=2
	s_or_b64 exec, exec, s[34:35]
	v_add_u32_e32 v18, 0xffffff81, v19
	v_cndmask_b32_e32 v18, v18, v49, vcc
	v_lshrrev_b32_e32 v19, 23, v16
	v_add3_u32 v23, v23, v18, v19
	v_add_u32_e32 v19, 6, v23
	v_and_b32_e32 v17, 0xfffff, v17
	v_add_u32_e32 v50, v17, v16
	v_cmp_ne_u32_e32 vcc, 0, v19
                                        ; implicit-def: $vgpr16_vgpr17
                                        ; implicit-def: $vgpr18
	s_and_saveexec_b64 s[20:21], vcc
	s_xor_b64 s[20:21], exec, s[20:21]
; %bb.5961:                             ;   in Loop: Header=BB4_5351 Depth=2
	v_cmp_lt_u64_e32 vcc, s[74:75], v[50:51]
	v_add_u32_e32 v16, 7, v23
	v_cndmask_b32_e32 v18, v19, v16, vcc
	v_cndmask_b32_e64 v16, 0, 1, vcc
	v_lshrrev_b64 v[16:17], v16, v[50:51]
; %bb.5962:                             ;   in Loop: Header=BB4_5351 Depth=2
	s_andn2_saveexec_b64 s[20:21], s[20:21]
; %bb.5963:                             ;   in Loop: Header=BB4_5351 Depth=2
	v_mov_b32_e32 v16, v50
	v_bfe_u32 v18, v50, 23, 1
	v_mov_b32_e32 v17, v51
; %bb.5964:                             ;   in Loop: Header=BB4_5351 Depth=2
	s_or_b64 exec, exec, s[20:21]
	v_lshrrev_b64 v[16:17], 20, v[16:17]
	v_cmp_gt_i32_e32 vcc, 16, v18
	v_cndmask_b32_e32 v17, 0, v17, vcc
	v_cndmask_b32_e32 v16, 7, v16, vcc
	v_cmp_ne_u64_e32 vcc, 0, v[16:17]
	v_cmp_ne_u32_e64 s[20:21], 0, v18
	s_or_b64 s[20:21], s[20:21], vcc
                                        ; implicit-def: $vgpr27
	s_and_saveexec_b64 vcc, s[20:21]
	s_xor_b64 s[20:21], exec, vcc
; %bb.5965:                             ;   in Loop: Header=BB4_5351 Depth=2
	v_min_i32_e32 v17, 15, v18
	v_lshl_or_b32 v0, v17, 3, v0
	v_and_or_b32 v27, v16, 7, v0
                                        ; implicit-def: $vgpr0
; %bb.5966:                             ;   in Loop: Header=BB4_5351 Depth=2
	s_andn2_saveexec_b64 s[20:21], s[20:21]
; %bb.5967:                             ;   in Loop: Header=BB4_5351 Depth=2
	v_mov_b32_e32 v27, v0
; %bb.5968:                             ;   in Loop: Header=BB4_5351 Depth=2
	s_or_b64 exec, exec, s[20:21]
.LBB4_5969:                             ;   in Loop: Header=BB4_5351 Depth=2
	s_or_b64 exec, exec, s[30:31]
                                        ; implicit-def: $vgpr0
.LBB4_5970:                             ;   in Loop: Header=BB4_5351 Depth=2
	s_andn2_saveexec_b64 s[20:21], s[94:95]
; %bb.5971:                             ;   in Loop: Header=BB4_5351 Depth=2
	v_or_b32_e32 v27, 0x7e, v0
; %bb.5972:                             ;   in Loop: Header=BB4_5351 Depth=2
	s_or_b64 exec, exec, s[20:21]
                                        ; implicit-def: $vgpr17
.LBB4_5973:                             ;   in Loop: Header=BB4_5351 Depth=2
	s_andn2_saveexec_b64 s[20:21], s[92:93]
; %bb.5974:                             ;   in Loop: Header=BB4_5351 Depth=2
	v_or_b32_sdwa v27, v17, s51 dst_sel:DWORD dst_unused:UNUSED_PAD src0_sel:BYTE_3 src1_sel:DWORD
; %bb.5975:                             ;   in Loop: Header=BB4_5351 Depth=2
	s_or_b64 exec, exec, s[20:21]
	v_and_b32_e32 v16, 0xff, v34
	v_cmp_ne_u16_e64 s[20:21], 0, v16
	s_and_b64 vcc, exec, s[18:19]
	s_mov_b64 s[92:93], -1
                                        ; implicit-def: $vgpr17
	s_cbranch_vccnz .LBB4_5989
; %bb.5976:                             ;   in Loop: Header=BB4_5351 Depth=2
	v_mov_b32_e32 v18, 0
	v_mov_b32_e32 v0, 0
	s_and_saveexec_b64 s[92:93], s[20:21]
	s_cbranch_execz .LBB4_5982
; %bb.5977:                             ;   in Loop: Header=BB4_5351 Depth=2
	v_cmp_ne_u16_e32 vcc, s49, v16
	v_bfrev_b32_e32 v0, 1
	s_and_saveexec_b64 s[94:95], vcc
	s_cbranch_execz .LBB4_5981
; %bb.5978:                             ;   in Loop: Header=BB4_5351 Depth=2
	v_and_b32_e32 v17, 0x7f, v34
	v_cmp_ne_u32_e32 vcc, s51, v17
	v_mov_b32_e32 v0, 0x7f800001
	s_and_saveexec_b64 s[30:31], vcc
	s_cbranch_execz .LBB4_5980
; %bb.5979:                             ;   in Loop: Header=BB4_5351 Depth=2
	v_and_b32_e32 v0, 7, v16
	v_lshrrev_b32_e32 v19, 3, v17
	v_cmp_gt_u32_e32 vcc, 8, v17
	v_ffbh_u32_e32 v17, v0
	v_min_u32_e32 v17, 32, v17
	v_subrev_u32_e32 v23, 28, v17
	v_lshlrev_b64 v[36:37], v23, v[16:17]
	v_sub_u32_e32 v17, 29, v17
	v_and_b32_e32 v23, 7, v36
	v_cndmask_b32_e32 v17, v19, v17, vcc
	v_cndmask_b32_e32 v0, v0, v23, vcc
	v_lshlrev_b32_e32 v19, 24, v34
	v_lshlrev_b32_e32 v0, 20, v0
	v_and_b32_e32 v19, 0x80000000, v19
	v_lshl_add_u32 v17, v17, 23, v62
	v_or3_b32 v0, v19, v17, v0
.LBB4_5980:                             ;   in Loop: Header=BB4_5351 Depth=2
	s_or_b64 exec, exec, s[30:31]
.LBB4_5981:                             ;   in Loop: Header=BB4_5351 Depth=2
	s_or_b64 exec, exec, s[94:95]
.LBB4_5982:                             ;   in Loop: Header=BB4_5351 Depth=2
	s_or_b64 exec, exec, s[92:93]
	v_and_b32_e32 v17, 0xff, v30
	v_cmp_ne_u16_e32 vcc, 0, v17
	s_and_saveexec_b64 s[92:93], vcc
	s_cbranch_execz .LBB4_5988
; %bb.5983:                             ;   in Loop: Header=BB4_5351 Depth=2
	v_cmp_ne_u16_e32 vcc, s49, v17
	v_bfrev_b32_e32 v18, 1
	s_and_saveexec_b64 s[94:95], vcc
	s_cbranch_execz .LBB4_5987
; %bb.5984:                             ;   in Loop: Header=BB4_5351 Depth=2
	v_and_b32_e32 v19, 0x7f, v30
	v_cmp_ne_u32_e32 vcc, s51, v19
	v_mov_b32_e32 v18, 0x7f800001
	s_and_saveexec_b64 s[30:31], vcc
	s_cbranch_execz .LBB4_5986
; %bb.5985:                             ;   in Loop: Header=BB4_5351 Depth=2
	v_and_b32_e32 v23, 7, v17
	v_ffbh_u32_e32 v18, v23
	v_lshrrev_b32_e32 v36, 3, v19
	v_cmp_gt_u32_e32 vcc, 8, v19
	v_min_u32_e32 v19, 32, v18
	v_subrev_u32_e32 v18, 28, v19
	v_lshlrev_b64 v[17:18], v18, v[17:18]
	v_sub_u32_e32 v18, 29, v19
	v_and_b32_e32 v17, 7, v17
	v_cndmask_b32_e32 v18, v36, v18, vcc
	v_cndmask_b32_e32 v17, v23, v17, vcc
	v_lshlrev_b32_e32 v19, 24, v30
	v_lshlrev_b32_e32 v17, 20, v17
	v_and_b32_e32 v19, 0x80000000, v19
	v_lshl_add_u32 v18, v18, 23, v62
	v_or3_b32 v18, v19, v18, v17
.LBB4_5986:                             ;   in Loop: Header=BB4_5351 Depth=2
	s_or_b64 exec, exec, s[30:31]
.LBB4_5987:                             ;   in Loop: Header=BB4_5351 Depth=2
	s_or_b64 exec, exec, s[94:95]
.LBB4_5988:                             ;   in Loop: Header=BB4_5351 Depth=2
	s_or_b64 exec, exec, s[92:93]
	v_max_f32_e32 v17, v18, v18
	v_max_f32_e32 v0, v0, v0
	;; [unrolled: 1-line block ×3, first 2 shown]
	s_mov_b64 s[92:93], 0
.LBB4_5989:                             ;   in Loop: Header=BB4_5351 Depth=2
	s_and_b64 vcc, exec, s[92:93]
	s_cbranch_vccz .LBB4_6003
; %bb.5990:                             ;   in Loop: Header=BB4_5351 Depth=2
	v_mov_b32_e32 v17, 0
	v_mov_b32_e32 v0, 0
	s_and_saveexec_b64 s[92:93], s[20:21]
	s_cbranch_execz .LBB4_5996
; %bb.5991:                             ;   in Loop: Header=BB4_5351 Depth=2
	v_cmp_ne_u16_e32 vcc, s49, v16
	v_bfrev_b32_e32 v0, 1
	s_and_saveexec_b64 s[20:21], vcc
	s_cbranch_execz .LBB4_5995
; %bb.5992:                             ;   in Loop: Header=BB4_5351 Depth=2
	v_and_b32_e32 v18, 0x7f, v34
	v_cmp_ne_u32_e32 vcc, s51, v18
	v_mov_b32_e32 v0, 0x7f800001
	s_and_saveexec_b64 s[94:95], vcc
	s_cbranch_execz .LBB4_5994
; %bb.5993:                             ;   in Loop: Header=BB4_5351 Depth=2
	v_and_b32_e32 v0, 7, v16
	v_lshrrev_b32_e32 v23, 3, v18
	v_cmp_gt_u32_e32 vcc, 8, v18
	v_ffbh_u32_e32 v18, v0
	v_min_u32_e32 v36, 32, v18
	v_subrev_u32_e32 v18, 28, v36
	v_lshlrev_b64 v[18:19], v18, v[16:17]
	v_sub_u32_e32 v16, 29, v36
	v_and_b32_e32 v18, 7, v18
	v_cndmask_b32_e32 v16, v23, v16, vcc
	v_cndmask_b32_e32 v0, v0, v18, vcc
	v_lshlrev_b32_e32 v18, 24, v34
	v_lshlrev_b32_e32 v0, 20, v0
	v_and_b32_e32 v18, 0x80000000, v18
	v_lshl_add_u32 v16, v16, 23, v62
	v_or3_b32 v0, v18, v16, v0
.LBB4_5994:                             ;   in Loop: Header=BB4_5351 Depth=2
	s_or_b64 exec, exec, s[94:95]
.LBB4_5995:                             ;   in Loop: Header=BB4_5351 Depth=2
	s_or_b64 exec, exec, s[20:21]
.LBB4_5996:                             ;   in Loop: Header=BB4_5351 Depth=2
	s_or_b64 exec, exec, s[92:93]
	v_and_b32_e32 v16, 0xff, v30
	v_cmp_ne_u16_e32 vcc, 0, v16
	s_and_saveexec_b64 s[20:21], vcc
	s_cbranch_execz .LBB4_6002
; %bb.5997:                             ;   in Loop: Header=BB4_5351 Depth=2
	v_cmp_ne_u16_e32 vcc, s49, v16
	v_bfrev_b32_e32 v17, 1
	s_and_saveexec_b64 s[92:93], vcc
	s_cbranch_execz .LBB4_6001
; %bb.5998:                             ;   in Loop: Header=BB4_5351 Depth=2
	v_and_b32_e32 v18, 0x7f, v30
	v_cmp_ne_u32_e32 vcc, s51, v18
	v_mov_b32_e32 v17, 0x7f800001
	s_and_saveexec_b64 s[94:95], vcc
	s_cbranch_execz .LBB4_6000
; %bb.5999:                             ;   in Loop: Header=BB4_5351 Depth=2
	v_and_b32_e32 v19, 7, v16
	v_ffbh_u32_e32 v17, v19
	v_lshrrev_b32_e32 v23, 3, v18
	v_cmp_gt_u32_e32 vcc, 8, v18
	v_min_u32_e32 v18, 32, v17
	v_subrev_u32_e32 v17, 28, v18
	v_lshlrev_b64 v[16:17], v17, v[16:17]
	v_sub_u32_e32 v17, 29, v18
	v_and_b32_e32 v16, 7, v16
	v_cndmask_b32_e32 v17, v23, v17, vcc
	v_cndmask_b32_e32 v16, v19, v16, vcc
	v_lshlrev_b32_e32 v18, 24, v30
	v_lshlrev_b32_e32 v16, 20, v16
	v_and_b32_e32 v18, 0x80000000, v18
	v_lshl_add_u32 v17, v17, 23, v62
	v_or3_b32 v17, v18, v17, v16
.LBB4_6000:                             ;   in Loop: Header=BB4_5351 Depth=2
	s_or_b64 exec, exec, s[94:95]
.LBB4_6001:                             ;   in Loop: Header=BB4_5351 Depth=2
	s_or_b64 exec, exec, s[92:93]
.LBB4_6002:                             ;   in Loop: Header=BB4_5351 Depth=2
	s_or_b64 exec, exec, s[20:21]
	v_max_f32_e32 v16, v17, v17
	v_max_f32_e32 v0, v0, v0
	v_min_f32_e32 v17, v0, v16
.LBB4_6003:                             ;   in Loop: Header=BB4_5351 Depth=2
	v_and_b32_e32 v50, 0x7f800000, v17
	v_cmp_ne_u64_e32 vcc, s[62:63], v[50:51]
                                        ; implicit-def: $vgpr19
	s_and_saveexec_b64 s[20:21], vcc
	s_xor_b64 s[92:93], exec, s[20:21]
	s_cbranch_execz .LBB4_6021
; %bb.6004:                             ;   in Loop: Header=BB4_5351 Depth=2
	v_and_b32_e32 v50, 0x7fffffff, v17
	v_cmp_gt_u64_e32 vcc, s[72:73], v[50:51]
	v_and_b32_sdwa v0, v17, s49 dst_sel:DWORD dst_unused:UNUSED_PAD src0_sel:BYTE_3 src1_sel:DWORD
                                        ; implicit-def: $vgpr19
	s_and_saveexec_b64 s[20:21], vcc
	s_xor_b64 s[94:95], exec, s[20:21]
	s_cbranch_execz .LBB4_6018
; %bb.6005:                             ;   in Loop: Header=BB4_5351 Depth=2
	v_cmp_ne_u32_e32 vcc, 0, v17
	v_mov_b32_e32 v19, 0
	s_and_saveexec_b64 s[30:31], vcc
	s_cbranch_execz .LBB4_6017
; %bb.6006:                             ;   in Loop: Header=BB4_5351 Depth=2
	v_bfe_u32 v19, v17, 23, 8
	v_and_b32_e32 v16, 0x7fffff, v17
	v_cmp_gt_u32_e64 s[20:21], s53, v19
	v_sub_u32_e32 v17, 0x79, v19
	v_cmp_eq_u32_e32 vcc, 0, v19
	v_cndmask_b32_e64 v17, 0, v17, s[20:21]
	v_mov_b32_e32 v23, 0x78
	v_or_b32_e32 v18, 0x800000, v16
	v_cndmask_b32_e32 v23, v17, v23, vcc
	v_cndmask_b32_e32 v50, v18, v16, vcc
	v_add_u32_e32 v16, 20, v23
	v_lshlrev_b64 v[16:17], v16, -1
	v_add_u32_e32 v18, 19, v23
	v_lshlrev_b64 v[36:37], v18, 1
	v_bfi_b32 v17, v17, 0, 0
	v_bfi_b32 v16, v16, 0, v50
	v_cmp_eq_u64_e64 s[20:21], v[16:17], v[36:37]
	v_lshrrev_b64 v[16:17], v23, v[50:51]
	v_mov_b32_e32 v18, v17
	v_mov_b32_e32 v17, v16
	s_and_saveexec_b64 s[34:35], s[20:21]
; %bb.6007:                             ;   in Loop: Header=BB4_5351 Depth=2
	v_bfe_u32 v17, v16, 20, 1
	v_add_co_u32_e64 v17, s[20:21], v16, v17
	v_add_co_u32_e64 v17, s[20:21], -1, v17
; %bb.6008:                             ;   in Loop: Header=BB4_5351 Depth=2
	s_or_b64 exec, exec, s[34:35]
	v_add_u32_e32 v18, 0xffffff81, v19
	v_cndmask_b32_e32 v18, v18, v49, vcc
	v_lshrrev_b32_e32 v19, 23, v16
	v_add3_u32 v23, v23, v18, v19
	v_add_u32_e32 v19, 6, v23
	v_and_b32_e32 v17, 0xfffff, v17
	v_add_u32_e32 v50, v17, v16
	v_cmp_ne_u32_e32 vcc, 0, v19
                                        ; implicit-def: $vgpr16_vgpr17
                                        ; implicit-def: $vgpr18
	s_and_saveexec_b64 s[20:21], vcc
	s_xor_b64 s[20:21], exec, s[20:21]
; %bb.6009:                             ;   in Loop: Header=BB4_5351 Depth=2
	v_cmp_lt_u64_e32 vcc, s[74:75], v[50:51]
	v_add_u32_e32 v16, 7, v23
	v_cndmask_b32_e32 v18, v19, v16, vcc
	v_cndmask_b32_e64 v16, 0, 1, vcc
	v_lshrrev_b64 v[16:17], v16, v[50:51]
; %bb.6010:                             ;   in Loop: Header=BB4_5351 Depth=2
	s_andn2_saveexec_b64 s[20:21], s[20:21]
; %bb.6011:                             ;   in Loop: Header=BB4_5351 Depth=2
	v_mov_b32_e32 v16, v50
	v_bfe_u32 v18, v50, 23, 1
	v_mov_b32_e32 v17, v51
; %bb.6012:                             ;   in Loop: Header=BB4_5351 Depth=2
	s_or_b64 exec, exec, s[20:21]
	v_lshrrev_b64 v[16:17], 20, v[16:17]
	v_cmp_gt_i32_e32 vcc, 16, v18
	v_cndmask_b32_e32 v17, 0, v17, vcc
	v_cndmask_b32_e32 v16, 7, v16, vcc
	v_cmp_ne_u64_e32 vcc, 0, v[16:17]
	v_cmp_ne_u32_e64 s[20:21], 0, v18
	s_or_b64 s[20:21], s[20:21], vcc
                                        ; implicit-def: $vgpr19
	s_and_saveexec_b64 vcc, s[20:21]
	s_xor_b64 s[20:21], exec, vcc
; %bb.6013:                             ;   in Loop: Header=BB4_5351 Depth=2
	v_min_i32_e32 v17, 15, v18
	v_lshl_or_b32 v0, v17, 3, v0
	v_and_or_b32 v19, v16, 7, v0
                                        ; implicit-def: $vgpr0
; %bb.6014:                             ;   in Loop: Header=BB4_5351 Depth=2
	s_andn2_saveexec_b64 s[20:21], s[20:21]
; %bb.6015:                             ;   in Loop: Header=BB4_5351 Depth=2
	v_mov_b32_e32 v19, v0
; %bb.6016:                             ;   in Loop: Header=BB4_5351 Depth=2
	s_or_b64 exec, exec, s[20:21]
.LBB4_6017:                             ;   in Loop: Header=BB4_5351 Depth=2
	s_or_b64 exec, exec, s[30:31]
                                        ; implicit-def: $vgpr0
.LBB4_6018:                             ;   in Loop: Header=BB4_5351 Depth=2
	s_andn2_saveexec_b64 s[20:21], s[94:95]
; %bb.6019:                             ;   in Loop: Header=BB4_5351 Depth=2
	v_or_b32_e32 v19, 0x7e, v0
; %bb.6020:                             ;   in Loop: Header=BB4_5351 Depth=2
	s_or_b64 exec, exec, s[20:21]
                                        ; implicit-def: $vgpr17
.LBB4_6021:                             ;   in Loop: Header=BB4_5351 Depth=2
	s_andn2_saveexec_b64 s[20:21], s[92:93]
; %bb.6022:                             ;   in Loop: Header=BB4_5351 Depth=2
	v_or_b32_sdwa v19, v17, s51 dst_sel:DWORD dst_unused:UNUSED_PAD src0_sel:BYTE_3 src1_sel:DWORD
; %bb.6023:                             ;   in Loop: Header=BB4_5351 Depth=2
	s_or_b64 exec, exec, s[20:21]
	v_and_b32_e32 v16, 0xff, v25
	v_cmp_ne_u16_e64 s[20:21], 0, v16
	s_and_b64 vcc, exec, s[18:19]
	s_mov_b64 s[92:93], -1
                                        ; implicit-def: $vgpr17
	s_cbranch_vccnz .LBB4_6037
; %bb.6024:                             ;   in Loop: Header=BB4_5351 Depth=2
	v_mov_b32_e32 v18, 0
	v_mov_b32_e32 v0, 0
	s_and_saveexec_b64 s[92:93], s[20:21]
	s_cbranch_execz .LBB4_6030
; %bb.6025:                             ;   in Loop: Header=BB4_5351 Depth=2
	v_cmp_ne_u16_e32 vcc, s49, v16
	v_bfrev_b32_e32 v0, 1
	s_and_saveexec_b64 s[94:95], vcc
	s_cbranch_execz .LBB4_6029
; %bb.6026:                             ;   in Loop: Header=BB4_5351 Depth=2
	v_and_b32_e32 v17, 0x7f, v25
	v_cmp_ne_u32_e32 vcc, s51, v17
	v_mov_b32_e32 v0, 0x7f800001
	s_and_saveexec_b64 s[30:31], vcc
	s_cbranch_execz .LBB4_6028
; %bb.6027:                             ;   in Loop: Header=BB4_5351 Depth=2
	v_and_b32_e32 v0, 7, v16
	v_lshrrev_b32_e32 v23, 3, v17
	v_cmp_gt_u32_e32 vcc, 8, v17
	v_ffbh_u32_e32 v17, v0
	v_min_u32_e32 v17, 32, v17
	v_subrev_u32_e32 v30, 28, v17
	v_lshlrev_b64 v[36:37], v30, v[16:17]
	v_sub_u32_e32 v17, 29, v17
	v_and_b32_e32 v30, 7, v36
	v_cndmask_b32_e32 v17, v23, v17, vcc
	v_cndmask_b32_e32 v0, v0, v30, vcc
	v_lshlrev_b32_e32 v23, 24, v25
	v_lshlrev_b32_e32 v0, 20, v0
	v_and_b32_e32 v23, 0x80000000, v23
	v_lshl_add_u32 v17, v17, 23, v62
	v_or3_b32 v0, v23, v17, v0
.LBB4_6028:                             ;   in Loop: Header=BB4_5351 Depth=2
	s_or_b64 exec, exec, s[30:31]
.LBB4_6029:                             ;   in Loop: Header=BB4_5351 Depth=2
	s_or_b64 exec, exec, s[94:95]
.LBB4_6030:                             ;   in Loop: Header=BB4_5351 Depth=2
	s_or_b64 exec, exec, s[92:93]
	v_and_b32_e32 v17, 0xff, v24
	v_cmp_ne_u16_e32 vcc, 0, v17
	s_and_saveexec_b64 s[92:93], vcc
	s_cbranch_execz .LBB4_6036
; %bb.6031:                             ;   in Loop: Header=BB4_5351 Depth=2
	v_cmp_ne_u16_e32 vcc, s49, v17
	v_bfrev_b32_e32 v18, 1
	s_and_saveexec_b64 s[94:95], vcc
	s_cbranch_execz .LBB4_6035
; %bb.6032:                             ;   in Loop: Header=BB4_5351 Depth=2
	v_and_b32_e32 v23, 0x7f, v24
	v_cmp_ne_u32_e32 vcc, s51, v23
	v_mov_b32_e32 v18, 0x7f800001
	s_and_saveexec_b64 s[30:31], vcc
	s_cbranch_execz .LBB4_6034
; %bb.6033:                             ;   in Loop: Header=BB4_5351 Depth=2
	v_and_b32_e32 v30, 7, v17
	v_ffbh_u32_e32 v18, v30
	v_lshrrev_b32_e32 v34, 3, v23
	v_cmp_gt_u32_e32 vcc, 8, v23
	v_min_u32_e32 v23, 32, v18
	v_subrev_u32_e32 v18, 28, v23
	v_lshlrev_b64 v[17:18], v18, v[17:18]
	v_sub_u32_e32 v18, 29, v23
	v_and_b32_e32 v17, 7, v17
	v_cndmask_b32_e32 v18, v34, v18, vcc
	v_cndmask_b32_e32 v17, v30, v17, vcc
	v_lshlrev_b32_e32 v23, 24, v24
	v_lshlrev_b32_e32 v17, 20, v17
	v_and_b32_e32 v23, 0x80000000, v23
	v_lshl_add_u32 v18, v18, 23, v62
	v_or3_b32 v18, v23, v18, v17
.LBB4_6034:                             ;   in Loop: Header=BB4_5351 Depth=2
	s_or_b64 exec, exec, s[30:31]
.LBB4_6035:                             ;   in Loop: Header=BB4_5351 Depth=2
	s_or_b64 exec, exec, s[94:95]
.LBB4_6036:                             ;   in Loop: Header=BB4_5351 Depth=2
	s_or_b64 exec, exec, s[92:93]
	v_max_f32_e32 v17, v18, v18
	v_max_f32_e32 v0, v0, v0
	;; [unrolled: 1-line block ×3, first 2 shown]
	s_mov_b64 s[92:93], 0
.LBB4_6037:                             ;   in Loop: Header=BB4_5351 Depth=2
	s_and_b64 vcc, exec, s[92:93]
	s_cbranch_vccz .LBB4_6051
; %bb.6038:                             ;   in Loop: Header=BB4_5351 Depth=2
	v_mov_b32_e32 v17, 0
	v_mov_b32_e32 v0, 0
	s_and_saveexec_b64 s[92:93], s[20:21]
	s_cbranch_execz .LBB4_6044
; %bb.6039:                             ;   in Loop: Header=BB4_5351 Depth=2
	v_cmp_ne_u16_e32 vcc, s49, v16
	v_bfrev_b32_e32 v0, 1
	s_and_saveexec_b64 s[20:21], vcc
	s_cbranch_execz .LBB4_6043
; %bb.6040:                             ;   in Loop: Header=BB4_5351 Depth=2
	v_and_b32_e32 v18, 0x7f, v25
	v_cmp_ne_u32_e32 vcc, s51, v18
	v_mov_b32_e32 v0, 0x7f800001
	s_and_saveexec_b64 s[94:95], vcc
	s_cbranch_execz .LBB4_6042
; %bb.6041:                             ;   in Loop: Header=BB4_5351 Depth=2
	v_and_b32_e32 v0, 7, v16
	v_lshrrev_b32_e32 v23, 3, v18
	v_cmp_gt_u32_e32 vcc, 8, v18
	v_ffbh_u32_e32 v18, v0
	v_min_u32_e32 v18, 32, v18
	v_subrev_u32_e32 v30, 28, v18
	v_lshlrev_b64 v[36:37], v30, v[16:17]
	v_sub_u32_e32 v16, 29, v18
	v_and_b32_e32 v18, 7, v36
	v_cndmask_b32_e32 v16, v23, v16, vcc
	v_cndmask_b32_e32 v0, v0, v18, vcc
	v_lshlrev_b32_e32 v18, 24, v25
	v_lshlrev_b32_e32 v0, 20, v0
	v_and_b32_e32 v18, 0x80000000, v18
	v_lshl_add_u32 v16, v16, 23, v62
	v_or3_b32 v0, v18, v16, v0
.LBB4_6042:                             ;   in Loop: Header=BB4_5351 Depth=2
	s_or_b64 exec, exec, s[94:95]
.LBB4_6043:                             ;   in Loop: Header=BB4_5351 Depth=2
	s_or_b64 exec, exec, s[20:21]
.LBB4_6044:                             ;   in Loop: Header=BB4_5351 Depth=2
	s_or_b64 exec, exec, s[92:93]
	v_and_b32_e32 v16, 0xff, v24
	v_cmp_ne_u16_e32 vcc, 0, v16
	s_and_saveexec_b64 s[20:21], vcc
	s_cbranch_execz .LBB4_6050
; %bb.6045:                             ;   in Loop: Header=BB4_5351 Depth=2
	v_cmp_ne_u16_e32 vcc, s49, v16
	v_bfrev_b32_e32 v17, 1
	s_and_saveexec_b64 s[92:93], vcc
	s_cbranch_execz .LBB4_6049
; %bb.6046:                             ;   in Loop: Header=BB4_5351 Depth=2
	v_and_b32_e32 v18, 0x7f, v24
	v_cmp_ne_u32_e32 vcc, s51, v18
	v_mov_b32_e32 v17, 0x7f800001
	s_and_saveexec_b64 s[94:95], vcc
	s_cbranch_execz .LBB4_6048
; %bb.6047:                             ;   in Loop: Header=BB4_5351 Depth=2
	v_and_b32_e32 v23, 7, v16
	v_ffbh_u32_e32 v17, v23
	v_lshrrev_b32_e32 v25, 3, v18
	v_cmp_gt_u32_e32 vcc, 8, v18
	v_min_u32_e32 v18, 32, v17
	v_subrev_u32_e32 v17, 28, v18
	v_lshlrev_b64 v[16:17], v17, v[16:17]
	v_sub_u32_e32 v17, 29, v18
	v_and_b32_e32 v16, 7, v16
	v_cndmask_b32_e32 v17, v25, v17, vcc
	v_cndmask_b32_e32 v16, v23, v16, vcc
	v_lshlrev_b32_e32 v18, 24, v24
	v_lshlrev_b32_e32 v16, 20, v16
	v_and_b32_e32 v18, 0x80000000, v18
	v_lshl_add_u32 v17, v17, 23, v62
	v_or3_b32 v17, v18, v17, v16
.LBB4_6048:                             ;   in Loop: Header=BB4_5351 Depth=2
	s_or_b64 exec, exec, s[94:95]
.LBB4_6049:                             ;   in Loop: Header=BB4_5351 Depth=2
	s_or_b64 exec, exec, s[92:93]
.LBB4_6050:                             ;   in Loop: Header=BB4_5351 Depth=2
	s_or_b64 exec, exec, s[20:21]
	v_max_f32_e32 v16, v17, v17
	v_max_f32_e32 v0, v0, v0
	v_min_f32_e32 v17, v0, v16
.LBB4_6051:                             ;   in Loop: Header=BB4_5351 Depth=2
	v_and_b32_e32 v50, 0x7f800000, v17
	v_cmp_ne_u64_e32 vcc, s[62:63], v[50:51]
                                        ; implicit-def: $vgpr0
	s_and_saveexec_b64 s[20:21], vcc
	s_xor_b64 s[92:93], exec, s[20:21]
	s_cbranch_execz .LBB4_6069
; %bb.6052:                             ;   in Loop: Header=BB4_5351 Depth=2
	v_and_b32_e32 v50, 0x7fffffff, v17
	v_cmp_gt_u64_e32 vcc, s[72:73], v[50:51]
	v_and_b32_sdwa v23, v17, s49 dst_sel:DWORD dst_unused:UNUSED_PAD src0_sel:BYTE_3 src1_sel:DWORD
                                        ; implicit-def: $vgpr0
	s_and_saveexec_b64 s[20:21], vcc
	s_xor_b64 s[94:95], exec, s[20:21]
	s_cbranch_execz .LBB4_6066
; %bb.6053:                             ;   in Loop: Header=BB4_5351 Depth=2
	v_cmp_ne_u32_e32 vcc, 0, v17
	v_mov_b32_e32 v0, 0
	s_and_saveexec_b64 s[30:31], vcc
	s_cbranch_execz .LBB4_6065
; %bb.6054:                             ;   in Loop: Header=BB4_5351 Depth=2
	v_bfe_u32 v0, v17, 23, 8
	v_and_b32_e32 v16, 0x7fffff, v17
	v_cmp_gt_u32_e64 s[20:21], s53, v0
	v_sub_u32_e32 v17, 0x79, v0
	v_cmp_eq_u32_e32 vcc, 0, v0
	v_cndmask_b32_e64 v17, 0, v17, s[20:21]
	v_mov_b32_e32 v24, 0x78
	v_or_b32_e32 v18, 0x800000, v16
	v_cndmask_b32_e32 v24, v17, v24, vcc
	v_cndmask_b32_e32 v50, v18, v16, vcc
	v_add_u32_e32 v16, 20, v24
	v_lshlrev_b64 v[16:17], v16, -1
	v_add_u32_e32 v18, 19, v24
	v_lshlrev_b64 v[36:37], v18, 1
	v_bfi_b32 v17, v17, 0, 0
	v_bfi_b32 v16, v16, 0, v50
	v_cmp_eq_u64_e64 s[20:21], v[16:17], v[36:37]
	v_lshrrev_b64 v[16:17], v24, v[50:51]
	v_mov_b32_e32 v18, v17
	v_mov_b32_e32 v17, v16
	s_and_saveexec_b64 s[34:35], s[20:21]
; %bb.6055:                             ;   in Loop: Header=BB4_5351 Depth=2
	v_bfe_u32 v17, v16, 20, 1
	v_add_co_u32_e64 v17, s[20:21], v16, v17
	v_add_co_u32_e64 v17, s[20:21], -1, v17
; %bb.6056:                             ;   in Loop: Header=BB4_5351 Depth=2
	s_or_b64 exec, exec, s[34:35]
	v_add_u32_e32 v0, 0xffffff81, v0
	v_cndmask_b32_e32 v0, v0, v49, vcc
	v_lshrrev_b32_e32 v18, 23, v16
	v_add3_u32 v24, v24, v0, v18
	v_add_u32_e32 v0, 6, v24
	v_and_b32_e32 v17, 0xfffff, v17
	v_add_u32_e32 v50, v17, v16
	v_cmp_ne_u32_e32 vcc, 0, v0
                                        ; implicit-def: $vgpr16_vgpr17
                                        ; implicit-def: $vgpr18
	s_and_saveexec_b64 s[20:21], vcc
	s_xor_b64 s[20:21], exec, s[20:21]
; %bb.6057:                             ;   in Loop: Header=BB4_5351 Depth=2
	v_cmp_lt_u64_e32 vcc, s[74:75], v[50:51]
	v_add_u32_e32 v16, 7, v24
	v_cndmask_b32_e32 v18, v0, v16, vcc
	v_cndmask_b32_e64 v0, 0, 1, vcc
	v_lshrrev_b64 v[16:17], v0, v[50:51]
; %bb.6058:                             ;   in Loop: Header=BB4_5351 Depth=2
	s_andn2_saveexec_b64 s[20:21], s[20:21]
; %bb.6059:                             ;   in Loop: Header=BB4_5351 Depth=2
	v_mov_b32_e32 v16, v50
	v_bfe_u32 v18, v50, 23, 1
	v_mov_b32_e32 v17, v51
; %bb.6060:                             ;   in Loop: Header=BB4_5351 Depth=2
	s_or_b64 exec, exec, s[20:21]
	v_lshrrev_b64 v[16:17], 20, v[16:17]
	v_cmp_gt_i32_e32 vcc, 16, v18
	v_cndmask_b32_e32 v17, 0, v17, vcc
	v_cndmask_b32_e32 v16, 7, v16, vcc
	v_cmp_ne_u64_e32 vcc, 0, v[16:17]
	v_cmp_ne_u32_e64 s[20:21], 0, v18
	s_or_b64 s[20:21], s[20:21], vcc
                                        ; implicit-def: $vgpr0
	s_and_saveexec_b64 vcc, s[20:21]
	s_xor_b64 s[20:21], exec, vcc
; %bb.6061:                             ;   in Loop: Header=BB4_5351 Depth=2
	v_min_i32_e32 v0, 15, v18
	v_lshl_or_b32 v0, v0, 3, v23
	v_and_or_b32 v0, v16, 7, v0
                                        ; implicit-def: $vgpr23
; %bb.6062:                             ;   in Loop: Header=BB4_5351 Depth=2
	s_andn2_saveexec_b64 s[20:21], s[20:21]
; %bb.6063:                             ;   in Loop: Header=BB4_5351 Depth=2
	v_mov_b32_e32 v0, v23
; %bb.6064:                             ;   in Loop: Header=BB4_5351 Depth=2
	s_or_b64 exec, exec, s[20:21]
.LBB4_6065:                             ;   in Loop: Header=BB4_5351 Depth=2
	s_or_b64 exec, exec, s[30:31]
                                        ; implicit-def: $vgpr23
.LBB4_6066:                             ;   in Loop: Header=BB4_5351 Depth=2
	s_andn2_saveexec_b64 s[20:21], s[94:95]
; %bb.6067:                             ;   in Loop: Header=BB4_5351 Depth=2
	v_or_b32_e32 v0, 0x7e, v23
; %bb.6068:                             ;   in Loop: Header=BB4_5351 Depth=2
	s_or_b64 exec, exec, s[20:21]
                                        ; implicit-def: $vgpr17
.LBB4_6069:                             ;   in Loop: Header=BB4_5351 Depth=2
	s_andn2_saveexec_b64 s[20:21], s[92:93]
; %bb.6070:                             ;   in Loop: Header=BB4_5351 Depth=2
	v_or_b32_sdwa v0, v17, s51 dst_sel:DWORD dst_unused:UNUSED_PAD src0_sel:BYTE_3 src1_sel:DWORD
; %bb.6071:                             ;   in Loop: Header=BB4_5351 Depth=2
	s_or_b64 exec, exec, s[20:21]
	v_and_b32_e32 v16, 0xff, v22
	v_cmp_ne_u16_e64 s[20:21], 0, v16
	s_and_b64 vcc, exec, s[18:19]
	s_mov_b64 s[18:19], -1
                                        ; implicit-def: $vgpr18
	s_cbranch_vccnz .LBB4_6085
; %bb.6072:                             ;   in Loop: Header=BB4_5351 Depth=2
	v_mov_b32_e32 v23, 0
	v_mov_b32_e32 v18, 0
	s_and_saveexec_b64 s[18:19], s[20:21]
	s_cbranch_execz .LBB4_6078
; %bb.6073:                             ;   in Loop: Header=BB4_5351 Depth=2
	v_cmp_ne_u16_e32 vcc, s49, v16
	v_bfrev_b32_e32 v18, 1
	s_and_saveexec_b64 s[92:93], vcc
	s_cbranch_execz .LBB4_6077
; %bb.6074:                             ;   in Loop: Header=BB4_5351 Depth=2
	v_and_b32_e32 v17, 0x7f, v22
	v_cmp_ne_u32_e32 vcc, s51, v17
	v_mov_b32_e32 v18, 0x7f800001
	s_and_saveexec_b64 s[94:95], vcc
	s_cbranch_execz .LBB4_6076
; %bb.6075:                             ;   in Loop: Header=BB4_5351 Depth=2
	v_and_b32_e32 v24, 7, v16
	v_lshrrev_b32_e32 v25, 3, v17
	v_cmp_gt_u32_e32 vcc, 8, v17
	v_ffbh_u32_e32 v17, v24
	v_min_u32_e32 v30, 32, v17
	v_subrev_u32_e32 v17, 28, v30
	v_lshlrev_b64 v[17:18], v17, v[16:17]
	v_sub_u32_e32 v18, 29, v30
	v_and_b32_e32 v17, 7, v17
	v_cndmask_b32_e32 v18, v25, v18, vcc
	v_cndmask_b32_e32 v17, v24, v17, vcc
	v_lshlrev_b32_e32 v24, 24, v22
	v_lshlrev_b32_e32 v17, 20, v17
	v_and_b32_e32 v24, 0x80000000, v24
	v_lshl_add_u32 v18, v18, 23, v62
	v_or3_b32 v18, v24, v18, v17
.LBB4_6076:                             ;   in Loop: Header=BB4_5351 Depth=2
	s_or_b64 exec, exec, s[94:95]
.LBB4_6077:                             ;   in Loop: Header=BB4_5351 Depth=2
	s_or_b64 exec, exec, s[92:93]
.LBB4_6078:                             ;   in Loop: Header=BB4_5351 Depth=2
	s_or_b64 exec, exec, s[18:19]
	v_and_b32_e32 v17, 0xff, v21
	v_cmp_ne_u16_e32 vcc, 0, v17
	s_and_saveexec_b64 s[18:19], vcc
	s_cbranch_execz .LBB4_6084
; %bb.6079:                             ;   in Loop: Header=BB4_5351 Depth=2
	v_cmp_ne_u16_e32 vcc, s49, v17
	v_bfrev_b32_e32 v23, 1
	s_and_saveexec_b64 s[92:93], vcc
	s_cbranch_execz .LBB4_6083
; %bb.6080:                             ;   in Loop: Header=BB4_5351 Depth=2
	v_and_b32_e32 v24, 0x7f, v21
	v_cmp_ne_u32_e32 vcc, s51, v24
	v_mov_b32_e32 v23, 0x7f800001
	s_and_saveexec_b64 s[94:95], vcc
	s_cbranch_execz .LBB4_6082
; %bb.6081:                             ;   in Loop: Header=BB4_5351 Depth=2
	v_and_b32_e32 v25, 7, v17
	v_ffbh_u32_e32 v23, v25
	v_min_u32_e32 v34, 32, v23
	v_subrev_u32_e32 v23, 28, v34
	v_lshrrev_b32_e32 v30, 3, v24
	v_cmp_gt_u32_e32 vcc, 8, v24
	v_lshlrev_b64 v[23:24], v23, v[17:18]
	v_sub_u32_e32 v17, 29, v34
	v_and_b32_e32 v23, 7, v23
	v_cndmask_b32_e32 v17, v30, v17, vcc
	v_cndmask_b32_e32 v23, v25, v23, vcc
	v_lshlrev_b32_e32 v24, 24, v21
	v_lshlrev_b32_e32 v23, 20, v23
	v_and_b32_e32 v24, 0x80000000, v24
	v_lshl_add_u32 v17, v17, 23, v62
	v_or3_b32 v23, v24, v17, v23
.LBB4_6082:                             ;   in Loop: Header=BB4_5351 Depth=2
	s_or_b64 exec, exec, s[94:95]
.LBB4_6083:                             ;   in Loop: Header=BB4_5351 Depth=2
	s_or_b64 exec, exec, s[92:93]
.LBB4_6084:                             ;   in Loop: Header=BB4_5351 Depth=2
	s_or_b64 exec, exec, s[18:19]
	v_max_f32_e32 v17, v23, v23
	v_max_f32_e32 v18, v18, v18
	;; [unrolled: 1-line block ×3, first 2 shown]
	s_mov_b64 s[18:19], 0
.LBB4_6085:                             ;   in Loop: Header=BB4_5351 Depth=2
	s_and_b64 vcc, exec, s[18:19]
	s_cbranch_vccz .LBB4_6099
; %bb.6086:                             ;   in Loop: Header=BB4_5351 Depth=2
	v_mov_b32_e32 v18, 0
	v_mov_b32_e32 v17, 0
	s_and_saveexec_b64 s[18:19], s[20:21]
	s_cbranch_execz .LBB4_6092
; %bb.6087:                             ;   in Loop: Header=BB4_5351 Depth=2
	v_cmp_ne_u16_e32 vcc, s49, v16
	v_bfrev_b32_e32 v17, 1
	s_and_saveexec_b64 s[20:21], vcc
	s_cbranch_execz .LBB4_6091
; %bb.6088:                             ;   in Loop: Header=BB4_5351 Depth=2
	v_and_b32_e32 v23, 0x7f, v22
	v_cmp_ne_u32_e32 vcc, s51, v23
	v_mov_b32_e32 v17, 0x7f800001
	s_and_saveexec_b64 s[92:93], vcc
	s_cbranch_execz .LBB4_6090
; %bb.6089:                             ;   in Loop: Header=BB4_5351 Depth=2
	v_and_b32_e32 v24, 7, v16
	v_ffbh_u32_e32 v17, v24
	v_lshrrev_b32_e32 v25, 3, v23
	v_cmp_gt_u32_e32 vcc, 8, v23
	v_min_u32_e32 v23, 32, v17
	v_subrev_u32_e32 v17, 28, v23
	v_lshlrev_b64 v[16:17], v17, v[16:17]
	v_sub_u32_e32 v17, 29, v23
	v_and_b32_e32 v16, 7, v16
	v_cndmask_b32_e32 v17, v25, v17, vcc
	v_cndmask_b32_e32 v16, v24, v16, vcc
	v_lshlrev_b32_e32 v22, 24, v22
	v_lshlrev_b32_e32 v16, 20, v16
	v_and_b32_e32 v22, 0x80000000, v22
	v_lshl_add_u32 v17, v17, 23, v62
	v_or3_b32 v17, v22, v17, v16
.LBB4_6090:                             ;   in Loop: Header=BB4_5351 Depth=2
	s_or_b64 exec, exec, s[92:93]
.LBB4_6091:                             ;   in Loop: Header=BB4_5351 Depth=2
	s_or_b64 exec, exec, s[20:21]
.LBB4_6092:                             ;   in Loop: Header=BB4_5351 Depth=2
	s_or_b64 exec, exec, s[18:19]
	v_and_b32_e32 v16, 0xff, v21
	v_cmp_ne_u16_e32 vcc, 0, v16
	s_and_saveexec_b64 s[18:19], vcc
	s_cbranch_execz .LBB4_6098
; %bb.6093:                             ;   in Loop: Header=BB4_5351 Depth=2
	v_cmp_ne_u16_e32 vcc, s49, v16
	v_bfrev_b32_e32 v18, 1
	s_and_saveexec_b64 s[20:21], vcc
	s_cbranch_execz .LBB4_6097
; %bb.6094:                             ;   in Loop: Header=BB4_5351 Depth=2
	v_and_b32_e32 v22, 0x7f, v21
	v_cmp_ne_u32_e32 vcc, s51, v22
	v_mov_b32_e32 v18, 0x7f800001
	s_and_saveexec_b64 s[92:93], vcc
	s_cbranch_execz .LBB4_6096
; %bb.6095:                             ;   in Loop: Header=BB4_5351 Depth=2
	v_and_b32_e32 v18, 7, v16
	v_lshrrev_b32_e32 v24, 3, v22
	v_cmp_gt_u32_e32 vcc, 8, v22
	v_ffbh_u32_e32 v22, v18
	v_min_u32_e32 v25, 32, v22
	v_subrev_u32_e32 v22, 28, v25
	v_lshlrev_b64 v[22:23], v22, v[16:17]
	v_sub_u32_e32 v16, 29, v25
	v_and_b32_e32 v22, 7, v22
	v_cndmask_b32_e32 v16, v24, v16, vcc
	v_cndmask_b32_e32 v18, v18, v22, vcc
	v_lshlrev_b32_e32 v21, 24, v21
	v_lshlrev_b32_e32 v18, 20, v18
	v_and_b32_e32 v21, 0x80000000, v21
	v_lshl_add_u32 v16, v16, 23, v62
	v_or3_b32 v18, v21, v16, v18
.LBB4_6096:                             ;   in Loop: Header=BB4_5351 Depth=2
	s_or_b64 exec, exec, s[92:93]
.LBB4_6097:                             ;   in Loop: Header=BB4_5351 Depth=2
	s_or_b64 exec, exec, s[20:21]
.LBB4_6098:                             ;   in Loop: Header=BB4_5351 Depth=2
	s_or_b64 exec, exec, s[18:19]
	v_max_f32_e32 v16, v18, v18
	v_max_f32_e32 v17, v17, v17
	v_min_f32_e32 v18, v17, v16
.LBB4_6099:                             ;   in Loop: Header=BB4_5351 Depth=2
	v_and_b32_e32 v50, 0x7f800000, v18
	v_cmp_ne_u64_e32 vcc, s[62:63], v[50:51]
                                        ; implicit-def: $vgpr17
	s_and_saveexec_b64 s[18:19], vcc
	s_xor_b64 s[20:21], exec, s[18:19]
	s_cbranch_execz .LBB4_6117
; %bb.6100:                             ;   in Loop: Header=BB4_5351 Depth=2
	v_and_b32_e32 v50, 0x7fffffff, v18
	v_cmp_gt_u64_e32 vcc, s[72:73], v[50:51]
	v_and_b32_sdwa v21, v18, s49 dst_sel:DWORD dst_unused:UNUSED_PAD src0_sel:BYTE_3 src1_sel:DWORD
                                        ; implicit-def: $vgpr17
	s_and_saveexec_b64 s[18:19], vcc
	s_xor_b64 s[92:93], exec, s[18:19]
	s_cbranch_execz .LBB4_6114
; %bb.6101:                             ;   in Loop: Header=BB4_5351 Depth=2
	v_cmp_ne_u32_e32 vcc, 0, v18
	v_mov_b32_e32 v17, 0
	s_and_saveexec_b64 s[94:95], vcc
	s_cbranch_execz .LBB4_6113
; %bb.6102:                             ;   in Loop: Header=BB4_5351 Depth=2
	v_bfe_u32 v22, v18, 23, 8
	v_cmp_gt_u32_e64 s[18:19], s53, v22
	v_sub_u32_e32 v17, 0x79, v22
	v_and_b32_e32 v16, 0x7fffff, v18
	v_cmp_eq_u32_e32 vcc, 0, v22
	v_cndmask_b32_e64 v17, 0, v17, s[18:19]
	v_mov_b32_e32 v23, 0x78
	v_or_b32_e32 v18, 0x800000, v16
	v_cndmask_b32_e32 v23, v17, v23, vcc
	v_cndmask_b32_e32 v50, v18, v16, vcc
	v_add_u32_e32 v16, 20, v23
	v_lshlrev_b64 v[16:17], v16, -1
	v_add_u32_e32 v18, 19, v23
	v_lshlrev_b64 v[24:25], v18, 1
	v_bfi_b32 v17, v17, 0, 0
	v_bfi_b32 v16, v16, 0, v50
	v_cmp_eq_u64_e64 s[18:19], v[16:17], v[24:25]
	v_lshrrev_b64 v[16:17], v23, v[50:51]
	v_mov_b32_e32 v18, v17
	v_mov_b32_e32 v17, v16
	s_and_saveexec_b64 s[30:31], s[18:19]
; %bb.6103:                             ;   in Loop: Header=BB4_5351 Depth=2
	v_bfe_u32 v17, v16, 20, 1
	v_add_co_u32_e64 v17, s[18:19], v16, v17
	v_add_co_u32_e64 v17, s[18:19], -1, v17
; %bb.6104:                             ;   in Loop: Header=BB4_5351 Depth=2
	s_or_b64 exec, exec, s[30:31]
	v_add_u32_e32 v18, 0xffffff81, v22
	v_cndmask_b32_e32 v18, v18, v49, vcc
	v_lshrrev_b32_e32 v22, 23, v16
	v_add3_u32 v23, v23, v18, v22
	v_add_u32_e32 v22, 6, v23
	v_and_b32_e32 v17, 0xfffff, v17
	v_add_u32_e32 v50, v17, v16
	v_cmp_ne_u32_e32 vcc, 0, v22
                                        ; implicit-def: $vgpr16_vgpr17
                                        ; implicit-def: $vgpr18
	s_and_saveexec_b64 s[18:19], vcc
	s_xor_b64 s[18:19], exec, s[18:19]
; %bb.6105:                             ;   in Loop: Header=BB4_5351 Depth=2
	v_cmp_lt_u64_e32 vcc, s[74:75], v[50:51]
	v_add_u32_e32 v16, 7, v23
	v_cndmask_b32_e32 v18, v22, v16, vcc
	v_cndmask_b32_e64 v16, 0, 1, vcc
	v_lshrrev_b64 v[16:17], v16, v[50:51]
; %bb.6106:                             ;   in Loop: Header=BB4_5351 Depth=2
	s_andn2_saveexec_b64 s[18:19], s[18:19]
; %bb.6107:                             ;   in Loop: Header=BB4_5351 Depth=2
	v_mov_b32_e32 v16, v50
	v_bfe_u32 v18, v50, 23, 1
	v_mov_b32_e32 v17, v51
; %bb.6108:                             ;   in Loop: Header=BB4_5351 Depth=2
	s_or_b64 exec, exec, s[18:19]
	v_lshrrev_b64 v[16:17], 20, v[16:17]
	v_cmp_gt_i32_e32 vcc, 16, v18
	v_cndmask_b32_e32 v17, 0, v17, vcc
	v_cndmask_b32_e32 v16, 7, v16, vcc
	v_cmp_ne_u64_e32 vcc, 0, v[16:17]
	v_cmp_ne_u32_e64 s[18:19], 0, v18
	s_or_b64 s[18:19], s[18:19], vcc
                                        ; implicit-def: $vgpr17
	s_and_saveexec_b64 vcc, s[18:19]
	s_xor_b64 s[18:19], exec, vcc
; %bb.6109:                             ;   in Loop: Header=BB4_5351 Depth=2
	v_min_i32_e32 v17, 15, v18
	v_lshl_or_b32 v17, v17, 3, v21
	v_and_or_b32 v17, v16, 7, v17
                                        ; implicit-def: $vgpr21
; %bb.6110:                             ;   in Loop: Header=BB4_5351 Depth=2
	s_andn2_saveexec_b64 s[18:19], s[18:19]
; %bb.6111:                             ;   in Loop: Header=BB4_5351 Depth=2
	v_mov_b32_e32 v17, v21
; %bb.6112:                             ;   in Loop: Header=BB4_5351 Depth=2
	s_or_b64 exec, exec, s[18:19]
.LBB4_6113:                             ;   in Loop: Header=BB4_5351 Depth=2
	s_or_b64 exec, exec, s[94:95]
                                        ; implicit-def: $vgpr21
.LBB4_6114:                             ;   in Loop: Header=BB4_5351 Depth=2
	s_andn2_saveexec_b64 s[18:19], s[92:93]
; %bb.6115:                             ;   in Loop: Header=BB4_5351 Depth=2
	v_or_b32_e32 v17, 0x7e, v21
; %bb.6116:                             ;   in Loop: Header=BB4_5351 Depth=2
	s_or_b64 exec, exec, s[18:19]
                                        ; implicit-def: $vgpr18
.LBB4_6117:                             ;   in Loop: Header=BB4_5351 Depth=2
	s_andn2_saveexec_b64 s[18:19], s[20:21]
	s_cbranch_execz .LBB4_5350
; %bb.6118:                             ;   in Loop: Header=BB4_5351 Depth=2
	v_or_b32_sdwa v17, v18, s51 dst_sel:DWORD dst_unused:UNUSED_PAD src0_sel:BYTE_3 src1_sel:DWORD
	s_branch .LBB4_5350
.LBB4_6119:                             ;   in Loop: Header=BB4_3153 Depth=1
	s_or_b64 exec, exec, s[90:91]
	buffer_load_dword v47, off, s[0:3], s33 offset:172 ; 4-byte Folded Reload
	buffer_load_dword v3, off, s[0:3], s33 offset:88 ; 4-byte Folded Reload
.LBB4_6120:                             ;   in Loop: Header=BB4_3153 Depth=1
	s_or_b64 exec, exec, s[22:23]
	v_and_b32_e32 v1, 0xfffffc00, v2
	v_cmp_ne_u32_e32 vcc, v2, v1
	s_and_b64 exec, exec, vcc
	s_cbranch_execz .LBB4_6172
; %bb.6121:                             ;   in Loop: Header=BB4_3153 Depth=1
	s_waitcnt vmcnt(0)
	v_lshlrev_b32_e32 v0, 6, v3
	v_sub_u32_e32 v0, v5, v0
	v_lshlrev_b32_e32 v3, 6, v20
	v_sub_u32_e32 v3, v0, v3
	v_and_b32_e32 v0, 0x3ff, v2
	v_sub_u32_e32 v0, v0, v3
	v_cmp_lt_i32_e32 vcc, 0, v0
	s_and_b64 exec, exec, vcc
	s_cbranch_execz .LBB4_6172
; %bb.6122:                             ;   in Loop: Header=BB4_3153 Depth=1
	s_trap 2
	ds_read_b128 v[10:13], v0
	v_add3_u32 v3, v1, v4, v3
	ds_read_b64 v[1:2], v0
	v_ashrrev_i32_e32 v15, 31, v3
	s_bitcmp1_b32 s64, 0
	s_waitcnt lgkmcnt(0)
	v_add_co_u32_e32 v10, vcc, v10, v3
	v_addc_co_u32_e32 v11, vcc, v11, v15, vcc
	v_add_co_u32_e32 v12, vcc, v12, v3
	v_addc_co_u32_e32 v13, vcc, v13, v15, vcc
	;; [unrolled: 2-line block ×3, first 2 shown]
	s_mov_b64 s[26:27], 0
	s_cselect_b64 s[90:91], -1, 0
	s_branch .LBB4_6124
.LBB4_6123:                             ;   in Loop: Header=BB4_6124 Depth=2
	s_or_b64 exec, exec, s[18:19]
	v_add_co_u32_e32 v10, vcc, v10, v47
	v_addc_co_u32_e32 v11, vcc, 0, v11, vcc
	v_add_co_u32_e32 v12, vcc, v12, v47
	v_addc_co_u32_e32 v13, vcc, 0, v13, vcc
	v_sub_u32_e32 v0, v0, v47
	v_cmp_gt_i32_e32 vcc, 1, v0
	flat_store_byte v[14:15], v2 glc slc
	s_or_b64 s[26:27], vcc, s[26:27]
	v_add_co_u32_e32 v14, vcc, v14, v47
	v_addc_co_u32_e32 v15, vcc, 0, v15, vcc
	s_andn2_b64 exec, exec, s[26:27]
	s_cbranch_execz .LBB4_6172
.LBB4_6124:                             ;   Parent Loop BB4_3153 Depth=1
                                        ; =>  This Inner Loop Header: Depth=2
	flat_load_ubyte v2, v[12:13] glc slc
	flat_load_ubyte v3, v[10:11] glc slc
	s_mov_b64 s[92:93], -1
	s_and_b64 vcc, exec, s[90:91]
                                        ; implicit-def: $vgpr16
	s_waitcnt vmcnt(0) lgkmcnt(0)
	v_cmp_ne_u16_e64 s[20:21], 0, v2
	v_cmp_ne_u16_e64 s[18:19], s49, v2
	v_and_b32_sdwa v1, sext(v2), s52 dst_sel:DWORD dst_unused:UNUSED_PAD src0_sel:BYTE_0 src1_sel:DWORD
	v_cmp_ne_u16_e64 s[22:23], 0, v3
	s_cbranch_vccz .LBB4_6138
; %bb.6125:                             ;   in Loop: Header=BB4_6124 Depth=2
	v_mov_b32_e32 v17, 0
	v_mov_b32_e32 v18, 0
	s_and_saveexec_b64 s[92:93], s[22:23]
	s_cbranch_execz .LBB4_6131
; %bb.6126:                             ;   in Loop: Header=BB4_6124 Depth=2
	v_cmp_ne_u16_e32 vcc, s49, v3
	v_bfrev_b32_e32 v18, 1
	s_and_saveexec_b64 s[94:95], vcc
	s_cbranch_execz .LBB4_6130
; %bb.6127:                             ;   in Loop: Header=BB4_6124 Depth=2
	v_and_b32_e32 v16, 0xffff, v3
	v_and_b32_e32 v19, 0x7f, v16
	v_cmp_ne_u32_e32 vcc, s51, v19
	v_mov_b32_e32 v18, 0x7f800001
	s_and_saveexec_b64 s[30:31], vcc
	s_cbranch_execz .LBB4_6129
; %bb.6128:                             ;   in Loop: Header=BB4_6124 Depth=2
	v_and_b32_e32 v20, 7, v16
	v_ffbh_u32_e32 v18, v20
	v_min_u32_e32 v22, 32, v18
	v_subrev_u32_e32 v18, 28, v22
	v_lshrrev_b32_e32 v21, 3, v19
	v_cmp_gt_u32_e32 vcc, 8, v19
	v_lshlrev_b64 v[18:19], v18, v[16:17]
	v_sub_u32_e32 v16, 29, v22
	v_and_b32_e32 v18, 7, v18
	v_cndmask_b32_e32 v16, v21, v16, vcc
	v_cndmask_b32_e32 v18, v20, v18, vcc
	v_lshlrev_b32_e32 v19, 24, v3
	v_lshlrev_b32_e32 v18, 20, v18
	v_and_b32_e32 v19, 0x80000000, v19
	v_lshl_add_u32 v16, v16, 23, v62
	v_or3_b32 v18, v19, v16, v18
.LBB4_6129:                             ;   in Loop: Header=BB4_6124 Depth=2
	s_or_b64 exec, exec, s[30:31]
.LBB4_6130:                             ;   in Loop: Header=BB4_6124 Depth=2
	s_or_b64 exec, exec, s[94:95]
.LBB4_6131:                             ;   in Loop: Header=BB4_6124 Depth=2
	s_or_b64 exec, exec, s[92:93]
	s_and_saveexec_b64 s[92:93], s[20:21]
	s_cbranch_execz .LBB4_6137
; %bb.6132:                             ;   in Loop: Header=BB4_6124 Depth=2
	v_bfrev_b32_e32 v17, 1
	s_and_saveexec_b64 s[94:95], s[18:19]
	s_cbranch_execz .LBB4_6136
; %bb.6133:                             ;   in Loop: Header=BB4_6124 Depth=2
	v_and_b32_e32 v16, 0xffff, v2
	v_and_b32_e32 v19, 0x7f, v16
	v_cmp_ne_u32_e32 vcc, s51, v19
	v_mov_b32_e32 v17, 0x7f800001
	s_and_saveexec_b64 s[30:31], vcc
	s_cbranch_execz .LBB4_6135
; %bb.6134:                             ;   in Loop: Header=BB4_6124 Depth=2
	v_and_b32_e32 v20, 7, v16
	v_ffbh_u32_e32 v17, v20
	v_lshrrev_b32_e32 v21, 3, v19
	v_cmp_gt_u32_e32 vcc, 8, v19
	v_min_u32_e32 v19, 32, v17
	v_subrev_u32_e32 v17, 28, v19
	v_lshlrev_b64 v[16:17], v17, v[16:17]
	v_sub_u32_e32 v17, 29, v19
	v_and_b32_e32 v16, 7, v16
	v_cndmask_b32_e32 v16, v20, v16, vcc
	v_cndmask_b32_e32 v17, v21, v17, vcc
	v_lshlrev_b32_e32 v16, 20, v16
	v_lshl_or_b32 v16, v17, 23, v16
	v_add_u32_e32 v16, 0x3c000000, v16
	v_or_b32_e32 v17, v16, v1
.LBB4_6135:                             ;   in Loop: Header=BB4_6124 Depth=2
	s_or_b64 exec, exec, s[30:31]
.LBB4_6136:                             ;   in Loop: Header=BB4_6124 Depth=2
	s_or_b64 exec, exec, s[94:95]
.LBB4_6137:                             ;   in Loop: Header=BB4_6124 Depth=2
	s_or_b64 exec, exec, s[92:93]
	v_max_f32_e32 v16, v17, v17
	v_max_f32_e32 v17, v18, v18
	;; [unrolled: 1-line block ×3, first 2 shown]
	s_mov_b64 s[92:93], 0
.LBB4_6138:                             ;   in Loop: Header=BB4_6124 Depth=2
	s_and_b64 vcc, exec, s[92:93]
	s_cbranch_vccz .LBB4_6152
; %bb.6139:                             ;   in Loop: Header=BB4_6124 Depth=2
	v_mov_b32_e32 v17, 0
	v_mov_b32_e32 v18, 0
	s_and_saveexec_b64 s[92:93], s[22:23]
	s_cbranch_execz .LBB4_6145
; %bb.6140:                             ;   in Loop: Header=BB4_6124 Depth=2
	v_cmp_ne_u16_e32 vcc, s49, v3
	v_bfrev_b32_e32 v18, 1
	s_and_saveexec_b64 s[22:23], vcc
	s_cbranch_execz .LBB4_6144
; %bb.6141:                             ;   in Loop: Header=BB4_6124 Depth=2
	v_and_b32_e32 v16, 0xffff, v3
	v_and_b32_e32 v19, 0x7f, v16
	v_cmp_ne_u32_e32 vcc, s51, v19
	v_mov_b32_e32 v18, 0x7f800001
	s_and_saveexec_b64 s[94:95], vcc
	s_cbranch_execz .LBB4_6143
; %bb.6142:                             ;   in Loop: Header=BB4_6124 Depth=2
	v_and_b32_e32 v20, 7, v16
	v_ffbh_u32_e32 v18, v20
	v_min_u32_e32 v22, 32, v18
	v_subrev_u32_e32 v18, 28, v22
	v_lshrrev_b32_e32 v21, 3, v19
	v_cmp_gt_u32_e32 vcc, 8, v19
	v_lshlrev_b64 v[18:19], v18, v[16:17]
	v_sub_u32_e32 v16, 29, v22
	v_and_b32_e32 v18, 7, v18
	v_cndmask_b32_e32 v16, v21, v16, vcc
	v_cndmask_b32_e32 v18, v20, v18, vcc
	v_lshlrev_b32_e32 v3, 24, v3
	v_lshlrev_b32_e32 v18, 20, v18
	v_and_b32_e32 v3, 0x80000000, v3
	v_lshl_add_u32 v16, v16, 23, v62
	v_or3_b32 v18, v3, v16, v18
.LBB4_6143:                             ;   in Loop: Header=BB4_6124 Depth=2
	s_or_b64 exec, exec, s[94:95]
.LBB4_6144:                             ;   in Loop: Header=BB4_6124 Depth=2
	s_or_b64 exec, exec, s[22:23]
.LBB4_6145:                             ;   in Loop: Header=BB4_6124 Depth=2
	s_or_b64 exec, exec, s[92:93]
	s_and_saveexec_b64 s[22:23], s[20:21]
	s_cbranch_execz .LBB4_6151
; %bb.6146:                             ;   in Loop: Header=BB4_6124 Depth=2
	v_bfrev_b32_e32 v17, 1
	s_and_saveexec_b64 s[20:21], s[18:19]
	s_cbranch_execz .LBB4_6150
; %bb.6147:                             ;   in Loop: Header=BB4_6124 Depth=2
	v_and_b32_e32 v16, 0xffff, v2
	v_and_b32_e32 v2, 0x7f, v16
	v_cmp_ne_u32_e32 vcc, s51, v2
	v_mov_b32_e32 v17, 0x7f800001
	s_and_saveexec_b64 s[18:19], vcc
	s_cbranch_execz .LBB4_6149
; %bb.6148:                             ;   in Loop: Header=BB4_6124 Depth=2
	v_and_b32_e32 v3, 7, v16
	v_ffbh_u32_e32 v17, v3
	v_min_u32_e32 v20, 32, v17
	v_subrev_u32_e32 v17, 28, v20
	v_lshlrev_b64 v[16:17], v17, v[16:17]
	v_cmp_gt_u32_e32 vcc, 8, v2
	v_and_b32_e32 v16, 7, v16
	v_lshrrev_b32_e32 v19, 3, v2
	v_sub_u32_e32 v17, 29, v20
	v_cndmask_b32_e32 v3, v3, v16, vcc
	v_cndmask_b32_e32 v2, v19, v17, vcc
	v_lshlrev_b32_e32 v3, 20, v3
	v_lshl_or_b32 v2, v2, 23, v3
	v_add_u32_e32 v2, 0x3c000000, v2
	v_or_b32_e32 v17, v2, v1
.LBB4_6149:                             ;   in Loop: Header=BB4_6124 Depth=2
	s_or_b64 exec, exec, s[18:19]
.LBB4_6150:                             ;   in Loop: Header=BB4_6124 Depth=2
	s_or_b64 exec, exec, s[20:21]
.LBB4_6151:                             ;   in Loop: Header=BB4_6124 Depth=2
	s_or_b64 exec, exec, s[22:23]
	v_max_f32_e32 v1, v17, v17
	v_max_f32_e32 v2, v18, v18
	v_min_f32_e32 v16, v2, v1
.LBB4_6152:                             ;   in Loop: Header=BB4_6124 Depth=2
	v_and_b32_e32 v50, 0x7f800000, v16
	v_cmp_ne_u64_e32 vcc, s[62:63], v[50:51]
                                        ; implicit-def: $vgpr2
	s_and_saveexec_b64 s[18:19], vcc
	s_xor_b64 s[20:21], exec, s[18:19]
	s_cbranch_execz .LBB4_6170
; %bb.6153:                             ;   in Loop: Header=BB4_6124 Depth=2
	v_and_b32_e32 v50, 0x7fffffff, v16
	v_cmp_gt_u64_e32 vcc, s[72:73], v[50:51]
	v_and_b32_sdwa v1, v16, s49 dst_sel:DWORD dst_unused:UNUSED_PAD src0_sel:BYTE_3 src1_sel:DWORD
                                        ; implicit-def: $vgpr2
	s_and_saveexec_b64 s[18:19], vcc
	s_xor_b64 s[22:23], exec, s[18:19]
	s_cbranch_execz .LBB4_6167
; %bb.6154:                             ;   in Loop: Header=BB4_6124 Depth=2
	v_cmp_ne_u32_e32 vcc, 0, v16
	v_mov_b32_e32 v2, 0
	s_and_saveexec_b64 s[92:93], vcc
	s_cbranch_execz .LBB4_6166
; %bb.6155:                             ;   in Loop: Header=BB4_6124 Depth=2
	v_bfe_u32 v2, v16, 23, 8
	v_sub_u32_e32 v3, 0x79, v2
	v_cmp_gt_u32_e32 vcc, s53, v2
	v_and_b32_e32 v18, 0x7fffff, v16
	v_cndmask_b32_e32 v3, 0, v3, vcc
	v_cmp_eq_u32_e32 vcc, 0, v2
	v_mov_b32_e32 v16, 0x78
	v_cndmask_b32_e32 v3, v3, v16, vcc
	v_add_u32_e32 v16, 20, v3
	v_or_b32_e32 v19, 0x800000, v18
	v_lshlrev_b64 v[16:17], v16, -1
	v_cndmask_b32_e32 v50, v19, v18, vcc
	v_bfi_b32 v18, v16, 0, v50
	v_add_u32_e32 v16, 19, v3
	v_bfi_b32 v19, v17, 0, 0
	v_lshlrev_b64 v[20:21], v16, 1
	v_lshrrev_b64 v[16:17], v3, v[50:51]
	v_cmp_eq_u64_e64 s[18:19], v[18:19], v[20:21]
	v_mov_b32_e32 v18, v17
	v_mov_b32_e32 v17, v16
	s_and_saveexec_b64 s[94:95], s[18:19]
; %bb.6156:                             ;   in Loop: Header=BB4_6124 Depth=2
	v_bfe_u32 v17, v16, 20, 1
	v_add_co_u32_e64 v17, s[18:19], v16, v17
	v_add_co_u32_e64 v17, s[18:19], -1, v17
; %bb.6157:                             ;   in Loop: Header=BB4_6124 Depth=2
	s_or_b64 exec, exec, s[94:95]
	v_add_u32_e32 v2, 0xffffff81, v2
	v_cndmask_b32_e32 v2, v2, v49, vcc
	v_lshrrev_b32_e32 v18, 23, v16
	v_add3_u32 v18, v3, v2, v18
	v_add_u32_e32 v2, 6, v18
	v_and_b32_e32 v3, 0xfffff, v17
	v_add_u32_e32 v50, v3, v16
	v_cmp_ne_u32_e32 vcc, 0, v2
                                        ; implicit-def: $vgpr16_vgpr17
                                        ; implicit-def: $vgpr3
	s_and_saveexec_b64 s[18:19], vcc
	s_xor_b64 s[18:19], exec, s[18:19]
; %bb.6158:                             ;   in Loop: Header=BB4_6124 Depth=2
	v_cmp_lt_u64_e32 vcc, s[74:75], v[50:51]
	v_add_u32_e32 v3, 7, v18
	v_cndmask_b32_e32 v3, v2, v3, vcc
	v_cndmask_b32_e64 v2, 0, 1, vcc
	v_lshrrev_b64 v[16:17], v2, v[50:51]
; %bb.6159:                             ;   in Loop: Header=BB4_6124 Depth=2
	s_andn2_saveexec_b64 s[18:19], s[18:19]
; %bb.6160:                             ;   in Loop: Header=BB4_6124 Depth=2
	v_mov_b32_e32 v16, v50
	v_bfe_u32 v3, v50, 23, 1
	v_mov_b32_e32 v17, v51
; %bb.6161:                             ;   in Loop: Header=BB4_6124 Depth=2
	s_or_b64 exec, exec, s[18:19]
	v_lshrrev_b64 v[16:17], 20, v[16:17]
	v_cmp_gt_i32_e32 vcc, 16, v3
	v_cndmask_b32_e32 v17, 0, v17, vcc
	v_cndmask_b32_e32 v16, 7, v16, vcc
	v_cmp_ne_u64_e32 vcc, 0, v[16:17]
	v_cmp_ne_u32_e64 s[18:19], 0, v3
	s_or_b64 s[18:19], s[18:19], vcc
                                        ; implicit-def: $vgpr2
	s_and_saveexec_b64 s[94:95], s[18:19]
	s_xor_b64 s[18:19], exec, s[94:95]
; %bb.6162:                             ;   in Loop: Header=BB4_6124 Depth=2
	v_min_i32_e32 v2, 15, v3
	v_lshl_or_b32 v1, v2, 3, v1
	v_and_or_b32 v2, v16, 7, v1
                                        ; implicit-def: $vgpr1
; %bb.6163:                             ;   in Loop: Header=BB4_6124 Depth=2
	s_andn2_saveexec_b64 s[18:19], s[18:19]
; %bb.6164:                             ;   in Loop: Header=BB4_6124 Depth=2
	v_mov_b32_e32 v2, v1
; %bb.6165:                             ;   in Loop: Header=BB4_6124 Depth=2
	s_or_b64 exec, exec, s[18:19]
.LBB4_6166:                             ;   in Loop: Header=BB4_6124 Depth=2
	s_or_b64 exec, exec, s[92:93]
                                        ; implicit-def: $vgpr1
.LBB4_6167:                             ;   in Loop: Header=BB4_6124 Depth=2
	s_andn2_saveexec_b64 s[18:19], s[22:23]
; %bb.6168:                             ;   in Loop: Header=BB4_6124 Depth=2
	v_or_b32_e32 v2, 0x7e, v1
; %bb.6169:                             ;   in Loop: Header=BB4_6124 Depth=2
	s_or_b64 exec, exec, s[18:19]
                                        ; implicit-def: $vgpr16
.LBB4_6170:                             ;   in Loop: Header=BB4_6124 Depth=2
	s_andn2_saveexec_b64 s[18:19], s[20:21]
	s_cbranch_execz .LBB4_6123
; %bb.6171:                             ;   in Loop: Header=BB4_6124 Depth=2
	v_or_b32_sdwa v2, v16, s51 dst_sel:DWORD dst_unused:UNUSED_PAD src0_sel:BYTE_3 src1_sel:DWORD
	s_branch .LBB4_6123
.LBB4_6172:                             ;   in Loop: Header=BB4_3153 Depth=1
	s_or_b64 exec, exec, s[24:25]
	buffer_load_dword v0, off, s[0:3], s33 offset:144 ; 4-byte Folded Reload
	s_waitcnt vmcnt(0)
	v_cmp_ne_u32_e64 s[18:19], 0, v0
	s_and_saveexec_b64 s[20:21], s[10:11]
	s_cbranch_execz .LBB4_6191
.LBB4_6173:                             ;   in Loop: Header=BB4_3153 Depth=1
	s_and_saveexec_b64 s[22:23], s[46:47]
	s_xor_b64 s[22:23], exec, s[22:23]
	s_cbranch_execz .LBB4_6188
; %bb.6174:                             ;   in Loop: Header=BB4_3153 Depth=1
	s_and_saveexec_b64 s[24:25], s[12:13]
	s_cbranch_execz .LBB4_6187
; %bb.6175:                             ;   in Loop: Header=BB4_3153 Depth=1
	s_mov_b64 s[90:91], exec
	v_mbcnt_lo_u32_b32 v0, s90, 0
	v_mbcnt_hi_u32_b32 v0, s91, v0
	v_cmp_eq_u32_e32 vcc, 0, v0
	s_waitcnt vmcnt(0) lgkmcnt(0)
	buffer_wbinvl1_vol
	s_and_saveexec_b64 s[26:27], vcc
	s_cbranch_execz .LBB4_6177
; %bb.6176:                             ;   in Loop: Header=BB4_3153 Depth=1
	s_bcnt1_i32_b64 s90, s[90:91]
	v_mov_b32_e32 v50, s90
	ds_add_u64 v0, v[50:51]
	s_trap 2
.LBB4_6177:                             ;   in Loop: Header=BB4_3153 Depth=1
	s_or_b64 exec, exec, s[26:27]
	s_trap 2
	ds_read_b64 v[0:1], v0
	s_waitcnt lgkmcnt(0)
	buffer_load_dword v2, off, s[0:3], s33 offset:60 ; 4-byte Folded Reload
	buffer_load_dword v3, off, s[0:3], s33 offset:64 ; 4-byte Folded Reload
	;; [unrolled: 1-line block ×3, first 2 shown]
	s_waitcnt vmcnt(0)
	v_add_co_u32_e32 v2, vcc, v2, v10
	v_addc_co_u32_e32 v3, vcc, 0, v3, vcc
	buffer_store_dword v2, off, s[0:3], s33 offset:60 ; 4-byte Folded Spill
	s_nop 0
	buffer_store_dword v3, off, s[0:3], s33 offset:64 ; 4-byte Folded Spill
	v_cmp_lt_u64_e32 vcc, v[0:1], v[2:3]
	s_and_saveexec_b64 s[26:27], vcc
	s_cbranch_execz .LBB4_6186
; %bb.6178:                             ;   in Loop: Header=BB4_3153 Depth=1
	s_mov_b32 s36, 0
	s_mov_b64 s[90:91], 0
                                        ; implicit-def: $sgpr92_sgpr93
                                        ; implicit-def: $sgpr94_sgpr95
	s_branch .LBB4_6180
.LBB4_6179:                             ;   in Loop: Header=BB4_6180 Depth=2
	s_or_b64 exec, exec, s[34:35]
	s_and_b64 vcc, exec, vcc
	s_or_b64 s[90:91], vcc, s[90:91]
	s_andn2_b64 s[92:93], s[92:93], exec
	s_and_b64 vcc, s[94:95], exec
	s_or_b64 s[92:93], s[92:93], vcc
	s_andn2_b64 exec, exec, s[90:91]
	s_cbranch_execz .LBB4_6184
.LBB4_6180:                             ;   Parent Loop BB4_3153 Depth=1
                                        ; =>  This Inner Loop Header: Depth=2
	s_add_i32 s36, s36, 1
	s_cmpk_lg_i32 s36, 0x2710
	s_cselect_b64 s[30:31], -1, 0
	s_and_b64 vcc, exec, s[30:31]
	s_cbranch_vccz .LBB4_6182
; %bb.6181:                             ;   in Loop: Header=BB4_6180 Depth=2
	s_mov_b64 vcc, -1
	s_or_b64 s[94:95], s[94:95], exec
	s_and_saveexec_b64 s[34:35], s[30:31]
	s_cbranch_execz .LBB4_6179
	s_branch .LBB4_6183
.LBB4_6182:                             ;   in Loop: Header=BB4_6180 Depth=2
	s_trap 2
	ds_read_b64 v[0:1], v0
	s_andn2_b64 s[30:31], s[30:31], exec
	s_mov_b32 s36, 0
	s_waitcnt vmcnt(0) lgkmcnt(0)
	flat_load_dword v0, v[0:1] glc
	s_waitcnt vmcnt(0) lgkmcnt(0)
	buffer_wbinvl1_vol
	v_cmp_eq_u32_e32 vcc, 0, v0
	s_and_b64 vcc, vcc, exec
	s_or_b64 s[30:31], s[30:31], vcc
	s_mov_b64 vcc, -1
	s_or_b64 s[94:95], s[94:95], exec
	s_and_saveexec_b64 s[34:35], s[30:31]
	s_cbranch_execz .LBB4_6179
.LBB4_6183:                             ;   in Loop: Header=BB4_6180 Depth=2
	s_sleep 1
	s_trap 2
	ds_read_b64 v[0:1], v0
	s_waitcnt lgkmcnt(0)
	buffer_load_dword v2, off, s[0:3], s33 offset:60 ; 4-byte Folded Reload
	buffer_load_dword v3, off, s[0:3], s33 offset:64 ; 4-byte Folded Reload
	s_andn2_b64 s[94:95], s[94:95], exec
	s_waitcnt vmcnt(0)
	v_cmp_ge_u64_e32 vcc, v[0:1], v[2:3]
	s_orn2_b64 vcc, vcc, exec
	s_branch .LBB4_6179
.LBB4_6184:                             ;   in Loop: Header=BB4_3153 Depth=1
	s_or_b64 exec, exec, s[90:91]
	s_and_saveexec_b64 s[90:91], s[92:93]
	s_xor_b64 s[90:91], exec, s[90:91]
	s_cbranch_execz .LBB4_6186
; %bb.6185:                             ;   in Loop: Header=BB4_3153 Depth=1
	v_mov_b32_e32 v0, 1
	ds_write_b32 v0, v0
	s_trap 2
.LBB4_6186:                             ;   in Loop: Header=BB4_3153 Depth=1
	s_or_b64 exec, exec, s[26:27]
	;;#ASMSTART
	s_wakeup
	;;#ASMEND
.LBB4_6187:                             ;   in Loop: Header=BB4_3153 Depth=1
	s_or_b64 exec, exec, s[24:25]
.LBB4_6188:                             ;   in Loop: Header=BB4_3153 Depth=1
	s_andn2_saveexec_b64 s[22:23], s[22:23]
	s_cbranch_execz .LBB4_6190
; %bb.6189:                             ;   in Loop: Header=BB4_3153 Depth=1
	s_waitcnt vmcnt(0) lgkmcnt(0)
	buffer_wbinvl1_vol
	s_barrier
.LBB4_6190:                             ;   in Loop: Header=BB4_3153 Depth=1
	s_or_b64 exec, exec, s[22:23]
.LBB4_6191:                             ;   in Loop: Header=BB4_3153 Depth=1
	s_or_b64 exec, exec, s[20:21]
	v_and_b32_e32 v0, 16, v28
	v_cmp_ne_u32_e32 vcc, 0, v0
	s_and_b64 s[20:21], vcc, s[18:19]
	s_and_saveexec_b64 s[18:19], s[20:21]
	s_cbranch_execz .LBB4_6193
; %bb.6192:                             ;   in Loop: Header=BB4_3153 Depth=1
	s_waitcnt vmcnt(0) lgkmcnt(0)
	buffer_wbinvl1_vol
.LBB4_6193:                             ;   in Loop: Header=BB4_3153 Depth=1
	s_or_b64 exec, exec, s[18:19]
	v_and_b32_e32 v0, 32, v28
	v_cmp_ne_u32_e32 vcc, 0, v0
	s_and_saveexec_b64 s[18:19], vcc
	s_cbranch_execz .LBB4_6195
; %bb.6194:                             ;   in Loop: Header=BB4_3153 Depth=1
	v_add_co_u32_e32 v8, vcc, 1, v8
	v_addc_co_u32_e32 v9, vcc, 0, v9, vcc
	flat_store_dwordx2 v[32:33], v[8:9]
.LBB4_6195:                             ;   in Loop: Header=BB4_3153 Depth=1
	s_or_b64 exec, exec, s[18:19]
	buffer_load_dword v0, off, s[0:3], s33 offset:80 ; 4-byte Folded Reload
.LBB4_6196:                             ;   in Loop: Header=BB4_3153 Depth=1
	s_or_b64 exec, exec, s[88:89]
	s_and_saveexec_b64 s[20:21], s[78:79]
	s_cbranch_execz .LBB4_3152
; %bb.6197:                             ;   in Loop: Header=BB4_3153 Depth=1
	v_and_b32_e32 v1, 4, v28
	v_cmp_ne_u32_e32 vcc, 0, v1
	s_and_saveexec_b64 s[22:23], vcc
	s_cbranch_execz .LBB4_6219
; %bb.6198:                             ;   in Loop: Header=BB4_3153 Depth=1
	s_waitcnt lgkmcnt(0)
	v_add_co_u32_e32 v10, vcc, 1, v8
	v_addc_co_u32_e32 v11, vcc, 0, v9, vcc
	v_cmp_lt_u64_e32 vcc, v[38:39], v[10:11]
	s_and_saveexec_b64 s[24:25], vcc
	s_cbranch_execz .LBB4_6210
; %bb.6199:                             ;   in Loop: Header=BB4_3153 Depth=1
	v_and_b32_e32 v1, 64, v28
	s_mov_b32 s38, 0
	v_cmp_eq_u32_e32 vcc, 0, v1
	s_mov_b64 s[26:27], 0
                                        ; implicit-def: $sgpr78_sgpr79
                                        ; implicit-def: $sgpr88_sgpr89
                                        ; implicit-def: $sgpr90_sgpr91
	s_branch .LBB4_6203
.LBB4_6200:                             ;   in Loop: Header=BB4_6203 Depth=2
	s_waitcnt vmcnt(0) lgkmcnt(0)
	v_cmp_ge_u64_e64 s[18:19], v[38:39], v[10:11]
	s_or_b64 s[30:31], s[30:31], exec
	s_orn2_b64 s[94:95], s[18:19], exec
.LBB4_6201:                             ;   in Loop: Header=BB4_6203 Depth=2
	s_or_b64 exec, exec, s[36:37]
	s_andn2_b64 s[18:19], s[90:91], exec
	s_and_b64 s[90:91], s[30:31], exec
	s_or_b64 s[90:91], s[18:19], s[90:91]
	s_andn2_b64 s[18:19], s[88:89], exec
	s_and_b64 s[88:89], s[94:95], exec
	s_or_b64 s[88:89], s[18:19], s[88:89]
.LBB4_6202:                             ;   in Loop: Header=BB4_6203 Depth=2
	s_or_b64 exec, exec, s[92:93]
	s_and_b64 s[18:19], exec, s[88:89]
	s_or_b64 s[26:27], s[18:19], s[26:27]
	s_andn2_b64 s[18:19], s[78:79], exec
	s_and_b64 s[78:79], s[90:91], exec
	s_or_b64 s[78:79], s[18:19], s[78:79]
	s_andn2_b64 exec, exec, s[26:27]
	s_cbranch_execz .LBB4_6207
.LBB4_6203:                             ;   Parent Loop BB4_3153 Depth=1
                                        ; =>  This Inner Loop Header: Depth=2
	s_sleep 1
	s_waitcnt vmcnt(0) lgkmcnt(0)
	flat_load_dwordx2 v[38:39], v[32:33] glc
	s_or_b64 s[90:91], s[90:91], exec
	s_or_b64 s[88:89], s[88:89], exec
                                        ; implicit-def: $vgpr1
	s_and_saveexec_b64 s[92:93], vcc
	s_cbranch_execz .LBB4_6202
; %bb.6204:                             ;   in Loop: Header=BB4_6203 Depth=2
	s_cmpk_lt_i32 s38, 0x270f
	s_cselect_b64 s[34:35], -1, 0
	s_cmpk_gt_i32 s38, 0x270e
	s_mov_b64 s[94:95], -1
	s_cbranch_scc0 .LBB4_6206
; %bb.6205:                             ;   in Loop: Header=BB4_6203 Depth=2
	s_trap 2
	s_waitcnt vmcnt(0)
	ds_read_b64 v[1:2], v0
	s_andn2_b64 s[34:35], s[34:35], exec
	s_mov_b32 s38, 0
	s_mov_b64 s[30:31], 0
	s_waitcnt lgkmcnt(0)
	flat_load_dword v1, v[1:2] glc
	s_waitcnt vmcnt(0) lgkmcnt(0)
	buffer_wbinvl1_vol
	v_cmp_eq_u32_e64 s[18:19], 0, v1
	s_and_b64 s[18:19], s[18:19], exec
	s_or_b64 s[34:35], s[34:35], s[18:19]
	s_and_saveexec_b64 s[36:37], s[34:35]
	s_cbranch_execz .LBB4_6201
	s_branch .LBB4_6200
.LBB4_6206:                             ;   in Loop: Header=BB4_6203 Depth=2
	s_add_i32 s38, s38, 1
	s_mov_b64 s[30:31], -1
                                        ; implicit-def: $vgpr1
	s_and_saveexec_b64 s[36:37], s[34:35]
	s_cbranch_execz .LBB4_6201
	s_branch .LBB4_6200
.LBB4_6207:                             ;   in Loop: Header=BB4_3153 Depth=1
	s_or_b64 exec, exec, s[26:27]
	s_xor_b64 s[18:19], s[78:79], -1
	s_and_saveexec_b64 s[26:27], s[18:19]
	s_xor_b64 s[18:19], exec, s[26:27]
	s_cbranch_execz .LBB4_6209
; %bb.6208:                             ;   in Loop: Header=BB4_3153 Depth=1
	v_or_b32_e32 v28, 64, v28
	s_waitcnt vmcnt(0) lgkmcnt(0)
	ds_write_b32 v0, v1
	s_trap 2
.LBB4_6209:                             ;   in Loop: Header=BB4_3153 Depth=1
	s_or_b64 exec, exec, s[18:19]
.LBB4_6210:                             ;   in Loop: Header=BB4_3153 Depth=1
	s_or_b64 exec, exec, s[24:25]
	v_and_b32_e32 v1, 0x100, v28
	v_cmp_ne_u32_e32 vcc, 0, v1
	v_and_b32_e32 v1, 7, v8
	s_mov_b64 s[18:19], -1
	;;#ASMSTART
	s_wakeup
	;;#ASMEND
                                        ; implicit-def: $vgpr8_vgpr9
	s_and_saveexec_b64 s[24:25], vcc
	s_cbranch_execz .LBB4_6214
; %bb.6211:                             ;   in Loop: Header=BB4_3153 Depth=1
	v_mad_u64_u32 v[2:3], s[18:19], v1, 24, v[6:7]
	flat_load_dword v8, v[2:3]
	s_waitcnt vmcnt(0) lgkmcnt(0)
	v_cmp_ne_u32_e32 vcc, 1, v8
	v_cmp_eq_u32_e64 s[18:19], 1, v8
                                        ; implicit-def: $vgpr8_vgpr9
	s_and_saveexec_b64 s[26:27], s[18:19]
	s_cbranch_execz .LBB4_6213
; %bb.6212:                             ;   in Loop: Header=BB4_3153 Depth=1
	flat_load_dword v8, v[2:3] offset:4 glc
	s_waitcnt vmcnt(0) lgkmcnt(0)
	v_ashrrev_i32_e32 v9, 31, v8
.LBB4_6213:                             ;   in Loop: Header=BB4_3153 Depth=1
	s_or_b64 exec, exec, s[26:27]
	s_orn2_b64 s[18:19], vcc, exec
.LBB4_6214:                             ;   in Loop: Header=BB4_3153 Depth=1
	s_or_b64 exec, exec, s[24:25]
	s_and_saveexec_b64 s[24:25], s[18:19]
	s_cbranch_execz .LBB4_6216
; %bb.6215:                             ;   in Loop: Header=BB4_3153 Depth=1
	buffer_load_dword v2, off, s[0:3], s33 offset:132 ; 4-byte Folded Reload
	s_waitcnt vmcnt(0)
	v_mad_i64_i32 v[8:9], s[18:19], v1, v2, 0
.LBB4_6216:                             ;   in Loop: Header=BB4_3153 Depth=1
	s_or_b64 exec, exec, s[24:25]
	buffer_load_dword v1, off, s[0:3], s33 offset:92 ; 4-byte Folded Reload
	buffer_load_dword v2, off, s[0:3], s33 offset:96 ; 4-byte Folded Reload
	s_waitcnt vmcnt(0)
	v_add_co_u32_e32 v1, vcc, v1, v8
	v_addc_co_u32_e32 v2, vcc, v2, v9, vcc
	ds_write_b64 v0, v[1:2] offset:728
	v_and_b32_e32 v1, 0x2000, v28
	v_cmp_ne_u32_e32 vcc, 0, v1
	s_and_saveexec_b64 s[18:19], vcc
	s_cbranch_execz .LBB4_6218
; %bb.6217:                             ;   in Loop: Header=BB4_3153 Depth=1
	ds_read_b64 v[1:2], v0 offset:872
	s_waitcnt lgkmcnt(0)
	v_add_co_u32_e32 v1, vcc, 1, v1
	v_addc_co_u32_e32 v2, vcc, 0, v2, vcc
	ds_write_b64 v0, v[1:2] offset:872
.LBB4_6218:                             ;   in Loop: Header=BB4_3153 Depth=1
	s_or_b64 exec, exec, s[18:19]
	v_mov_b32_e32 v8, v10
	v_mov_b32_e32 v9, v11
.LBB4_6219:                             ;   in Loop: Header=BB4_3153 Depth=1
	s_or_b64 exec, exec, s[22:23]
	s_and_saveexec_b64 s[18:19], s[10:11]
	s_cbranch_execz .LBB4_6238
; %bb.6220:                             ;   in Loop: Header=BB4_3153 Depth=1
	s_and_saveexec_b64 s[22:23], s[46:47]
	s_xor_b64 s[22:23], exec, s[22:23]
	s_cbranch_execz .LBB4_6235
; %bb.6221:                             ;   in Loop: Header=BB4_3153 Depth=1
	s_and_saveexec_b64 s[24:25], s[12:13]
	s_cbranch_execz .LBB4_6234
; %bb.6222:                             ;   in Loop: Header=BB4_3153 Depth=1
	s_mov_b64 s[78:79], exec
	v_mbcnt_lo_u32_b32 v1, s78, 0
	v_mbcnt_hi_u32_b32 v1, s79, v1
	v_cmp_eq_u32_e32 vcc, 0, v1
	s_waitcnt vmcnt(0) lgkmcnt(0)
	buffer_wbinvl1_vol
	s_and_saveexec_b64 s[26:27], vcc
	s_cbranch_execz .LBB4_6224
; %bb.6223:                             ;   in Loop: Header=BB4_3153 Depth=1
	s_bcnt1_i32_b64 s78, s[78:79]
	v_mov_b32_e32 v50, s78
	ds_add_u64 v0, v[50:51]
	s_trap 2
.LBB4_6224:                             ;   in Loop: Header=BB4_3153 Depth=1
	s_or_b64 exec, exec, s[26:27]
	s_trap 2
	ds_read_b64 v[1:2], v0
	s_waitcnt lgkmcnt(0)
	buffer_load_dword v10, off, s[0:3], s33 offset:60 ; 4-byte Folded Reload
	buffer_load_dword v11, off, s[0:3], s33 offset:64 ; 4-byte Folded Reload
	;; [unrolled: 1-line block ×3, first 2 shown]
	s_waitcnt vmcnt(0)
	v_add_co_u32_e32 v10, vcc, v10, v3
	v_addc_co_u32_e32 v11, vcc, 0, v11, vcc
	buffer_store_dword v10, off, s[0:3], s33 offset:60 ; 4-byte Folded Spill
	s_nop 0
	buffer_store_dword v11, off, s[0:3], s33 offset:64 ; 4-byte Folded Spill
	v_cmp_lt_u64_e32 vcc, v[1:2], v[10:11]
	s_and_saveexec_b64 s[26:27], vcc
	s_cbranch_execz .LBB4_6233
; %bb.6225:                             ;   in Loop: Header=BB4_3153 Depth=1
	s_mov_b32 s30, 0
	s_mov_b64 s[78:79], 0
                                        ; implicit-def: $sgpr88_sgpr89
                                        ; implicit-def: $sgpr90_sgpr91
	s_branch .LBB4_6227
.LBB4_6226:                             ;   in Loop: Header=BB4_6227 Depth=2
	s_or_b64 exec, exec, s[94:95]
	s_and_b64 s[92:93], exec, vcc
	s_or_b64 s[78:79], s[92:93], s[78:79]
	s_andn2_b64 s[88:89], s[88:89], exec
	s_and_b64 s[92:93], s[90:91], exec
	s_or_b64 s[88:89], s[88:89], s[92:93]
	s_andn2_b64 exec, exec, s[78:79]
	s_cbranch_execz .LBB4_6231
.LBB4_6227:                             ;   Parent Loop BB4_3153 Depth=1
                                        ; =>  This Inner Loop Header: Depth=2
	s_add_i32 s30, s30, 1
	s_cmpk_lg_i32 s30, 0x2710
	s_cselect_b64 s[92:93], -1, 0
	s_and_b64 vcc, exec, s[92:93]
	s_cbranch_vccz .LBB4_6229
; %bb.6228:                             ;   in Loop: Header=BB4_6227 Depth=2
	s_mov_b64 vcc, -1
	s_or_b64 s[90:91], s[90:91], exec
	s_and_saveexec_b64 s[94:95], s[92:93]
	s_cbranch_execz .LBB4_6226
	s_branch .LBB4_6230
.LBB4_6229:                             ;   in Loop: Header=BB4_6227 Depth=2
	s_trap 2
	ds_read_b64 v[1:2], v0
	s_andn2_b64 s[92:93], s[92:93], exec
	s_mov_b32 s30, 0
	s_waitcnt vmcnt(0) lgkmcnt(0)
	flat_load_dword v1, v[1:2] glc
	s_waitcnt vmcnt(0) lgkmcnt(0)
	buffer_wbinvl1_vol
	v_cmp_eq_u32_e32 vcc, 0, v1
	s_and_b64 s[94:95], vcc, exec
	s_or_b64 s[92:93], s[92:93], s[94:95]
	s_mov_b64 vcc, -1
	s_or_b64 s[90:91], s[90:91], exec
	s_and_saveexec_b64 s[94:95], s[92:93]
	s_cbranch_execz .LBB4_6226
.LBB4_6230:                             ;   in Loop: Header=BB4_6227 Depth=2
	s_sleep 1
	s_trap 2
	ds_read_b64 v[1:2], v0
	s_waitcnt lgkmcnt(0)
	buffer_load_dword v10, off, s[0:3], s33 offset:60 ; 4-byte Folded Reload
	buffer_load_dword v11, off, s[0:3], s33 offset:64 ; 4-byte Folded Reload
	s_andn2_b64 s[90:91], s[90:91], exec
	s_waitcnt vmcnt(0)
	v_cmp_ge_u64_e32 vcc, v[1:2], v[10:11]
	s_orn2_b64 vcc, vcc, exec
	s_branch .LBB4_6226
.LBB4_6231:                             ;   in Loop: Header=BB4_3153 Depth=1
	s_or_b64 exec, exec, s[78:79]
	s_and_saveexec_b64 s[78:79], s[88:89]
	s_xor_b64 s[78:79], exec, s[78:79]
	s_cbranch_execz .LBB4_6233
; %bb.6232:                             ;   in Loop: Header=BB4_3153 Depth=1
	v_mov_b32_e32 v1, 1
	ds_write_b32 v0, v1
	s_trap 2
.LBB4_6233:                             ;   in Loop: Header=BB4_3153 Depth=1
	s_or_b64 exec, exec, s[26:27]
	;;#ASMSTART
	s_wakeup
	;;#ASMEND
.LBB4_6234:                             ;   in Loop: Header=BB4_3153 Depth=1
	s_or_b64 exec, exec, s[24:25]
.LBB4_6235:                             ;   in Loop: Header=BB4_3153 Depth=1
	s_andn2_saveexec_b64 s[22:23], s[22:23]
	s_cbranch_execz .LBB4_6237
; %bb.6236:                             ;   in Loop: Header=BB4_3153 Depth=1
	s_waitcnt vmcnt(0) lgkmcnt(0)
	buffer_wbinvl1_vol
	s_barrier
.LBB4_6237:                             ;   in Loop: Header=BB4_3153 Depth=1
	s_or_b64 exec, exec, s[22:23]
.LBB4_6238:                             ;   in Loop: Header=BB4_3153 Depth=1
	s_or_b64 exec, exec, s[18:19]
	s_trap 2
	s_waitcnt vmcnt(0)
	ds_read_b32 v1, v0
	buffer_load_dword v2, off, s[0:3], s33 offset:120 ; 4-byte Folded Reload
	buffer_load_dword v3, off, s[0:3], s33 offset:124 ; 4-byte Folded Reload
	s_waitcnt lgkmcnt(0)
	v_readfirstlane_b32 s18, v1
	s_cmp_eq_u32 s18, 0
	s_cselect_b64 s[18:19], -1, 0
	s_waitcnt vmcnt(1)
	v_sub_u32_e32 v0, v2, v0
	buffer_load_dword v2, off, s[0:3], s33 offset:80 ; 4-byte Folded Reload
	s_waitcnt vmcnt(0)
	v_min_i32_e32 v0, v2, v0
	v_cmp_lt_i32_e32 vcc, 0, v0
	v_and_b32_e32 v0, 16, v28
	s_and_b64 s[18:19], vcc, s[18:19]
	v_cmp_ne_u32_e32 vcc, 0, v0
	s_and_b64 s[22:23], vcc, s[18:19]
	s_and_saveexec_b64 s[18:19], s[22:23]
	s_cbranch_execz .LBB4_6240
; %bb.6239:                             ;   in Loop: Header=BB4_3153 Depth=1
	buffer_wbinvl1_vol
.LBB4_6240:                             ;   in Loop: Header=BB4_3153 Depth=1
	s_or_b64 exec, exec, s[18:19]
	v_and_b32_e32 v0, 32, v28
	v_cmp_ne_u32_e32 vcc, 0, v0
	s_and_saveexec_b64 s[18:19], vcc
	s_cbranch_execz .LBB4_3151
; %bb.6241:                             ;   in Loop: Header=BB4_3153 Depth=1
	v_add_co_u32_e32 v8, vcc, 1, v8
	v_addc_co_u32_e32 v9, vcc, 0, v9, vcc
	flat_store_dwordx2 v[32:33], v[8:9]
	s_branch .LBB4_3151
.LBB4_6242:
	s_or_b64 exec, exec, s[58:59]
	buffer_load_dword v36, off, s[0:3], s33 offset:180 ; 4-byte Folded Reload
	buffer_load_dword v31, off, s[0:3], s33 offset:184 ; 4-byte Folded Reload
.LBB4_6243:
	s_or_b64 exec, exec, s[44:45]
.LBB4_6244:
	s_or_b64 exec, exec, s[28:29]
                                        ; implicit-def: $vgpr0
                                        ; kill: killed $vgpr0
                                        ; implicit-def: $vgpr53_vgpr54
                                        ; implicit-def: $vgpr4_vgpr5
                                        ; implicit-def: $vgpr40_vgpr41
                                        ; implicit-def: $vgpr38_vgpr39
                                        ; implicit-def: $vgpr32_vgpr33
                                        ; implicit-def: $vgpr52
                                        ; implicit-def: $vgpr24
                                        ; implicit-def: $vgpr0_vgpr1
                                        ; kill: killed $vgpr0_vgpr1
                                        ; implicit-def: $vgpr0
	buffer_store_dword v0, off, s[0:3], s33 offset:68 ; 4-byte Folded Spill
	s_nop 0
	buffer_store_dword v1, off, s[0:3], s33 offset:72 ; 4-byte Folded Spill
.LBB4_6245:
	s_andn2_saveexec_b64 s[22:23], s[42:43]
	s_cbranch_execz .LBB4_6417
; %bb.6246:
	v_mov_b32_e32 v0, 0
	v_cmp_ne_u64_e32 vcc, 0, v[4:5]
	v_mov_b32_e32 v1, 0
	buffer_store_dword v0, off, s[0:3], s33 offset:60 ; 4-byte Folded Spill
	s_nop 0
	buffer_store_dword v1, off, s[0:3], s33 offset:64 ; 4-byte Folded Spill
	s_and_saveexec_b64 s[24:25], vcc
	s_cbranch_execz .LBB4_6416
; %bb.6247:
	v_and_b32_e32 v1, 63, v52
	v_lshrrev_b32_e32 v23, 6, v52
	v_lshlrev_b32_e32 v2, 4, v1
	s_trap 2
	buffer_load_dword v0, off, s[0:3], s33 offset:160 ; 4-byte Folded Reload
	v_lshl_or_b32 v29, v23, 12, v2
	v_mov_b32_e32 v2, 0
	v_mov_b32_e32 v3, 0
	buffer_store_dword v2, off, s[0:3], s33 offset:60 ; 4-byte Folded Spill
	s_nop 0
	buffer_store_dword v3, off, s[0:3], s33 offset:64 ; 4-byte Folded Spill
	buffer_load_dword v14, off, s[0:3], s33 offset:68 ; 4-byte Folded Reload
	buffer_load_dword v15, off, s[0:3], s33 offset:72 ; 4-byte Folded Reload
	s_ashr_i32 s6, s50, 31
	s_lshr_b32 s6, s6, 24
	s_add_i32 s50, s50, s6
	s_waitcnt vmcnt(0)
	v_cmp_eq_u32_e32 vcc, 64, v36
	v_cmp_ne_u64_e64 s[18:19], 0, v[40:41]
	v_mov_b32_e32 v12, 0
	v_mov_b32_e32 v60, v54
	v_mov_b32_e32 v62, v41
	v_mov_b32_e32 v58, v5
	s_ashr_i32 s94, s50, 8
	v_cmp_ge_u32_e64 s[6:7], v52, v36
	v_cmp_ne_u32_e64 s[10:11], 64, v36
	v_mov_b32_e32 v11, 0
	v_cmp_eq_u32_e64 s[14:15], 0, v1
	v_cmp_lt_u32_e64 s[16:17], v1, v24
	v_and_b32_e32 v27, 0x3fc0, v36
	s_mov_b64 s[28:29], 0
	v_mov_b32_e32 v13, 0
	v_mov_b32_e32 v30, 1
	s_xor_b64 s[42:43], vcc, -1
	s_mov_b32 s95, 0x3ffffc00
	v_mov_b32_e32 v24, v52
	v_mov_b32_e32 v59, v53
	;; [unrolled: 1-line block ×4, first 2 shown]
	v_cmp_ne_u32_sdwa s[26:27], v36, v0 src0_sel:DWORD src1_sel:WORD_0
	v_and_b32_e32 v0, 63, v31
	v_cmp_eq_u32_e64 s[12:13], 0, v0
	v_lshrrev_b32_e32 v0, 6, v36
	v_lshlrev_b32_e32 v25, 12, v0
	v_lshlrev_b32_e32 v26, 10, v0
	s_branch .LBB4_6251
.LBB4_6248:                             ;   in Loop: Header=BB4_6251 Depth=1
	s_or_b64 exec, exec, s[44:45]
	v_add_co_u32_e32 v8, vcc, 1, v8
	v_addc_co_u32_e32 v9, vcc, 0, v9, vcc
	flat_store_dwordx2 v[32:33], v[8:9]
.LBB4_6249:                             ;   in Loop: Header=BB4_6251 Depth=1
	s_or_b64 exec, exec, s[20:21]
.LBB4_6250:                             ;   in Loop: Header=BB4_6251 Depth=1
	s_or_b64 exec, exec, s[46:47]
	buffer_load_dword v14, off, s[0:3], s33 offset:68 ; 4-byte Folded Reload
	buffer_load_dword v15, off, s[0:3], s33 offset:72 ; 4-byte Folded Reload
	s_waitcnt vmcnt(0)
	v_add_co_u32_e32 v12, vcc, v12, v14
	v_addc_co_u32_e32 v13, vcc, 0, v13, vcc
	v_cmp_ge_u64_e32 vcc, v[12:13], v[4:5]
	s_or_b64 s[28:29], vcc, s[28:29]
	s_andn2_b64 exec, exec, s[28:29]
	s_cbranch_execz .LBB4_6415
.LBB4_6251:                             ; =>This Loop Header: Depth=1
                                        ;     Child Loop BB4_6260 Depth 2
                                        ;     Child Loop BB4_6284 Depth 2
                                        ;     Child Loop BB4_6303 Depth 2
                                        ;     Child Loop BB4_6325 Depth 2
                                        ;     Child Loop BB4_6330 Depth 2
                                        ;     Child Loop BB4_6336 Depth 2
                                        ;     Child Loop BB4_6341 Depth 2
                                        ;     Child Loop BB4_6350 Depth 2
                                        ;     Child Loop BB4_6375 Depth 2
                                        ;     Child Loop BB4_6399 Depth 2
	v_sub_co_u32_e32 v2, vcc, v4, v12
	v_subb_co_u32_e32 v3, vcc, v5, v13, vcc
	v_cmp_lt_u64_e32 vcc, v[14:15], v[2:3]
	v_cndmask_b32_e64 v15, v3, 0, vcc
	v_cndmask_b32_e32 v14, v2, v14, vcc
	v_cmp_eq_u64_e32 vcc, 0, v[14:15]
	v_add_u32_e32 v2, 15, v14
	v_and_b32_e32 v2, 0x7ffffff0, v2
	s_or_b64 s[44:45], s[6:7], vcc
	v_max_i32_e32 v10, s94, v2
	s_xor_b64 s[20:21], s[44:45], -1
	v_mov_b32_e32 v2, 0
	s_and_saveexec_b64 s[46:47], s[20:21]
	s_cbranch_execz .LBB4_6368
; %bb.6252:                             ;   in Loop: Header=BB4_6251 Depth=1
	s_and_saveexec_b64 s[20:21], s[4:5]
	s_cbranch_execz .LBB4_6254
; %bb.6253:                             ;   in Loop: Header=BB4_6251 Depth=1
	s_trap 2
	ds_read_b64 v[2:3], v0
	s_waitcnt lgkmcnt(0)
	v_add_co_u32_e32 v2, vcc, v2, v53
	v_addc_co_u32_e32 v3, vcc, v3, v54, vcc
	v_add_co_u32_e32 v2, vcc, v2, v12
	v_addc_co_u32_e32 v3, vcc, v3, v13, vcc
	ds_write_b64 v0, v[2:3]
	v_mov_b32_e32 v2, v11
	v_mov_b32_e32 v3, v11
	ds_write_b64 v0, v[2:3]
.LBB4_6254:                             ;   in Loop: Header=BB4_6251 Depth=1
	s_or_b64 exec, exec, s[20:21]
	v_and_b32_e32 v2, 8, v28
	v_min_u32_e32 v10, v10, v14
	v_cmp_ne_u32_e32 vcc, 0, v2
	s_and_saveexec_b64 s[56:57], vcc
	s_cbranch_execz .LBB4_6276
; %bb.6255:                             ;   in Loop: Header=BB4_6251 Depth=1
	v_add_co_u32_e32 v2, vcc, 8, v38
	v_addc_co_u32_e32 v3, vcc, 0, v39, vcc
	s_waitcnt lgkmcnt(0)
	v_add_co_u32_e32 v15, vcc, 1, v8
	v_addc_co_u32_e32 v16, vcc, 0, v9, vcc
	v_cmp_lt_u64_e32 vcc, v[2:3], v[15:16]
	s_and_saveexec_b64 s[58:59], vcc
	s_cbranch_execz .LBB4_6267
; %bb.6256:                             ;   in Loop: Header=BB4_6251 Depth=1
	v_and_b32_e32 v2, 64, v28
	s_mov_b32 s30, 0
	v_cmp_eq_u32_e32 vcc, 0, v2
	s_mov_b64 s[60:61], 0
                                        ; implicit-def: $sgpr62_sgpr63
                                        ; implicit-def: $sgpr72_sgpr73
                                        ; implicit-def: $sgpr74_sgpr75
	s_branch .LBB4_6260
.LBB4_6257:                             ;   in Loop: Header=BB4_6260 Depth=2
	s_waitcnt vmcnt(0) lgkmcnt(0)
	v_add_co_u32_e64 v17, s[20:21], 8, v38
	v_addc_co_u32_e64 v18, s[20:21], 0, v39, s[20:21]
	v_cmp_ge_u64_e64 s[20:21], v[17:18], v[15:16]
	s_or_b64 s[88:89], s[88:89], exec
	s_orn2_b64 s[78:79], s[20:21], exec
.LBB4_6258:                             ;   in Loop: Header=BB4_6260 Depth=2
	s_or_b64 exec, exec, s[92:93]
	s_andn2_b64 s[20:21], s[74:75], exec
	s_and_b64 s[74:75], s[88:89], exec
	s_or_b64 s[74:75], s[20:21], s[74:75]
	s_andn2_b64 s[20:21], s[72:73], exec
	s_and_b64 s[72:73], s[78:79], exec
	s_or_b64 s[72:73], s[20:21], s[72:73]
.LBB4_6259:                             ;   in Loop: Header=BB4_6260 Depth=2
	s_or_b64 exec, exec, s[76:77]
	s_and_b64 s[20:21], exec, s[72:73]
	s_or_b64 s[60:61], s[20:21], s[60:61]
	s_andn2_b64 s[20:21], s[62:63], exec
	s_and_b64 s[62:63], s[74:75], exec
	s_or_b64 s[62:63], s[20:21], s[62:63]
	s_andn2_b64 exec, exec, s[60:61]
	s_cbranch_execz .LBB4_6264
.LBB4_6260:                             ;   Parent Loop BB4_6251 Depth=1
                                        ; =>  This Inner Loop Header: Depth=2
	s_sleep 1
	s_waitcnt vmcnt(0) lgkmcnt(0)
	flat_load_dwordx2 v[38:39], v[32:33] glc
	s_or_b64 s[74:75], s[74:75], exec
	s_or_b64 s[72:73], s[72:73], exec
                                        ; implicit-def: $vgpr2
	s_and_saveexec_b64 s[76:77], vcc
	s_cbranch_execz .LBB4_6259
; %bb.6261:                             ;   in Loop: Header=BB4_6260 Depth=2
	s_cmpk_lt_i32 s30, 0x270f
	s_cselect_b64 s[90:91], -1, 0
	s_cmpk_gt_i32 s30, 0x270e
	s_mov_b64 s[78:79], -1
	s_cbranch_scc0 .LBB4_6263
; %bb.6262:                             ;   in Loop: Header=BB4_6260 Depth=2
	s_trap 2
	ds_read_b64 v[2:3], v0
	s_andn2_b64 s[90:91], s[90:91], exec
	s_mov_b32 s30, 0
	s_mov_b64 s[88:89], 0
	s_waitcnt vmcnt(0) lgkmcnt(0)
	flat_load_dword v2, v[2:3] glc
	s_waitcnt vmcnt(0) lgkmcnt(0)
	buffer_wbinvl1_vol
	v_cmp_eq_u32_e64 s[20:21], 0, v2
	s_and_b64 s[20:21], s[20:21], exec
	s_or_b64 s[90:91], s[90:91], s[20:21]
	s_and_saveexec_b64 s[92:93], s[90:91]
	s_cbranch_execz .LBB4_6258
	s_branch .LBB4_6257
.LBB4_6263:                             ;   in Loop: Header=BB4_6260 Depth=2
	s_add_i32 s30, s30, 1
	s_mov_b64 s[88:89], -1
                                        ; implicit-def: $vgpr2
	s_and_saveexec_b64 s[92:93], s[90:91]
	s_cbranch_execz .LBB4_6258
	s_branch .LBB4_6257
.LBB4_6264:                             ;   in Loop: Header=BB4_6251 Depth=1
	s_or_b64 exec, exec, s[60:61]
	s_xor_b64 s[20:21], s[62:63], -1
	s_and_saveexec_b64 s[60:61], s[20:21]
	s_xor_b64 s[20:21], exec, s[60:61]
	s_cbranch_execz .LBB4_6266
; %bb.6265:                             ;   in Loop: Header=BB4_6251 Depth=1
	v_or_b32_e32 v28, 64, v28
	s_waitcnt lgkmcnt(0)
	ds_write_b32 v0, v2
	s_trap 2
.LBB4_6266:                             ;   in Loop: Header=BB4_6251 Depth=1
	s_or_b64 exec, exec, s[20:21]
.LBB4_6267:                             ;   in Loop: Header=BB4_6251 Depth=1
	s_or_b64 exec, exec, s[58:59]
	v_and_b32_e32 v2, 0x100, v28
	v_cmp_ne_u32_e32 vcc, 0, v2
	v_and_b32_e32 v17, 7, v8
	s_mov_b64 s[20:21], -1
	;;#ASMSTART
	s_wakeup
	;;#ASMEND
                                        ; implicit-def: $vgpr8_vgpr9
	s_and_saveexec_b64 s[58:59], vcc
	s_cbranch_execz .LBB4_6271
; %bb.6268:                             ;   in Loop: Header=BB4_6251 Depth=1
	v_mad_u64_u32 v[2:3], s[20:21], v17, 24, v[6:7]
	flat_load_dword v8, v[2:3]
	s_nop 0
	flat_store_dwordx2 v[2:3], v[10:11] offset:8
	s_waitcnt vmcnt(0) lgkmcnt(0)
	v_cmp_ne_u32_e32 vcc, 1, v8
	v_cmp_eq_u32_e64 s[20:21], 1, v8
                                        ; implicit-def: $vgpr8_vgpr9
	s_and_saveexec_b64 s[60:61], s[20:21]
	s_cbranch_execz .LBB4_6270
; %bb.6269:                             ;   in Loop: Header=BB4_6251 Depth=1
	flat_load_dword v8, v[2:3] offset:4 glc
	s_waitcnt vmcnt(0) lgkmcnt(0)
	v_ashrrev_i32_e32 v9, 31, v8
.LBB4_6270:                             ;   in Loop: Header=BB4_6251 Depth=1
	s_or_b64 exec, exec, s[60:61]
	s_orn2_b64 s[20:21], vcc, exec
.LBB4_6271:                             ;   in Loop: Header=BB4_6251 Depth=1
	s_or_b64 exec, exec, s[58:59]
	s_and_saveexec_b64 s[58:59], s[20:21]
	s_cbranch_execz .LBB4_6273
; %bb.6272:                             ;   in Loop: Header=BB4_6251 Depth=1
	buffer_load_dword v2, off, s[0:3], s33 offset:132 ; 4-byte Folded Reload
	s_waitcnt vmcnt(0)
	v_mad_i64_i32 v[8:9], s[20:21], v17, v2, 0
.LBB4_6273:                             ;   in Loop: Header=BB4_6251 Depth=1
	s_or_b64 exec, exec, s[58:59]
	buffer_load_dword v2, off, s[0:3], s33 offset:92 ; 4-byte Folded Reload
	buffer_load_dword v3, off, s[0:3], s33 offset:96 ; 4-byte Folded Reload
	s_waitcnt vmcnt(0)
	v_add_co_u32_e32 v2, vcc, v2, v8
	v_addc_co_u32_e32 v3, vcc, v3, v9, vcc
	ds_write_b64 v0, v[2:3] offset:784
	v_and_b32_e32 v2, 0x2000, v28
	v_cmp_ne_u32_e32 vcc, 0, v2
	s_and_saveexec_b64 s[20:21], vcc
	s_cbranch_execz .LBB4_6275
; %bb.6274:                             ;   in Loop: Header=BB4_6251 Depth=1
	ds_read_b64 v[2:3], v0 offset:872
	s_waitcnt lgkmcnt(0)
	v_add_co_u32_e32 v2, vcc, 1, v2
	v_addc_co_u32_e32 v3, vcc, 0, v3, vcc
	ds_write_b64 v0, v[2:3] offset:872
.LBB4_6275:                             ;   in Loop: Header=BB4_6251 Depth=1
	s_or_b64 exec, exec, s[20:21]
	v_mov_b32_e32 v8, v15
	v_mov_b32_e32 v9, v16
.LBB4_6276:                             ;   in Loop: Header=BB4_6251 Depth=1
	s_or_b64 exec, exec, s[56:57]
	s_and_saveexec_b64 s[20:21], s[10:11]
	s_cbranch_execz .LBB4_6295
; %bb.6277:                             ;   in Loop: Header=BB4_6251 Depth=1
	s_and_saveexec_b64 s[56:57], s[26:27]
	s_xor_b64 s[56:57], exec, s[56:57]
	s_cbranch_execz .LBB4_6292
; %bb.6278:                             ;   in Loop: Header=BB4_6251 Depth=1
	s_and_saveexec_b64 s[58:59], s[12:13]
	s_cbranch_execz .LBB4_6291
; %bb.6279:                             ;   in Loop: Header=BB4_6251 Depth=1
	s_mov_b64 s[62:63], exec
	v_mbcnt_lo_u32_b32 v2, s62, 0
	v_mbcnt_hi_u32_b32 v2, s63, v2
	v_cmp_eq_u32_e32 vcc, 0, v2
	s_waitcnt lgkmcnt(0)
	buffer_wbinvl1_vol
	s_and_saveexec_b64 s[60:61], vcc
	s_cbranch_execz .LBB4_6281
; %bb.6280:                             ;   in Loop: Header=BB4_6251 Depth=1
	s_bcnt1_i32_b64 s62, s[62:63]
	v_mov_b32_e32 v2, s62
	v_mov_b32_e32 v3, v11
	ds_add_u64 v0, v[2:3]
	s_trap 2
.LBB4_6281:                             ;   in Loop: Header=BB4_6251 Depth=1
	s_or_b64 exec, exec, s[60:61]
	s_trap 2
	ds_read_b64 v[2:3], v0
	s_waitcnt lgkmcnt(0)
	buffer_load_dword v15, off, s[0:3], s33 offset:60 ; 4-byte Folded Reload
	buffer_load_dword v16, off, s[0:3], s33 offset:64 ; 4-byte Folded Reload
	s_waitcnt vmcnt(1)
	v_add_co_u32_e32 v15, vcc, v15, v0
	s_waitcnt vmcnt(0)
	v_addc_co_u32_e32 v16, vcc, 0, v16, vcc
	buffer_store_dword v15, off, s[0:3], s33 offset:60 ; 4-byte Folded Spill
	s_nop 0
	buffer_store_dword v16, off, s[0:3], s33 offset:64 ; 4-byte Folded Spill
	v_cmp_lt_u64_e32 vcc, v[2:3], v[15:16]
	s_and_saveexec_b64 s[60:61], vcc
	s_cbranch_execz .LBB4_6290
; %bb.6282:                             ;   in Loop: Header=BB4_6251 Depth=1
	s_mov_b32 s90, 0
	s_mov_b64 s[62:63], 0
                                        ; implicit-def: $sgpr72_sgpr73
                                        ; implicit-def: $sgpr74_sgpr75
	s_branch .LBB4_6284
.LBB4_6283:                             ;   in Loop: Header=BB4_6284 Depth=2
	s_or_b64 exec, exec, s[78:79]
	s_and_b64 s[76:77], exec, s[88:89]
	s_or_b64 s[62:63], s[76:77], s[62:63]
	s_andn2_b64 s[72:73], s[72:73], exec
	s_and_b64 s[76:77], s[74:75], exec
	s_or_b64 s[72:73], s[72:73], s[76:77]
	s_andn2_b64 exec, exec, s[62:63]
	s_cbranch_execz .LBB4_6288
.LBB4_6284:                             ;   Parent Loop BB4_6251 Depth=1
                                        ; =>  This Inner Loop Header: Depth=2
	s_add_i32 s90, s90, 1
	s_cmpk_lg_i32 s90, 0x2710
	s_cselect_b64 s[76:77], -1, 0
	s_and_b64 vcc, exec, s[76:77]
	s_cbranch_vccz .LBB4_6286
; %bb.6285:                             ;   in Loop: Header=BB4_6284 Depth=2
	s_mov_b64 s[88:89], -1
	s_or_b64 s[74:75], s[74:75], exec
	s_and_saveexec_b64 s[78:79], s[76:77]
	s_cbranch_execz .LBB4_6283
	s_branch .LBB4_6287
.LBB4_6286:                             ;   in Loop: Header=BB4_6284 Depth=2
	s_trap 2
	ds_read_b64 v[2:3], v0
	s_andn2_b64 s[76:77], s[76:77], exec
	s_mov_b32 s90, 0
	s_waitcnt vmcnt(0) lgkmcnt(0)
	flat_load_dword v2, v[2:3] glc
	s_waitcnt vmcnt(0) lgkmcnt(0)
	buffer_wbinvl1_vol
	v_cmp_eq_u32_e32 vcc, 0, v2
	s_and_b64 s[78:79], vcc, exec
	s_or_b64 s[76:77], s[76:77], s[78:79]
	s_mov_b64 s[88:89], -1
	s_or_b64 s[74:75], s[74:75], exec
	s_and_saveexec_b64 s[78:79], s[76:77]
	s_cbranch_execz .LBB4_6283
.LBB4_6287:                             ;   in Loop: Header=BB4_6284 Depth=2
	s_sleep 1
	s_trap 2
	ds_read_b64 v[2:3], v0
	s_waitcnt lgkmcnt(0)
	buffer_load_dword v15, off, s[0:3], s33 offset:60 ; 4-byte Folded Reload
	buffer_load_dword v16, off, s[0:3], s33 offset:64 ; 4-byte Folded Reload
	s_andn2_b64 s[74:75], s[74:75], exec
	s_waitcnt vmcnt(0)
	v_cmp_ge_u64_e32 vcc, v[2:3], v[15:16]
	s_orn2_b64 s[88:89], vcc, exec
	s_branch .LBB4_6283
.LBB4_6288:                             ;   in Loop: Header=BB4_6251 Depth=1
	s_or_b64 exec, exec, s[62:63]
	s_and_saveexec_b64 s[62:63], s[72:73]
	s_xor_b64 s[62:63], exec, s[62:63]
	s_cbranch_execz .LBB4_6290
; %bb.6289:                             ;   in Loop: Header=BB4_6251 Depth=1
	ds_write_b32 v0, v30
	s_trap 2
.LBB4_6290:                             ;   in Loop: Header=BB4_6251 Depth=1
	s_or_b64 exec, exec, s[60:61]
	;;#ASMSTART
	s_wakeup
	;;#ASMEND
.LBB4_6291:                             ;   in Loop: Header=BB4_6251 Depth=1
	s_or_b64 exec, exec, s[58:59]
.LBB4_6292:                             ;   in Loop: Header=BB4_6251 Depth=1
	s_andn2_saveexec_b64 s[56:57], s[56:57]
	s_cbranch_execz .LBB4_6294
; %bb.6293:                             ;   in Loop: Header=BB4_6251 Depth=1
	s_waitcnt vmcnt(0) lgkmcnt(0)
	buffer_wbinvl1_vol
	s_barrier
.LBB4_6294:                             ;   in Loop: Header=BB4_6251 Depth=1
	s_or_b64 exec, exec, s[56:57]
.LBB4_6295:                             ;   in Loop: Header=BB4_6251 Depth=1
	s_or_b64 exec, exec, s[20:21]
	s_trap 2
	ds_read_b32 v2, v0
	v_and_b32_e32 v3, 0x4000, v28
	v_cmp_ne_u32_e32 vcc, 0, v3
	s_and_b64 s[56:57], s[42:43], vcc
	s_and_saveexec_b64 s[20:21], s[56:57]
	s_cbranch_execz .LBB4_6314
; %bb.6296:                             ;   in Loop: Header=BB4_6251 Depth=1
	s_and_saveexec_b64 s[56:57], s[26:27]
	s_xor_b64 s[56:57], exec, s[56:57]
	s_cbranch_execz .LBB4_6311
; %bb.6297:                             ;   in Loop: Header=BB4_6251 Depth=1
	s_and_saveexec_b64 s[58:59], s[12:13]
	s_cbranch_execz .LBB4_6310
; %bb.6298:                             ;   in Loop: Header=BB4_6251 Depth=1
	s_mov_b64 s[62:63], exec
	v_mbcnt_lo_u32_b32 v3, s62, 0
	v_mbcnt_hi_u32_b32 v3, s63, v3
	v_cmp_eq_u32_e32 vcc, 0, v3
	s_waitcnt vmcnt(0) lgkmcnt(0)
	buffer_wbinvl1_vol
	s_and_saveexec_b64 s[60:61], vcc
	s_cbranch_execz .LBB4_6300
; %bb.6299:                             ;   in Loop: Header=BB4_6251 Depth=1
	s_bcnt1_i32_b64 s62, s[62:63]
	v_mov_b32_e32 v15, s62
	v_mov_b32_e32 v16, v11
	ds_add_u64 v0, v[15:16]
	s_trap 2
.LBB4_6300:                             ;   in Loop: Header=BB4_6251 Depth=1
	s_or_b64 exec, exec, s[60:61]
	s_trap 2
	ds_read_b64 v[15:16], v0
	s_waitcnt lgkmcnt(0)
	buffer_load_dword v17, off, s[0:3], s33 offset:60 ; 4-byte Folded Reload
	buffer_load_dword v18, off, s[0:3], s33 offset:64 ; 4-byte Folded Reload
	s_waitcnt vmcnt(1)
	v_add_co_u32_e32 v17, vcc, v17, v0
	s_waitcnt vmcnt(0)
	v_addc_co_u32_e32 v18, vcc, 0, v18, vcc
	buffer_store_dword v17, off, s[0:3], s33 offset:60 ; 4-byte Folded Spill
	s_nop 0
	buffer_store_dword v18, off, s[0:3], s33 offset:64 ; 4-byte Folded Spill
	v_cmp_lt_u64_e32 vcc, v[15:16], v[17:18]
	s_and_saveexec_b64 s[60:61], vcc
	s_cbranch_execz .LBB4_6309
; %bb.6301:                             ;   in Loop: Header=BB4_6251 Depth=1
	s_mov_b32 s90, 0
	s_mov_b64 s[62:63], 0
                                        ; implicit-def: $sgpr72_sgpr73
                                        ; implicit-def: $sgpr74_sgpr75
	s_branch .LBB4_6303
.LBB4_6302:                             ;   in Loop: Header=BB4_6303 Depth=2
	s_or_b64 exec, exec, s[78:79]
	s_and_b64 s[76:77], exec, s[88:89]
	s_or_b64 s[62:63], s[76:77], s[62:63]
	s_andn2_b64 s[72:73], s[72:73], exec
	s_and_b64 s[76:77], s[74:75], exec
	s_or_b64 s[72:73], s[72:73], s[76:77]
	s_andn2_b64 exec, exec, s[62:63]
	s_cbranch_execz .LBB4_6307
.LBB4_6303:                             ;   Parent Loop BB4_6251 Depth=1
                                        ; =>  This Inner Loop Header: Depth=2
	s_add_i32 s90, s90, 1
	s_cmpk_lg_i32 s90, 0x2710
	s_cselect_b64 s[76:77], -1, 0
	s_and_b64 vcc, exec, s[76:77]
	s_cbranch_vccz .LBB4_6305
; %bb.6304:                             ;   in Loop: Header=BB4_6303 Depth=2
	s_mov_b64 s[88:89], -1
	s_or_b64 s[74:75], s[74:75], exec
	s_and_saveexec_b64 s[78:79], s[76:77]
	s_cbranch_execz .LBB4_6302
	s_branch .LBB4_6306
.LBB4_6305:                             ;   in Loop: Header=BB4_6303 Depth=2
	s_trap 2
	ds_read_b64 v[15:16], v0
	s_andn2_b64 s[76:77], s[76:77], exec
	s_mov_b32 s90, 0
	s_waitcnt vmcnt(0) lgkmcnt(0)
	flat_load_dword v3, v[15:16] glc
	s_waitcnt vmcnt(0) lgkmcnt(0)
	buffer_wbinvl1_vol
	v_cmp_eq_u32_e32 vcc, 0, v3
	s_and_b64 s[78:79], vcc, exec
	s_or_b64 s[76:77], s[76:77], s[78:79]
	s_mov_b64 s[88:89], -1
	s_or_b64 s[74:75], s[74:75], exec
	s_and_saveexec_b64 s[78:79], s[76:77]
	s_cbranch_execz .LBB4_6302
.LBB4_6306:                             ;   in Loop: Header=BB4_6303 Depth=2
	s_sleep 1
	s_trap 2
	ds_read_b64 v[15:16], v0
	s_waitcnt lgkmcnt(0)
	buffer_load_dword v17, off, s[0:3], s33 offset:60 ; 4-byte Folded Reload
	buffer_load_dword v18, off, s[0:3], s33 offset:64 ; 4-byte Folded Reload
	s_andn2_b64 s[74:75], s[74:75], exec
	s_waitcnt vmcnt(0)
	v_cmp_ge_u64_e32 vcc, v[15:16], v[17:18]
	s_orn2_b64 s[88:89], vcc, exec
	s_branch .LBB4_6302
.LBB4_6307:                             ;   in Loop: Header=BB4_6251 Depth=1
	s_or_b64 exec, exec, s[62:63]
	s_and_saveexec_b64 s[62:63], s[72:73]
	s_xor_b64 s[62:63], exec, s[62:63]
	s_cbranch_execz .LBB4_6309
; %bb.6308:                             ;   in Loop: Header=BB4_6251 Depth=1
	ds_write_b32 v0, v30
	s_trap 2
.LBB4_6309:                             ;   in Loop: Header=BB4_6251 Depth=1
	s_or_b64 exec, exec, s[60:61]
	;;#ASMSTART
	s_wakeup
	;;#ASMEND
.LBB4_6310:                             ;   in Loop: Header=BB4_6251 Depth=1
	s_or_b64 exec, exec, s[58:59]
.LBB4_6311:                             ;   in Loop: Header=BB4_6251 Depth=1
	s_andn2_saveexec_b64 s[56:57], s[56:57]
	s_cbranch_execz .LBB4_6313
; %bb.6312:                             ;   in Loop: Header=BB4_6251 Depth=1
	s_waitcnt vmcnt(0) lgkmcnt(0)
	buffer_wbinvl1_vol
	s_barrier
.LBB4_6313:                             ;   in Loop: Header=BB4_6251 Depth=1
	s_or_b64 exec, exec, s[56:57]
.LBB4_6314:                             ;   in Loop: Header=BB4_6251 Depth=1
	s_or_b64 exec, exec, s[20:21]
	s_trap 2
	ds_read_b64 v[15:16], v0
	s_waitcnt lgkmcnt(0)
	v_cmp_eq_u64_e32 vcc, 0, v[15:16]
	s_cbranch_vccnz .LBB4_6322
; %bb.6315:                             ;   in Loop: Header=BB4_6251 Depth=1
	s_trap 2
	ds_read_b64 v[17:18], v0
	s_waitcnt lgkmcnt(0)
	v_cmp_eq_u64_e32 vcc, 0, v[17:18]
	s_cbranch_vccnz .LBB4_6322
; %bb.6316:                             ;   in Loop: Header=BB4_6251 Depth=1
	s_mov_b64 s[20:21], -1
	s_and_saveexec_b64 s[56:57], s[14:15]
	s_cbranch_execz .LBB4_6318
; %bb.6317:                             ;   in Loop: Header=BB4_6251 Depth=1
	ds_read_b32 v3, v0 offset:720
	s_waitcnt lgkmcnt(0)
	v_and_b32_e32 v3, 15, v3
	v_cmp_eq_u32_e32 vcc, 0, v3
	s_orn2_b64 s[20:21], vcc, exec
.LBB4_6318:                             ;   in Loop: Header=BB4_6251 Depth=1
	s_or_b64 exec, exec, s[56:57]
	s_and_saveexec_b64 s[56:57], s[16:17]
	s_cbranch_execz .LBB4_6320
; %bb.6319:                             ;   in Loop: Header=BB4_6251 Depth=1
	ds_read_b32 v3, v0 offset:784
	s_waitcnt lgkmcnt(0)
	v_and_b32_e32 v3, 15, v3
	v_cmp_eq_u32_e32 vcc, 0, v3
	s_and_b64 s[58:59], s[20:21], vcc
	s_andn2_b64 s[20:21], s[20:21], exec
	s_and_b64 s[58:59], s[58:59], exec
	s_or_b64 s[20:21], s[20:21], s[58:59]
.LBB4_6320:                             ;   in Loop: Header=BB4_6251 Depth=1
	s_or_b64 exec, exec, s[56:57]
	v_cmp_eq_u32_e32 vcc, 0, v2
	s_xor_b64 s[20:21], s[20:21], -1
	v_cndmask_b32_e32 v2, 0, v10, vcc
	v_cndmask_b32_e64 v3, 0, 1, s[20:21]
	s_mov_b64 s[58:59], -1
	v_cmp_ne_u32_e32 vcc, 0, v3
	v_mov_b32_e32 v3, 0
	v_mov_b32_e32 v19, v2
	;; [unrolled: 1-line block ×3, first 2 shown]
	s_cbranch_vccz .LBB4_6323
; %bb.6321:                             ;   in Loop: Header=BB4_6251 Depth=1
	s_and_saveexec_b64 s[20:21], s[58:59]
	s_cbranch_execnz .LBB4_6334
	s_branch .LBB4_6342
.LBB4_6322:                             ;   in Loop: Header=BB4_6251 Depth=1
	s_mov_b64 s[20:21], 0
	s_and_saveexec_b64 s[56:57], s[10:11]
	s_cbranch_execnz .LBB4_6343
	s_branch .LBB4_6361
.LBB4_6323:                             ;   in Loop: Header=BB4_6251 Depth=1
	v_lshrrev_b32_e32 v3, 12, v2
	v_sub_u32_e32 v37, v3, v23
	v_cmp_lt_i32_e32 vcc, 0, v37
	s_and_saveexec_b64 s[20:21], vcc
	s_cbranch_execz .LBB4_6327
; %bb.6324:                             ;   in Loop: Header=BB4_6251 Depth=1
	v_mov_b32_e32 v20, v18
	v_mov_b32_e32 v22, v16
	s_mov_b64 s[56:57], 0
	v_mov_b32_e32 v19, v17
	v_mov_b32_e32 v21, v15
.LBB4_6325:                             ;   Parent Loop BB4_6251 Depth=1
                                        ; =>  This Inner Loop Header: Depth=2
	v_add_co_u32_e32 v34, vcc, v29, v21
	v_addc_co_u32_e32 v35, vcc, 0, v22, vcc
	global_load_dwordx4 v[48:51], v[34:35], off glc slc
	global_load_dwordx4 v[52:55], v[34:35], off offset:1024 glc slc
	global_load_dwordx4 v[40:43], v[34:35], off offset:2048 glc slc
	;; [unrolled: 1-line block ×3, first 2 shown]
	v_add_co_u32_e32 v34, vcc, v29, v19
	v_addc_co_u32_e32 v35, vcc, 0, v20, vcc
	v_add_co_u32_e32 v21, vcc, v21, v25
	v_addc_co_u32_e32 v22, vcc, 0, v22, vcc
	v_add_co_u32_e32 v19, vcc, v19, v25
	v_sub_u32_e32 v37, v37, v0
	v_addc_co_u32_e32 v20, vcc, 0, v20, vcc
	v_cmp_gt_i32_e32 vcc, 1, v37
	s_or_b64 s[56:57], vcc, s[56:57]
	s_waitcnt vmcnt(3)
	global_store_dwordx4 v[34:35], v[48:51], off glc slc
	s_waitcnt vmcnt(3)
	global_store_dwordx4 v[34:35], v[52:55], off offset:1024 glc slc
	s_waitcnt vmcnt(3)
	global_store_dwordx4 v[34:35], v[40:43], off offset:2048 glc slc
	;; [unrolled: 2-line block ×3, first 2 shown]
	s_andn2_b64 exec, exec, s[56:57]
	s_cbranch_execnz .LBB4_6325
; %bb.6326:                             ;   in Loop: Header=BB4_6251 Depth=1
	s_or_b64 exec, exec, s[56:57]
	v_mov_b32_e32 v53, v59
	v_mov_b32_e32 v40, v61
	v_mov_b32_e32 v4, v57
	v_mov_b32_e32 v52, v24
	v_mov_b32_e32 v54, v60
	v_mov_b32_e32 v41, v62
	v_mov_b32_e32 v5, v58
.LBB4_6327:                             ;   in Loop: Header=BB4_6251 Depth=1
	s_or_b64 exec, exec, s[20:21]
	v_and_b32_e32 v21, 0x3ffff000, v2
	v_cmp_ne_u32_e32 vcc, v2, v21
	s_mov_b64 s[58:59], 0
	v_mov_b32_e32 v3, 0
                                        ; implicit-def: $vgpr19
                                        ; implicit-def: $vgpr20
	s_and_saveexec_b64 s[56:57], vcc
	s_cbranch_execz .LBB4_6333
; %bb.6328:                             ;   in Loop: Header=BB4_6251 Depth=1
	v_sub_u32_e32 v19, 0, v37
	v_and_b32_e32 v20, 0x3ffffff, v19
	v_lshlrev_b32_e32 v19, 10, v37
	v_lshlrev_b32_e32 v22, 4, v1
	v_sub_u32_e32 v22, v22, v19
	v_and_b32_e32 v19, 0x3ff, v2
	v_and_b32_e32 v3, 0xfff, v2
	v_bfe_u32 v34, v2, 10, 2
	v_cmp_lt_u32_e32 vcc, 15, v19
	v_sub_u32_e32 v3, v3, v22
	v_addc_co_u32_e64 v34, s[20:21], 0, v34, vcc
	v_sub_u32_e32 v20, v34, v20
	v_cmp_lt_i32_e64 s[20:21], 15, v3
	s_and_saveexec_b64 s[58:59], s[20:21]
	s_cbranch_execz .LBB4_6332
; %bb.6329:                             ;   in Loop: Header=BB4_6251 Depth=1
	v_add_u32_e32 v21, v22, v21
	v_mov_b32_e32 v22, v11
	s_mov_b64 s[60:61], 0
.LBB4_6330:                             ;   Parent Loop BB4_6251 Depth=1
                                        ; =>  This Inner Loop Header: Depth=2
	v_add_co_u32_e64 v34, s[20:21], v15, v21
	v_addc_co_u32_e64 v35, s[20:21], v16, v22, s[20:21]
	global_load_dwordx4 v[48:51], v[34:35], off glc slc
	v_add_co_u32_e64 v34, s[20:21], v17, v21
	v_addc_co_u32_e64 v35, s[20:21], v18, v22, s[20:21]
	v_add_co_u32_e64 v21, s[20:21], v21, v26
	v_sub_u32_e32 v3, v3, v26
	v_addc_co_u32_e64 v22, s[20:21], 0, v22, s[20:21]
	v_cmp_gt_i32_e64 s[20:21], 16, v3
	v_sub_u32_e32 v20, v20, v0
	s_or_b64 s[60:61], s[20:21], s[60:61]
	s_waitcnt vmcnt(0)
	global_store_dwordx4 v[34:35], v[48:51], off glc slc
	s_andn2_b64 exec, exec, s[60:61]
	s_cbranch_execnz .LBB4_6330
; %bb.6331:                             ;   in Loop: Header=BB4_6251 Depth=1
	s_or_b64 exec, exec, s[60:61]
	v_mov_b32_e32 v4, v57
	v_mov_b32_e32 v5, v58
.LBB4_6332:                             ;   in Loop: Header=BB4_6251 Depth=1
	s_or_b64 exec, exec, s[58:59]
	v_and_b32_e32 v21, 15, v2
	v_and_b32_e32 v3, 0x3f0, v2
	v_cndmask_b32_e32 v3, 0, v3, vcc
	v_cndmask_b32_e32 v19, v19, v21, vcc
	v_cmp_lt_i32_e32 vcc, 0, v20
	v_cndmask_b32_e32 v21, 0, v0, vcc
	v_sub_u32_e32 v20, v21, v20
	v_cmp_ne_u32_e32 vcc, 0, v19
	v_and_or_b32 v3, v2, s95, v3
	v_lshl_or_b32 v20, v20, 6, v1
	s_and_b64 s[58:59], vcc, exec
.LBB4_6333:                             ;   in Loop: Header=BB4_6251 Depth=1
	s_or_b64 exec, exec, s[56:57]
	s_and_saveexec_b64 s[20:21], s[58:59]
	s_cbranch_execz .LBB4_6342
.LBB4_6334:                             ;   in Loop: Header=BB4_6251 Depth=1
	v_ashrrev_i32_e32 v21, 31, v20
	v_lshrrev_b32_e32 v21, 26, v21
	v_add_u32_e32 v34, v20, v21
	v_ashrrev_i32_e32 v21, 6, v34
	v_lshrrev_b32_e32 v22, 10, v19
	v_sub_u32_e32 v22, v22, v21
	v_cmp_lt_i32_e32 vcc, 0, v22
	s_and_saveexec_b64 s[56:57], vcc
	s_cbranch_execz .LBB4_6338
; %bb.6335:                             ;   in Loop: Header=BB4_6251 Depth=1
	v_mov_b32_e32 v56, v31
	v_and_b32_e32 v31, 0xffffffc0, v34
	v_sub_u32_e32 v31, v20, v31
	v_lshlrev_b32_e32 v34, 10, v21
	v_add3_u32 v31, v3, v31, v34
	v_mov_b32_e32 v47, v36
	v_ashrrev_i32_e32 v34, 31, v31
	s_mov_b64 s[58:59], 0
.LBB4_6336:                             ;   Parent Loop BB4_6251 Depth=1
                                        ; =>  This Inner Loop Header: Depth=2
	v_add_co_u32_e32 v35, vcc, v31, v15
	v_addc_co_u32_e32 v36, vcc, v34, v16, vcc
	flat_load_ubyte v37, v[35:36] glc slc
	flat_load_ubyte v48, v[35:36] offset:64 glc slc
	flat_load_ubyte v49, v[35:36] offset:128 glc slc
	;; [unrolled: 1-line block ×15, first 2 shown]
	v_add_co_u32_e32 v35, vcc, v31, v17
	v_addc_co_u32_e32 v36, vcc, v34, v18, vcc
	v_add_co_u32_e32 v15, vcc, v15, v26
	v_addc_co_u32_e32 v16, vcc, 0, v16, vcc
	v_add_co_u32_e32 v17, vcc, v17, v26
	v_sub_u32_e32 v22, v22, v0
	v_addc_co_u32_e32 v18, vcc, 0, v18, vcc
	v_cmp_gt_i32_e32 vcc, 1, v22
	s_or_b64 s[58:59], vcc, s[58:59]
	s_waitcnt vmcnt(0) lgkmcnt(0)
	flat_store_byte v[35:36], v37 glc slc
	flat_store_byte v[35:36], v48 offset:64 glc slc
	flat_store_byte v[35:36], v49 offset:128 glc slc
	;; [unrolled: 1-line block ×15, first 2 shown]
	s_andn2_b64 exec, exec, s[58:59]
	s_cbranch_execnz .LBB4_6336
; %bb.6337:                             ;   in Loop: Header=BB4_6251 Depth=1
	s_or_b64 exec, exec, s[58:59]
	v_mov_b32_e32 v53, v59
	v_mov_b32_e32 v40, v61
	;; [unrolled: 1-line block ×9, first 2 shown]
.LBB4_6338:                             ;   in Loop: Header=BB4_6251 Depth=1
	s_or_b64 exec, exec, s[56:57]
	v_and_b32_e32 v18, 0xfffffc00, v19
	v_cmp_ne_u32_e32 vcc, v19, v18
	s_and_b64 exec, exec, vcc
	s_cbranch_execz .LBB4_6342
; %bb.6339:                             ;   in Loop: Header=BB4_6251 Depth=1
	v_lshlrev_b32_e32 v15, 6, v21
	v_sub_u32_e32 v15, v20, v15
	v_lshlrev_b32_e32 v16, 6, v22
	v_sub_u32_e32 v20, v15, v16
	v_and_b32_e32 v15, 0x3ff, v19
	v_sub_u32_e32 v17, v15, v20
	v_cmp_lt_i32_e32 vcc, 0, v17
	s_and_b64 exec, exec, vcc
	s_cbranch_execz .LBB4_6342
; %bb.6340:                             ;   in Loop: Header=BB4_6251 Depth=1
	s_trap 2
	ds_read_b64 v[15:16], v0
	v_add3_u32 v3, v18, v3, v20
	v_ashrrev_i32_e32 v18, 31, v3
	s_mov_b64 s[56:57], 0
.LBB4_6341:                             ;   Parent Loop BB4_6251 Depth=1
                                        ; =>  This Inner Loop Header: Depth=2
	s_waitcnt lgkmcnt(0)
	v_add_co_u32_e32 v19, vcc, v15, v3
	v_addc_co_u32_e32 v20, vcc, v16, v18, vcc
	flat_load_ubyte v21, v[19:20] glc slc
	v_add_co_u32_e32 v3, vcc, v3, v27
	v_sub_u32_e32 v17, v17, v27
	v_addc_co_u32_e32 v18, vcc, 0, v18, vcc
	v_cmp_gt_i32_e32 vcc, 1, v17
	s_or_b64 s[56:57], vcc, s[56:57]
	s_waitcnt vmcnt(0) lgkmcnt(0)
	flat_store_byte v[19:20], v21 glc slc
	s_andn2_b64 exec, exec, s[56:57]
	s_cbranch_execnz .LBB4_6341
.LBB4_6342:                             ;   in Loop: Header=BB4_6251 Depth=1
	s_or_b64 exec, exec, s[20:21]
	v_cmp_ne_u32_e64 s[20:21], 0, v2
	s_and_saveexec_b64 s[56:57], s[10:11]
	s_cbranch_execz .LBB4_6361
.LBB4_6343:                             ;   in Loop: Header=BB4_6251 Depth=1
	s_and_saveexec_b64 s[58:59], s[26:27]
	s_xor_b64 s[58:59], exec, s[58:59]
	s_cbranch_execz .LBB4_6358
; %bb.6344:                             ;   in Loop: Header=BB4_6251 Depth=1
	s_and_saveexec_b64 s[60:61], s[12:13]
	s_cbranch_execz .LBB4_6357
; %bb.6345:                             ;   in Loop: Header=BB4_6251 Depth=1
	s_mov_b64 s[72:73], exec
	v_mbcnt_lo_u32_b32 v2, s72, 0
	v_mbcnt_hi_u32_b32 v2, s73, v2
	v_cmp_eq_u32_e32 vcc, 0, v2
	s_waitcnt vmcnt(0) lgkmcnt(0)
	buffer_wbinvl1_vol
	s_and_saveexec_b64 s[62:63], vcc
	s_cbranch_execz .LBB4_6347
; %bb.6346:                             ;   in Loop: Header=BB4_6251 Depth=1
	s_bcnt1_i32_b64 s72, s[72:73]
	v_mov_b32_e32 v2, s72
	v_mov_b32_e32 v3, v11
	ds_add_u64 v0, v[2:3]
	s_trap 2
.LBB4_6347:                             ;   in Loop: Header=BB4_6251 Depth=1
	s_or_b64 exec, exec, s[62:63]
	s_trap 2
	ds_read_b64 v[2:3], v0
	s_waitcnt lgkmcnt(0)
	buffer_load_dword v15, off, s[0:3], s33 offset:60 ; 4-byte Folded Reload
	buffer_load_dword v16, off, s[0:3], s33 offset:64 ; 4-byte Folded Reload
	s_waitcnt vmcnt(1)
	v_add_co_u32_e32 v15, vcc, v15, v0
	s_waitcnt vmcnt(0)
	v_addc_co_u32_e32 v16, vcc, 0, v16, vcc
	buffer_store_dword v15, off, s[0:3], s33 offset:60 ; 4-byte Folded Spill
	s_nop 0
	buffer_store_dword v16, off, s[0:3], s33 offset:64 ; 4-byte Folded Spill
	v_cmp_lt_u64_e32 vcc, v[2:3], v[15:16]
	s_and_saveexec_b64 s[62:63], vcc
	s_cbranch_execz .LBB4_6356
; %bb.6348:                             ;   in Loop: Header=BB4_6251 Depth=1
	s_mov_b32 s92, 0
	s_mov_b64 s[72:73], 0
                                        ; implicit-def: $sgpr74_sgpr75
                                        ; implicit-def: $sgpr76_sgpr77
	s_branch .LBB4_6350
.LBB4_6349:                             ;   in Loop: Header=BB4_6350 Depth=2
	s_or_b64 exec, exec, s[88:89]
	s_and_b64 s[78:79], exec, s[90:91]
	s_or_b64 s[72:73], s[78:79], s[72:73]
	s_andn2_b64 s[74:75], s[74:75], exec
	s_and_b64 s[78:79], s[76:77], exec
	s_or_b64 s[74:75], s[74:75], s[78:79]
	s_andn2_b64 exec, exec, s[72:73]
	s_cbranch_execz .LBB4_6354
.LBB4_6350:                             ;   Parent Loop BB4_6251 Depth=1
                                        ; =>  This Inner Loop Header: Depth=2
	s_add_i32 s92, s92, 1
	s_cmpk_lg_i32 s92, 0x2710
	s_cselect_b64 s[78:79], -1, 0
	s_and_b64 vcc, exec, s[78:79]
	s_cbranch_vccz .LBB4_6352
; %bb.6351:                             ;   in Loop: Header=BB4_6350 Depth=2
	s_mov_b64 s[90:91], -1
	s_or_b64 s[76:77], s[76:77], exec
	s_and_saveexec_b64 s[88:89], s[78:79]
	s_cbranch_execz .LBB4_6349
	s_branch .LBB4_6353
.LBB4_6352:                             ;   in Loop: Header=BB4_6350 Depth=2
	s_trap 2
	ds_read_b64 v[2:3], v0
	s_andn2_b64 s[78:79], s[78:79], exec
	s_mov_b32 s92, 0
	s_waitcnt vmcnt(0) lgkmcnt(0)
	flat_load_dword v2, v[2:3] glc
	s_waitcnt vmcnt(0) lgkmcnt(0)
	buffer_wbinvl1_vol
	v_cmp_eq_u32_e32 vcc, 0, v2
	s_and_b64 s[88:89], vcc, exec
	s_or_b64 s[78:79], s[78:79], s[88:89]
	s_mov_b64 s[90:91], -1
	s_or_b64 s[76:77], s[76:77], exec
	s_and_saveexec_b64 s[88:89], s[78:79]
	s_cbranch_execz .LBB4_6349
.LBB4_6353:                             ;   in Loop: Header=BB4_6350 Depth=2
	s_sleep 1
	s_trap 2
	ds_read_b64 v[2:3], v0
	s_waitcnt lgkmcnt(0)
	buffer_load_dword v15, off, s[0:3], s33 offset:60 ; 4-byte Folded Reload
	buffer_load_dword v16, off, s[0:3], s33 offset:64 ; 4-byte Folded Reload
	s_andn2_b64 s[76:77], s[76:77], exec
	s_waitcnt vmcnt(0)
	v_cmp_ge_u64_e32 vcc, v[2:3], v[15:16]
	s_orn2_b64 s[90:91], vcc, exec
	s_branch .LBB4_6349
.LBB4_6354:                             ;   in Loop: Header=BB4_6251 Depth=1
	s_or_b64 exec, exec, s[72:73]
	s_and_saveexec_b64 s[72:73], s[74:75]
	s_xor_b64 s[72:73], exec, s[72:73]
	s_cbranch_execz .LBB4_6356
; %bb.6355:                             ;   in Loop: Header=BB4_6251 Depth=1
	ds_write_b32 v0, v30
	s_trap 2
.LBB4_6356:                             ;   in Loop: Header=BB4_6251 Depth=1
	s_or_b64 exec, exec, s[62:63]
	;;#ASMSTART
	s_wakeup
	;;#ASMEND
.LBB4_6357:                             ;   in Loop: Header=BB4_6251 Depth=1
	s_or_b64 exec, exec, s[60:61]
.LBB4_6358:                             ;   in Loop: Header=BB4_6251 Depth=1
	s_andn2_saveexec_b64 s[58:59], s[58:59]
	s_cbranch_execz .LBB4_6360
; %bb.6359:                             ;   in Loop: Header=BB4_6251 Depth=1
	s_waitcnt vmcnt(0) lgkmcnt(0)
	buffer_wbinvl1_vol
	s_barrier
.LBB4_6360:                             ;   in Loop: Header=BB4_6251 Depth=1
	s_or_b64 exec, exec, s[58:59]
.LBB4_6361:                             ;   in Loop: Header=BB4_6251 Depth=1
	s_or_b64 exec, exec, s[56:57]
	v_and_b32_e32 v2, 16, v28
	v_cmp_ne_u32_e32 vcc, 0, v2
	s_and_b64 s[56:57], vcc, s[20:21]
	s_and_saveexec_b64 s[20:21], s[56:57]
	s_cbranch_execz .LBB4_6363
; %bb.6362:                             ;   in Loop: Header=BB4_6251 Depth=1
	s_waitcnt vmcnt(0) lgkmcnt(0)
	buffer_wbinvl1_vol
.LBB4_6363:                             ;   in Loop: Header=BB4_6251 Depth=1
	s_or_b64 exec, exec, s[20:21]
	v_cmp_ne_u32_e32 vcc, 0, v2
	s_and_saveexec_b64 s[20:21], vcc
	s_cbranch_execz .LBB4_6367
; %bb.6364:                             ;   in Loop: Header=BB4_6251 Depth=1
	s_and_saveexec_b64 s[56:57], s[18:19]
	s_cbranch_execz .LBB4_6366
; %bb.6365:                             ;   in Loop: Header=BB4_6251 Depth=1
	flat_store_dword v[40:41], v30
.LBB4_6366:                             ;   in Loop: Header=BB4_6251 Depth=1
	s_or_b64 exec, exec, s[56:57]
	v_add_co_u32_e32 v8, vcc, 1, v8
	v_addc_co_u32_e32 v9, vcc, 0, v9, vcc
	flat_store_dwordx2 v[32:33], v[8:9]
.LBB4_6367:                             ;   in Loop: Header=BB4_6251 Depth=1
	s_or_b64 exec, exec, s[20:21]
	v_mov_b32_e32 v2, v10
.LBB4_6368:                             ;   in Loop: Header=BB4_6251 Depth=1
	s_or_b64 exec, exec, s[46:47]
	s_and_saveexec_b64 s[46:47], s[44:45]
	s_cbranch_execz .LBB4_6250
; %bb.6369:                             ;   in Loop: Header=BB4_6251 Depth=1
	v_sub_u32_e32 v2, v14, v2
	v_min_i32_e32 v14, v10, v2
	v_and_b32_e32 v2, 8, v28
	v_cmp_ne_u32_e32 vcc, 0, v2
	s_and_saveexec_b64 s[44:45], vcc
	s_cbranch_execz .LBB4_6391
; %bb.6370:                             ;   in Loop: Header=BB4_6251 Depth=1
	v_add_co_u32_e32 v2, vcc, 8, v38
	v_addc_co_u32_e32 v3, vcc, 0, v39, vcc
	s_waitcnt lgkmcnt(0)
	v_add_co_u32_e32 v16, vcc, 1, v8
	v_addc_co_u32_e32 v17, vcc, 0, v9, vcc
	v_cmp_lt_u64_e32 vcc, v[2:3], v[16:17]
	s_and_saveexec_b64 s[56:57], vcc
	s_cbranch_execz .LBB4_6382
; %bb.6371:                             ;   in Loop: Header=BB4_6251 Depth=1
	v_and_b32_e32 v2, 64, v28
	s_mov_b32 s92, 0
	v_cmp_eq_u32_e32 vcc, 0, v2
	s_mov_b64 s[58:59], 0
                                        ; implicit-def: $sgpr60_sgpr61
                                        ; implicit-def: $sgpr62_sgpr63
                                        ; implicit-def: $sgpr72_sgpr73
	s_branch .LBB4_6375
.LBB4_6372:                             ;   in Loop: Header=BB4_6375 Depth=2
	s_waitcnt vmcnt(0) lgkmcnt(0)
	v_add_co_u32_e64 v9, s[20:21], 8, v38
	v_addc_co_u32_e64 v10, s[20:21], 0, v39, s[20:21]
	v_cmp_ge_u64_e64 s[20:21], v[9:10], v[16:17]
	s_or_b64 s[78:79], s[78:79], exec
	s_orn2_b64 s[76:77], s[20:21], exec
.LBB4_6373:                             ;   in Loop: Header=BB4_6375 Depth=2
	s_or_b64 exec, exec, s[90:91]
	s_andn2_b64 s[20:21], s[72:73], exec
	s_and_b64 s[72:73], s[78:79], exec
	s_or_b64 s[72:73], s[20:21], s[72:73]
	s_andn2_b64 s[20:21], s[62:63], exec
	s_and_b64 s[62:63], s[76:77], exec
	s_or_b64 s[62:63], s[20:21], s[62:63]
.LBB4_6374:                             ;   in Loop: Header=BB4_6375 Depth=2
	s_or_b64 exec, exec, s[74:75]
	s_and_b64 s[20:21], exec, s[62:63]
	s_or_b64 s[58:59], s[20:21], s[58:59]
	s_andn2_b64 s[20:21], s[60:61], exec
	s_and_b64 s[60:61], s[72:73], exec
	s_or_b64 s[60:61], s[20:21], s[60:61]
	s_andn2_b64 exec, exec, s[58:59]
	s_cbranch_execz .LBB4_6379
.LBB4_6375:                             ;   Parent Loop BB4_6251 Depth=1
                                        ; =>  This Inner Loop Header: Depth=2
	s_sleep 1
	s_waitcnt vmcnt(0) lgkmcnt(0)
	flat_load_dwordx2 v[38:39], v[32:33] glc
	s_or_b64 s[72:73], s[72:73], exec
	s_or_b64 s[62:63], s[62:63], exec
                                        ; implicit-def: $vgpr2
	s_and_saveexec_b64 s[74:75], vcc
	s_cbranch_execz .LBB4_6374
; %bb.6376:                             ;   in Loop: Header=BB4_6375 Depth=2
	s_cmpk_lt_i32 s92, 0x270f
	s_cselect_b64 s[88:89], -1, 0
	s_cmpk_gt_i32 s92, 0x270e
	s_mov_b64 s[76:77], -1
	s_cbranch_scc0 .LBB4_6378
; %bb.6377:                             ;   in Loop: Header=BB4_6375 Depth=2
	s_trap 2
	ds_read_b64 v[2:3], v0
	s_andn2_b64 s[88:89], s[88:89], exec
	s_mov_b32 s92, 0
	s_mov_b64 s[78:79], 0
	s_waitcnt vmcnt(0) lgkmcnt(0)
	flat_load_dword v2, v[2:3] glc
	s_waitcnt vmcnt(0) lgkmcnt(0)
	buffer_wbinvl1_vol
	v_cmp_eq_u32_e64 s[20:21], 0, v2
	s_and_b64 s[20:21], s[20:21], exec
	s_or_b64 s[88:89], s[88:89], s[20:21]
	s_and_saveexec_b64 s[90:91], s[88:89]
	s_cbranch_execz .LBB4_6373
	s_branch .LBB4_6372
.LBB4_6378:                             ;   in Loop: Header=BB4_6375 Depth=2
	s_add_i32 s92, s92, 1
	s_mov_b64 s[78:79], -1
                                        ; implicit-def: $vgpr2
	s_and_saveexec_b64 s[90:91], s[88:89]
	s_cbranch_execz .LBB4_6373
	s_branch .LBB4_6372
.LBB4_6379:                             ;   in Loop: Header=BB4_6251 Depth=1
	s_or_b64 exec, exec, s[58:59]
	s_xor_b64 s[20:21], s[60:61], -1
	s_and_saveexec_b64 s[58:59], s[20:21]
	s_xor_b64 s[20:21], exec, s[58:59]
	s_cbranch_execz .LBB4_6381
; %bb.6380:                             ;   in Loop: Header=BB4_6251 Depth=1
	v_or_b32_e32 v28, 64, v28
	s_waitcnt lgkmcnt(0)
	ds_write_b32 v0, v2
	s_trap 2
.LBB4_6381:                             ;   in Loop: Header=BB4_6251 Depth=1
	s_or_b64 exec, exec, s[20:21]
.LBB4_6382:                             ;   in Loop: Header=BB4_6251 Depth=1
	s_or_b64 exec, exec, s[56:57]
	v_and_b32_e32 v2, 0x100, v28
	v_cmp_ne_u32_e32 vcc, 0, v2
	v_and_b32_e32 v10, 7, v8
	s_mov_b64 s[20:21], -1
	;;#ASMSTART
	s_wakeup
	;;#ASMEND
                                        ; implicit-def: $vgpr8_vgpr9
	s_and_saveexec_b64 s[56:57], vcc
	s_cbranch_execz .LBB4_6386
; %bb.6383:                             ;   in Loop: Header=BB4_6251 Depth=1
	v_mad_u64_u32 v[2:3], s[20:21], v10, 24, v[6:7]
	v_ashrrev_i32_e32 v15, 31, v14
	flat_load_dword v8, v[2:3]
	s_nop 0
	flat_store_dwordx2 v[2:3], v[14:15] offset:8
	s_waitcnt vmcnt(0) lgkmcnt(0)
	v_cmp_ne_u32_e32 vcc, 1, v8
	v_cmp_eq_u32_e64 s[20:21], 1, v8
                                        ; implicit-def: $vgpr8_vgpr9
	s_and_saveexec_b64 s[58:59], s[20:21]
	s_cbranch_execz .LBB4_6385
; %bb.6384:                             ;   in Loop: Header=BB4_6251 Depth=1
	flat_load_dword v8, v[2:3] offset:4 glc
	s_waitcnt vmcnt(0) lgkmcnt(0)
	v_ashrrev_i32_e32 v9, 31, v8
.LBB4_6385:                             ;   in Loop: Header=BB4_6251 Depth=1
	s_or_b64 exec, exec, s[58:59]
	s_orn2_b64 s[20:21], vcc, exec
.LBB4_6386:                             ;   in Loop: Header=BB4_6251 Depth=1
	s_or_b64 exec, exec, s[56:57]
	s_and_saveexec_b64 s[56:57], s[20:21]
	s_cbranch_execz .LBB4_6388
; %bb.6387:                             ;   in Loop: Header=BB4_6251 Depth=1
	buffer_load_dword v2, off, s[0:3], s33 offset:132 ; 4-byte Folded Reload
	s_waitcnt vmcnt(0)
	v_mad_i64_i32 v[8:9], s[20:21], v10, v2, 0
.LBB4_6388:                             ;   in Loop: Header=BB4_6251 Depth=1
	s_or_b64 exec, exec, s[56:57]
	buffer_load_dword v2, off, s[0:3], s33 offset:92 ; 4-byte Folded Reload
	buffer_load_dword v3, off, s[0:3], s33 offset:96 ; 4-byte Folded Reload
	s_waitcnt vmcnt(0)
	v_add_co_u32_e32 v2, vcc, v2, v8
	v_addc_co_u32_e32 v3, vcc, v3, v9, vcc
	ds_write_b64 v0, v[2:3] offset:784
	v_and_b32_e32 v2, 0x2000, v28
	v_cmp_ne_u32_e32 vcc, 0, v2
	s_and_saveexec_b64 s[20:21], vcc
	s_cbranch_execz .LBB4_6390
; %bb.6389:                             ;   in Loop: Header=BB4_6251 Depth=1
	ds_read_b64 v[2:3], v0 offset:872
	s_waitcnt lgkmcnt(0)
	v_add_co_u32_e32 v2, vcc, 1, v2
	v_addc_co_u32_e32 v3, vcc, 0, v3, vcc
	ds_write_b64 v0, v[2:3] offset:872
.LBB4_6390:                             ;   in Loop: Header=BB4_6251 Depth=1
	s_or_b64 exec, exec, s[20:21]
	v_mov_b32_e32 v8, v16
	v_mov_b32_e32 v9, v17
.LBB4_6391:                             ;   in Loop: Header=BB4_6251 Depth=1
	s_or_b64 exec, exec, s[44:45]
	s_and_saveexec_b64 s[20:21], s[10:11]
	s_cbranch_execz .LBB4_6410
; %bb.6392:                             ;   in Loop: Header=BB4_6251 Depth=1
	s_and_saveexec_b64 s[44:45], s[26:27]
	s_xor_b64 s[44:45], exec, s[44:45]
	s_cbranch_execz .LBB4_6407
; %bb.6393:                             ;   in Loop: Header=BB4_6251 Depth=1
	s_and_saveexec_b64 s[56:57], s[12:13]
	s_cbranch_execz .LBB4_6406
; %bb.6394:                             ;   in Loop: Header=BB4_6251 Depth=1
	s_mov_b64 s[60:61], exec
	v_mbcnt_lo_u32_b32 v2, s60, 0
	v_mbcnt_hi_u32_b32 v2, s61, v2
	v_cmp_eq_u32_e32 vcc, 0, v2
	s_waitcnt vmcnt(0) lgkmcnt(0)
	buffer_wbinvl1_vol
	s_and_saveexec_b64 s[58:59], vcc
	s_cbranch_execz .LBB4_6396
; %bb.6395:                             ;   in Loop: Header=BB4_6251 Depth=1
	s_bcnt1_i32_b64 s60, s[60:61]
	v_mov_b32_e32 v10, s60
	ds_add_u64 v0, v[10:11]
	s_trap 2
.LBB4_6396:                             ;   in Loop: Header=BB4_6251 Depth=1
	s_or_b64 exec, exec, s[58:59]
	s_trap 2
	ds_read_b64 v[2:3], v0
	s_waitcnt lgkmcnt(0)
	buffer_load_dword v15, off, s[0:3], s33 offset:60 ; 4-byte Folded Reload
	buffer_load_dword v16, off, s[0:3], s33 offset:64 ; 4-byte Folded Reload
	s_waitcnt vmcnt(1)
	v_add_co_u32_e32 v15, vcc, v15, v0
	s_waitcnt vmcnt(0)
	v_addc_co_u32_e32 v16, vcc, 0, v16, vcc
	buffer_store_dword v15, off, s[0:3], s33 offset:60 ; 4-byte Folded Spill
	s_nop 0
	buffer_store_dword v16, off, s[0:3], s33 offset:64 ; 4-byte Folded Spill
	v_cmp_lt_u64_e32 vcc, v[2:3], v[15:16]
	s_and_saveexec_b64 s[58:59], vcc
	s_cbranch_execz .LBB4_6405
; %bb.6397:                             ;   in Loop: Header=BB4_6251 Depth=1
	s_mov_b32 s88, 0
	s_mov_b64 s[60:61], 0
                                        ; implicit-def: $sgpr62_sgpr63
                                        ; implicit-def: $sgpr72_sgpr73
	s_branch .LBB4_6399
.LBB4_6398:                             ;   in Loop: Header=BB4_6399 Depth=2
	s_or_b64 exec, exec, s[76:77]
	s_and_b64 s[74:75], exec, s[78:79]
	s_or_b64 s[60:61], s[74:75], s[60:61]
	s_andn2_b64 s[62:63], s[62:63], exec
	s_and_b64 s[74:75], s[72:73], exec
	s_or_b64 s[62:63], s[62:63], s[74:75]
	s_andn2_b64 exec, exec, s[60:61]
	s_cbranch_execz .LBB4_6403
.LBB4_6399:                             ;   Parent Loop BB4_6251 Depth=1
                                        ; =>  This Inner Loop Header: Depth=2
	s_add_i32 s88, s88, 1
	s_cmpk_lg_i32 s88, 0x2710
	s_cselect_b64 s[74:75], -1, 0
	s_and_b64 vcc, exec, s[74:75]
	s_cbranch_vccz .LBB4_6401
; %bb.6400:                             ;   in Loop: Header=BB4_6399 Depth=2
	s_mov_b64 s[78:79], -1
	s_or_b64 s[72:73], s[72:73], exec
	s_and_saveexec_b64 s[76:77], s[74:75]
	s_cbranch_execz .LBB4_6398
	s_branch .LBB4_6402
.LBB4_6401:                             ;   in Loop: Header=BB4_6399 Depth=2
	s_trap 2
	ds_read_b64 v[2:3], v0
	s_andn2_b64 s[74:75], s[74:75], exec
	s_mov_b32 s88, 0
	s_waitcnt vmcnt(0) lgkmcnt(0)
	flat_load_dword v2, v[2:3] glc
	s_waitcnt vmcnt(0) lgkmcnt(0)
	buffer_wbinvl1_vol
	v_cmp_eq_u32_e32 vcc, 0, v2
	s_and_b64 s[76:77], vcc, exec
	s_or_b64 s[74:75], s[74:75], s[76:77]
	s_mov_b64 s[78:79], -1
	s_or_b64 s[72:73], s[72:73], exec
	s_and_saveexec_b64 s[76:77], s[74:75]
	s_cbranch_execz .LBB4_6398
.LBB4_6402:                             ;   in Loop: Header=BB4_6399 Depth=2
	s_sleep 1
	s_trap 2
	ds_read_b64 v[2:3], v0
	s_waitcnt lgkmcnt(0)
	buffer_load_dword v15, off, s[0:3], s33 offset:60 ; 4-byte Folded Reload
	buffer_load_dword v16, off, s[0:3], s33 offset:64 ; 4-byte Folded Reload
	s_andn2_b64 s[72:73], s[72:73], exec
	s_waitcnt vmcnt(0)
	v_cmp_ge_u64_e32 vcc, v[2:3], v[15:16]
	s_orn2_b64 s[78:79], vcc, exec
	s_branch .LBB4_6398
.LBB4_6403:                             ;   in Loop: Header=BB4_6251 Depth=1
	s_or_b64 exec, exec, s[60:61]
	s_and_saveexec_b64 s[60:61], s[62:63]
	s_xor_b64 s[60:61], exec, s[60:61]
	s_cbranch_execz .LBB4_6405
; %bb.6404:                             ;   in Loop: Header=BB4_6251 Depth=1
	ds_write_b32 v0, v30
	s_trap 2
.LBB4_6405:                             ;   in Loop: Header=BB4_6251 Depth=1
	s_or_b64 exec, exec, s[58:59]
	;;#ASMSTART
	s_wakeup
	;;#ASMEND
.LBB4_6406:                             ;   in Loop: Header=BB4_6251 Depth=1
	s_or_b64 exec, exec, s[56:57]
.LBB4_6407:                             ;   in Loop: Header=BB4_6251 Depth=1
	s_andn2_saveexec_b64 s[44:45], s[44:45]
	s_cbranch_execz .LBB4_6409
; %bb.6408:                             ;   in Loop: Header=BB4_6251 Depth=1
	s_waitcnt vmcnt(0) lgkmcnt(0)
	buffer_wbinvl1_vol
	s_barrier
.LBB4_6409:                             ;   in Loop: Header=BB4_6251 Depth=1
	s_or_b64 exec, exec, s[44:45]
.LBB4_6410:                             ;   in Loop: Header=BB4_6251 Depth=1
	s_or_b64 exec, exec, s[20:21]
	s_trap 2
	ds_read_b32 v3, v0
	v_cmp_lt_i32_e32 vcc, 0, v14
	v_and_b32_e32 v2, 16, v28
	s_waitcnt lgkmcnt(0)
	v_readfirstlane_b32 s20, v3
	s_cmp_eq_u32 s20, 0
	s_cselect_b64 s[20:21], -1, 0
	s_and_b64 s[20:21], vcc, s[20:21]
	v_cmp_ne_u32_e32 vcc, 0, v2
	s_and_b64 s[44:45], vcc, s[20:21]
	s_and_saveexec_b64 s[20:21], s[44:45]
	s_cbranch_execz .LBB4_6412
; %bb.6411:                             ;   in Loop: Header=BB4_6251 Depth=1
	s_waitcnt vmcnt(0)
	buffer_wbinvl1_vol
.LBB4_6412:                             ;   in Loop: Header=BB4_6251 Depth=1
	s_or_b64 exec, exec, s[20:21]
	v_cmp_ne_u32_e32 vcc, 0, v2
	s_and_saveexec_b64 s[20:21], vcc
	s_cbranch_execz .LBB4_6249
; %bb.6413:                             ;   in Loop: Header=BB4_6251 Depth=1
	s_and_saveexec_b64 s[44:45], s[18:19]
	s_cbranch_execz .LBB4_6248
; %bb.6414:                             ;   in Loop: Header=BB4_6251 Depth=1
	flat_store_dword v[40:41], v30
	s_branch .LBB4_6248
.LBB4_6415:
	s_or_b64 exec, exec, s[28:29]
.LBB4_6416:
	s_or_b64 exec, exec, s[24:25]
.LBB4_6417:
	s_or_b64 exec, exec, s[22:23]
	v_and_b32_e32 v0, 0x800, v28
	v_cmp_eq_u32_e32 vcc, 0, v0
	s_and_saveexec_b64 s[6:7], vcc
	s_cbranch_execz .LBB4_6450
; %bb.6418:
	v_and_b32_e32 v0, 48, v28
	v_cmp_ne_u32_e32 vcc, 0, v0
	s_and_saveexec_b64 s[4:5], vcc
	s_cbranch_execz .LBB4_6420
; %bb.6419:
	buffer_load_dword v0, off, s[0:3], s33 offset:136 ; 4-byte Folded Reload
	buffer_load_dword v1, off, s[0:3], s33 offset:140 ; 4-byte Folded Reload
	s_waitcnt vmcnt(0) lgkmcnt(0)
	flat_store_dwordx2 v[0:1], v[8:9] offset:104
.LBB4_6420:
	s_or_b64 exec, exec, s[4:5]
	s_movk_i32 s4, 0x88
	v_and_b32_e32 v0, 0x88, v28
	v_cmp_eq_u32_e32 vcc, s4, v0
	s_and_saveexec_b64 s[10:11], vcc
	s_cbranch_execz .LBB4_6430
; %bb.6421:
	s_waitcnt vmcnt(0) lgkmcnt(0)
	v_add_u32_e32 v0, -1, v8
	v_and_b32_e32 v0, 7, v0
	v_mad_u64_u32 v[4:5], s[4:5], v0, 24, v[6:7]
	v_and_b32_e32 v2, 64, v28
	v_cmp_eq_u32_e64 s[4:5], 0, v2
	flat_load_dwordx2 v[0:1], v[4:5] offset:8 glc
	s_waitcnt vmcnt(0)
	s_mov_b32 s22, 0
	s_waitcnt lgkmcnt(0)
	v_cmp_ne_u64_e32 vcc, -1, v[0:1]
	s_and_b64 s[4:5], vcc, s[4:5]
	s_and_b64 exec, exec, s[4:5]
	s_cbranch_execz .LBB4_6430
; %bb.6422:
	s_mov_b64 s[4:5], 0
                                        ; implicit-def: $sgpr12_sgpr13
                                        ; implicit-def: $sgpr14_sgpr15
	s_branch .LBB4_6425
.LBB4_6423:                             ;   in Loop: Header=BB4_6425 Depth=1
	flat_load_dwordx2 v[1:2], v[4:5] offset:8 glc
	s_waitcnt vmcnt(0)
	s_andn2_b64 s[14:15], s[14:15], exec
	s_waitcnt lgkmcnt(0)
	v_cmp_eq_u64_e32 vcc, -1, v[1:2]
	s_orn2_b64 s[18:19], vcc, exec
.LBB4_6424:                             ;   in Loop: Header=BB4_6425 Depth=1
	s_or_b64 exec, exec, s[20:21]
	s_and_b64 s[16:17], exec, s[18:19]
	s_or_b64 s[4:5], s[16:17], s[4:5]
	s_andn2_b64 s[12:13], s[12:13], exec
	s_and_b64 s[16:17], s[14:15], exec
	s_or_b64 s[12:13], s[12:13], s[16:17]
	s_andn2_b64 exec, exec, s[4:5]
	s_cbranch_execz .LBB4_6428
.LBB4_6425:                             ; =>This Inner Loop Header: Depth=1
	s_cmpk_lt_i32 s22, 0x270f
	s_cselect_b64 s[16:17], -1, 0
	s_and_b64 vcc, exec, s[16:17]
	s_cbranch_vccnz .LBB4_6427
; %bb.6426:                             ;   in Loop: Header=BB4_6425 Depth=1
	s_trap 2
	ds_read_b64 v[0:1], v0
	s_andn2_b64 s[16:17], s[16:17], exec
	s_mov_b32 s22, 0
	s_waitcnt lgkmcnt(0)
	flat_load_dword v0, v[0:1] glc
	s_waitcnt vmcnt(0) lgkmcnt(0)
	buffer_wbinvl1_vol
	v_cmp_eq_u32_e32 vcc, 0, v0
	s_and_b64 s[18:19], vcc, exec
	s_or_b64 s[16:17], s[16:17], s[18:19]
	s_mov_b64 s[18:19], -1
	s_or_b64 s[14:15], s[14:15], exec
	s_and_saveexec_b64 s[20:21], s[16:17]
	s_cbranch_execz .LBB4_6424
	s_branch .LBB4_6423
.LBB4_6427:                             ;   in Loop: Header=BB4_6425 Depth=1
	s_add_i32 s22, s22, 1
                                        ; implicit-def: $vgpr0
	s_mov_b64 s[18:19], -1
	s_or_b64 s[14:15], s[14:15], exec
	s_and_saveexec_b64 s[20:21], s[16:17]
	s_cbranch_execz .LBB4_6424
	s_branch .LBB4_6423
.LBB4_6428:
	s_or_b64 exec, exec, s[4:5]
	s_and_saveexec_b64 s[4:5], s[12:13]
	s_xor_b64 s[4:5], exec, s[4:5]
	s_cbranch_execz .LBB4_6430
; %bb.6429:
	ds_write_b32 v0, v0
	s_trap 2
.LBB4_6430:
	s_or_b64 exec, exec, s[10:11]
	v_and_b32_e32 v0, 0x2000, v28
	v_cmp_ne_u32_e32 vcc, 0, v0
	s_and_saveexec_b64 s[4:5], vcc
	s_cbranch_execz .LBB4_6432
; %bb.6431:
	s_trap 2
	ds_read_b64 v[0:1], v0
	buffer_load_dword v2, off, s[0:3], s33 offset:188 ; 4-byte Folded Reload
	buffer_load_dword v3, off, s[0:3], s33 offset:192 ; 4-byte Folded Reload
	s_waitcnt vmcnt(0) lgkmcnt(0)
	flat_store_dwordx2 v[2:3], v[0:1] offset:16
.LBB4_6432:
	s_or_b64 exec, exec, s[4:5]
	s_waitcnt vmcnt(0)
	v_cmp_ne_u32_e32 vcc, 64, v36
	s_and_b64 exec, exec, vcc
	s_cbranch_execz .LBB4_6450
; %bb.6433:
	buffer_load_dword v0, off, s[0:3], s33 offset:160 ; 4-byte Folded Reload
	s_waitcnt vmcnt(0)
	v_cmp_ne_u32_sdwa s[4:5], v36, v0 src0_sel:DWORD src1_sel:WORD_0
	s_and_saveexec_b64 s[10:11], s[4:5]
	s_xor_b64 s[4:5], exec, s[10:11]
	s_cbranch_execz .LBB4_6448
; %bb.6434:
	v_and_b32_e32 v0, 63, v31
	v_cmp_eq_u32_e32 vcc, 0, v0
	s_and_saveexec_b64 s[10:11], vcc
	s_cbranch_execz .LBB4_6447
; %bb.6435:
	s_mov_b64 s[14:15], exec
	v_mbcnt_lo_u32_b32 v0, s14, 0
	v_mbcnt_hi_u32_b32 v0, s15, v0
	v_cmp_eq_u32_e32 vcc, 0, v0
	s_waitcnt lgkmcnt(0)
	buffer_wbinvl1_vol
	s_and_saveexec_b64 s[12:13], vcc
	s_cbranch_execz .LBB4_6437
; %bb.6436:
	s_bcnt1_i32_b64 s14, s[14:15]
	v_mov_b32_e32 v0, s14
	v_mov_b32_e32 v1, 0
	ds_add_u64 v0, v[0:1]
	s_trap 2
.LBB4_6437:
	s_or_b64 exec, exec, s[12:13]
	v_lshrrev_b32_e32 v0, 6, v36
	s_trap 2
	ds_read_b64 v[2:3], v0
	s_waitcnt lgkmcnt(0)
	buffer_load_dword v4, off, s[0:3], s33 offset:60 ; 4-byte Folded Reload
	buffer_load_dword v5, off, s[0:3], s33 offset:64 ; 4-byte Folded Reload
	s_waitcnt vmcnt(1)
	v_add_co_u32_e32 v0, vcc, v4, v0
	s_waitcnt vmcnt(0)
	v_addc_co_u32_e32 v1, vcc, 0, v5, vcc
	v_cmp_lt_u64_e32 vcc, v[2:3], v[0:1]
	s_and_saveexec_b64 s[12:13], vcc
	s_cbranch_execz .LBB4_6446
; %bb.6438:
	s_mov_b32 s26, 0
	s_mov_b64 s[14:15], 0
                                        ; implicit-def: $sgpr16_sgpr17
                                        ; implicit-def: $sgpr18_sgpr19
	s_branch .LBB4_6440
.LBB4_6439:                             ;   in Loop: Header=BB4_6440 Depth=1
	s_or_b64 exec, exec, s[22:23]
	s_and_b64 s[20:21], exec, s[24:25]
	s_or_b64 s[14:15], s[20:21], s[14:15]
	s_andn2_b64 s[16:17], s[16:17], exec
	s_and_b64 s[20:21], s[18:19], exec
	s_or_b64 s[16:17], s[16:17], s[20:21]
	s_andn2_b64 exec, exec, s[14:15]
	s_cbranch_execz .LBB4_6444
.LBB4_6440:                             ; =>This Inner Loop Header: Depth=1
	s_add_i32 s26, s26, 1
	s_cmpk_lg_i32 s26, 0x2710
	s_cselect_b64 s[20:21], -1, 0
	s_and_b64 vcc, exec, s[20:21]
	s_cbranch_vccz .LBB4_6442
; %bb.6441:                             ;   in Loop: Header=BB4_6440 Depth=1
	s_mov_b64 s[24:25], -1
	s_or_b64 s[18:19], s[18:19], exec
	s_and_saveexec_b64 s[22:23], s[20:21]
	s_cbranch_execz .LBB4_6439
	s_branch .LBB4_6443
.LBB4_6442:                             ;   in Loop: Header=BB4_6440 Depth=1
	s_trap 2
	ds_read_b64 v[2:3], v0
	s_andn2_b64 s[20:21], s[20:21], exec
	s_mov_b32 s26, 0
	s_waitcnt lgkmcnt(0)
	flat_load_dword v2, v[2:3] glc
	s_waitcnt vmcnt(0) lgkmcnt(0)
	buffer_wbinvl1_vol
	v_cmp_eq_u32_e32 vcc, 0, v2
	s_and_b64 s[22:23], vcc, exec
	s_or_b64 s[20:21], s[20:21], s[22:23]
	s_mov_b64 s[24:25], -1
	s_or_b64 s[18:19], s[18:19], exec
	s_and_saveexec_b64 s[22:23], s[20:21]
	s_cbranch_execz .LBB4_6439
.LBB4_6443:                             ;   in Loop: Header=BB4_6440 Depth=1
	s_sleep 1
	s_trap 2
	ds_read_b64 v[2:3], v0
	s_waitcnt lgkmcnt(0)
	s_andn2_b64 s[18:19], s[18:19], exec
	v_cmp_ge_u64_e32 vcc, v[2:3], v[0:1]
	s_orn2_b64 s[24:25], vcc, exec
	s_branch .LBB4_6439
.LBB4_6444:
	s_or_b64 exec, exec, s[14:15]
	s_and_saveexec_b64 s[14:15], s[16:17]
	s_xor_b64 s[14:15], exec, s[14:15]
	s_cbranch_execz .LBB4_6446
; %bb.6445:
	v_mov_b32_e32 v0, 1
	ds_write_b32 v0, v0
	s_trap 2
.LBB4_6446:
	s_or_b64 exec, exec, s[12:13]
	;;#ASMSTART
	s_wakeup
	;;#ASMEND
.LBB4_6447:
	s_or_b64 exec, exec, s[10:11]
.LBB4_6448:
	s_andn2_saveexec_b64 s[4:5], s[4:5]
	s_cbranch_execz .LBB4_6450
; %bb.6449:
	s_waitcnt lgkmcnt(0)
	buffer_wbinvl1_vol
	s_barrier
.LBB4_6450:
	s_or_b64 exec, exec, s[6:7]
.LBB4_6451:
	s_andn2_saveexec_b64 s[26:27], s[40:41]
	s_cbranch_execz .LBB4_6453
; %bb.6452:
	s_getpc_b64 s[4:5]
	s_add_u32 s4, s4, __PRETTY_FUNCTION__._ZN10PrimitivesI14__hip_fp8_e4m310FuncMinMaxIS0_E12FanSymmetricILi1EELi0E11ProtoSimpleILi1ELi1ELi0ELi2ELi0ELi0EELi0ELb0ELi0ELi0ELi0EEC2EiiPKiS9_PKvPvmhhhP15ncclDevWorkCollP14ncclDevWorkP2pii@rel32@lo+4
	s_addc_u32 s5, s5, __PRETTY_FUNCTION__._ZN10PrimitivesI14__hip_fp8_e4m310FuncMinMaxIS0_E12FanSymmetricILi1EELi0E11ProtoSimpleILi1ELi1ELi0ELi2ELi0ELi0EELi0ELb0ELi0ELi0ELi0EEC2EiiPKiS9_PKvPvmhhhP15ncclDevWorkCollP14ncclDevWorkP2pii@rel32@hi+12
	s_getpc_b64 s[6:7]
	s_add_u32 s6, s6, __assert_fail@rel32@lo+4
	s_addc_u32 s7, s7, __assert_fail@rel32@hi+12
	v_mov_b32_e32 v0, s4
	v_mov_b32_e32 v1, s5
	s_swappc_b64 s[30:31], s[6:7]
	; divergent unreachable
.LBB4_6453:
	s_or_b64 exec, exec, s[26:27]
	buffer_load_dword v62, off, s[0:3], s33 ; 4-byte Folded Reload
	buffer_load_dword v61, off, s[0:3], s33 offset:4 ; 4-byte Folded Reload
	buffer_load_dword v60, off, s[0:3], s33 offset:8 ; 4-byte Folded Reload
	;; [unrolled: 1-line block ×14, first 2 shown]
	v_readlane_b32 s30, v63, 18
	v_readlane_b32 s31, v63, 19
	;; [unrolled: 1-line block ×20, first 2 shown]
	s_mov_b32 s32, s33
	v_readlane_b32 s4, v63, 20
	s_or_saveexec_b64 s[6:7], -1
	buffer_load_dword v63, off, s[0:3], s33 offset:228 ; 4-byte Folded Reload
	s_mov_b64 exec, s[6:7]
	s_mov_b32 s33, s4
	s_waitcnt vmcnt(0) lgkmcnt(0)
	s_setpc_b64 s[30:31]
.Lfunc_end4:
	.size	_ZN12_GLOBAL__N_17runRingI14__hip_fp8_e4m310FuncMinMaxIS1_E11ProtoSimpleILi1ELi1ELi0ELi2ELi0ELi0EELi0ELi2ELi0EEEviiP15ncclDevWorkColl, .Lfunc_end4-_ZN12_GLOBAL__N_17runRingI14__hip_fp8_e4m310FuncMinMaxIS1_E11ProtoSimpleILi1ELi1ELi0ELi2ELi0ELi0EELi0ELi2ELi0EEEviiP15ncclDevWorkColl
                                        ; -- End function
	.set .L_ZN12_GLOBAL__N_17runRingI14__hip_fp8_e4m310FuncMinMaxIS1_E11ProtoSimpleILi1ELi1ELi0ELi2ELi0ELi0EELi0ELi2ELi0EEEviiP15ncclDevWorkColl.num_vgpr, max(64, .L__assert_fail.num_vgpr)
	.set .L_ZN12_GLOBAL__N_17runRingI14__hip_fp8_e4m310FuncMinMaxIS1_E11ProtoSimpleILi1ELi1ELi0ELi2ELi0ELi0EELi0ELi2ELi0EEEviiP15ncclDevWorkColl.num_agpr, max(0, .L__assert_fail.num_agpr)
	.set .L_ZN12_GLOBAL__N_17runRingI14__hip_fp8_e4m310FuncMinMaxIS1_E11ProtoSimpleILi1ELi1ELi0ELi2ELi0ELi0EELi0ELi2ELi0EEEviiP15ncclDevWorkColl.numbered_sgpr, max(96, .L__assert_fail.numbered_sgpr)
	.set .L_ZN12_GLOBAL__N_17runRingI14__hip_fp8_e4m310FuncMinMaxIS1_E11ProtoSimpleILi1ELi1ELi0ELi2ELi0ELi0EELi0ELi2ELi0EEEviiP15ncclDevWorkColl.num_named_barrier, max(0, .L__assert_fail.num_named_barrier)
	.set .L_ZN12_GLOBAL__N_17runRingI14__hip_fp8_e4m310FuncMinMaxIS1_E11ProtoSimpleILi1ELi1ELi0ELi2ELi0ELi0EELi0ELi2ELi0EEEviiP15ncclDevWorkColl.private_seg_size, 240+max(.L__assert_fail.private_seg_size)
	.set .L_ZN12_GLOBAL__N_17runRingI14__hip_fp8_e4m310FuncMinMaxIS1_E11ProtoSimpleILi1ELi1ELi0ELi2ELi0ELi0EELi0ELi2ELi0EEEviiP15ncclDevWorkColl.uses_vcc, or(1, .L__assert_fail.uses_vcc)
	.set .L_ZN12_GLOBAL__N_17runRingI14__hip_fp8_e4m310FuncMinMaxIS1_E11ProtoSimpleILi1ELi1ELi0ELi2ELi0ELi0EELi0ELi2ELi0EEEviiP15ncclDevWorkColl.uses_flat_scratch, or(0, .L__assert_fail.uses_flat_scratch)
	.set .L_ZN12_GLOBAL__N_17runRingI14__hip_fp8_e4m310FuncMinMaxIS1_E11ProtoSimpleILi1ELi1ELi0ELi2ELi0ELi0EELi0ELi2ELi0EEEviiP15ncclDevWorkColl.has_dyn_sized_stack, or(0, .L__assert_fail.has_dyn_sized_stack)
	.set .L_ZN12_GLOBAL__N_17runRingI14__hip_fp8_e4m310FuncMinMaxIS1_E11ProtoSimpleILi1ELi1ELi0ELi2ELi0ELi0EELi0ELi2ELi0EEEviiP15ncclDevWorkColl.has_recursion, or(1, .L__assert_fail.has_recursion)
	.set .L_ZN12_GLOBAL__N_17runRingI14__hip_fp8_e4m310FuncMinMaxIS1_E11ProtoSimpleILi1ELi1ELi0ELi2ELi0ELi0EELi0ELi2ELi0EEEviiP15ncclDevWorkColl.has_indirect_call, or(0, .L__assert_fail.has_indirect_call)
	.section	.AMDGPU.csdata,"",@progbits
; Function info:
; codeLenInByte = 170680
; TotalNumSgprs: 100
; NumVgprs: 64
; ScratchSize: 304
; MemoryBound: 1
	.text
	.p2align	2                               ; -- Begin function _Z50ncclDevFunc_Reduce_RING_SIMPLE_MinMax_f8e4m3_0_0_2v
	.type	_Z50ncclDevFunc_Reduce_RING_SIMPLE_MinMax_f8e4m3_0_0_2v,@function
_Z50ncclDevFunc_Reduce_RING_SIMPLE_MinMax_f8e4m3_0_0_2v: ; @_Z50ncclDevFunc_Reduce_RING_SIMPLE_MinMax_f8e4m3_0_0_2v
; %bb.0:
	s_waitcnt vmcnt(0) expcnt(0) lgkmcnt(0)
	s_mov_b32 s4, s33
	s_mov_b32 s33, s32
	s_or_saveexec_b64 s[6:7], -1
	buffer_store_dword v43, off, s[0:3], s33 offset:16 ; 4-byte Folded Spill
	s_mov_b64 exec, s[6:7]
	v_writelane_b32 v43, s4, 28
	s_addk_i32 s32, 0x800
	buffer_store_dword v40, off, s[0:3], s33 offset:12 ; 4-byte Folded Spill
	buffer_store_dword v41, off, s[0:3], s33 offset:8 ; 4-byte Folded Spill
	;; [unrolled: 1-line block ×3, first 2 shown]
	buffer_store_dword v63, off, s[0:3], s33 ; 4-byte Folded Spill
	v_writelane_b32 v43, s34, 0
	v_writelane_b32 v43, s35, 1
	v_writelane_b32 v43, s36, 2
	v_writelane_b32 v43, s37, 3
	v_writelane_b32 v43, s38, 4
	v_writelane_b32 v43, s39, 5
	v_writelane_b32 v43, s48, 6
	v_writelane_b32 v43, s49, 7
	v_writelane_b32 v43, s50, 8
	v_writelane_b32 v43, s51, 9
	v_writelane_b32 v43, s52, 10
	v_writelane_b32 v43, s53, 11
	v_writelane_b32 v43, s54, 12
	v_writelane_b32 v43, s55, 13
	v_writelane_b32 v43, s64, 14
	v_writelane_b32 v43, s65, 15
	v_writelane_b32 v43, s66, 16
	v_writelane_b32 v43, s67, 17
	v_writelane_b32 v43, s68, 18
	v_writelane_b32 v43, s69, 19
	v_writelane_b32 v43, s70, 20
	v_writelane_b32 v43, s71, 21
	v_writelane_b32 v43, s80, 22
	v_writelane_b32 v43, s81, 23
	v_writelane_b32 v43, s82, 24
	v_writelane_b32 v43, s83, 25
	v_writelane_b32 v43, s30, 26
	v_writelane_b32 v43, s31, 27
	s_trap 2
	ds_read_b32 v0, v0
	v_mov_b32_e32 v40, v31
	v_and_b32_e32 v41, 0x3ff, v40
	s_mov_b32 s80, s12
	s_mov_b64 s[70:71], s[8:9]
	s_waitcnt lgkmcnt(0)
	v_cmp_lt_i32_e32 vcc, v41, v0
	s_and_saveexec_b64 s[4:5], vcc
	s_cbranch_execz .LBB5_5
; %bb.1:
	s_load_dword s6, s[70:71], 0x0
	v_mov_b32_e32 v1, 0
	s_mov_b32 s10, 0
	v_mov_b32_e32 v4, v41
                                        ; implicit-def: $vgpr3
	s_waitcnt lgkmcnt(0)
	s_cmp_lt_u32 s80, s6
	s_cselect_b32 s6, 12, 18
	s_add_u32 s6, s70, s6
	s_addc_u32 s7, s71, 0
	global_load_ushort v1, v1, s[6:7]
	s_trap 2
	ds_read_b32 v2, v0
	s_mov_b64 s[6:7], 0
	s_waitcnt vmcnt(0) lgkmcnt(0)
	v_mul_lo_u32 v2, v2, v1
	s_branch .LBB5_3
.LBB5_2:                                ;   in Loop: Header=BB5_3 Depth=1
	s_or_b64 exec, exec, s[8:9]
	v_add_u32_e32 v4, v4, v1
	v_cmp_ge_i32_e32 vcc, v4, v0
	s_or_b64 s[6:7], vcc, s[6:7]
	v_add_u32_e32 v3, v3, v2
	s_andn2_b64 exec, exec, s[6:7]
	s_cbranch_execz .LBB5_5
.LBB5_3:                                ; =>This Inner Loop Header: Depth=1
	ds_read_b32 v5, v3
	s_waitcnt lgkmcnt(0)
	v_and_b32_e32 v5, 0x1000000, v5
	v_cmp_ne_u32_e32 vcc, 0, v5
	s_and_saveexec_b64 s[8:9], vcc
	s_cbranch_execz .LBB5_2
; %bb.4:                                ;   in Loop: Header=BB5_3 Depth=1
	ds_read_b64 v[5:6], v3 offset:104
	s_waitcnt lgkmcnt(0)
	flat_load_ubyte v5, v[5:6]
	v_mov_b32_e32 v6, s10
	s_waitcnt vmcnt(0) lgkmcnt(0)
	v_and_b32_e32 v5, 0xffff, v5
	ds_write_b64 v3, v[5:6] offset:104
	s_branch .LBB5_2
.LBB5_5:
	s_or_b64 exec, exec, s[4:5]
	s_waitcnt vmcnt(0) lgkmcnt(0)
	s_barrier
	s_trap 2
	ds_read_b32 v0, v0
	s_waitcnt lgkmcnt(0)
	v_cmp_gt_i32_e32 vcc, 1, v0
	s_cbranch_vccnz .LBB5_13
; %bb.6:
	s_mov_b32 s81, 0
	v_mov_b32_e32 v42, 6
	s_branch .LBB5_8
.LBB5_7:                                ;   in Loop: Header=BB5_8 Depth=1
	s_or_b64 exec, exec, s[82:83]
	s_trap 2
	ds_read_b32 v0, v0
	s_add_i32 s81, s81, 1
	s_waitcnt lgkmcnt(0)
	v_cmp_lt_i32_e32 vcc, s81, v0
	s_cbranch_vccz .LBB5_13
.LBB5_8:                                ; =>This Inner Loop Header: Depth=1
	s_trap 2
	ds_read_b32 v0, v0
	s_cmp_eq_u32 s81, 0
	s_cbranch_scc1 .LBB5_11
; %bb.9:                                ;   in Loop: Header=BB5_8 Depth=1
	s_trap 2
	s_waitcnt lgkmcnt(0)
	ds_read_b32 v1, v0
	s_waitcnt lgkmcnt(0)
	v_xor_b32_e32 v1, v1, v0
	v_and_b32_e32 v1, 0xff0000, v1
	v_cmp_eq_u32_e32 vcc, 0, v1
	s_cbranch_vccnz .LBB5_11
; %bb.10:                               ;   in Loop: Header=BB5_8 Depth=1
	s_barrier
	ds_read_b32 v0, v0
.LBB5_11:                               ;   in Loop: Header=BB5_8 Depth=1
	s_waitcnt lgkmcnt(0)
	v_lshlrev_b32_sdwa v1, v42, v0 dst_sel:DWORD dst_unused:UNUSED_PAD src0_sel:DWORD src1_sel:BYTE_2
	v_cmp_lt_u32_e32 vcc, v41, v1
	s_and_saveexec_b64 s[82:83], vcc
	s_cbranch_execz .LBB5_7
; %bb.12:                               ;   in Loop: Header=BB5_8 Depth=1
	s_mov_b64 s[4:5], src_shared_base
	s_getpc_b64 s[6:7]
	s_add_u32 s6, s6, _ZN12_GLOBAL__N_17runRingI14__hip_fp8_e4m310FuncMinMaxIS1_E11ProtoSimpleILi1ELi1ELi0ELi2ELi0ELi0EELi0ELi2ELi0EEEviiP15ncclDevWorkColl@rel32@lo+4
	s_addc_u32 s7, s7, _ZN12_GLOBAL__N_17runRingI14__hip_fp8_e4m310FuncMinMaxIS1_E11ProtoSimpleILi1ELi1ELi0ELi2ELi0ELi0EELi0ELi2ELi0EEEviiP15ncclDevWorkColl@rel32@hi+12
	s_mov_b64 s[8:9], s[70:71]
	s_mov_b32 s12, s80
	v_mov_b32_e32 v31, v40
	v_mov_b32_e32 v0, v41
	;; [unrolled: 1-line block ×3, first 2 shown]
	s_swappc_b64 s[30:31], s[6:7]
	s_branch .LBB5_7
.LBB5_13:
	buffer_load_dword v63, off, s[0:3], s33 ; 4-byte Folded Reload
	buffer_load_dword v42, off, s[0:3], s33 offset:4 ; 4-byte Folded Reload
	buffer_load_dword v41, off, s[0:3], s33 offset:8 ; 4-byte Folded Reload
	;; [unrolled: 1-line block ×3, first 2 shown]
	v_readlane_b32 s30, v43, 26
	v_readlane_b32 s31, v43, 27
	;; [unrolled: 1-line block ×28, first 2 shown]
	s_mov_b32 s32, s33
	v_readlane_b32 s4, v43, 28
	s_or_saveexec_b64 s[6:7], -1
	buffer_load_dword v43, off, s[0:3], s33 offset:16 ; 4-byte Folded Reload
	s_mov_b64 exec, s[6:7]
	s_mov_b32 s33, s4
	s_waitcnt vmcnt(0)
	s_setpc_b64 s[30:31]
.Lfunc_end5:
	.size	_Z50ncclDevFunc_Reduce_RING_SIMPLE_MinMax_f8e4m3_0_0_2v, .Lfunc_end5-_Z50ncclDevFunc_Reduce_RING_SIMPLE_MinMax_f8e4m3_0_0_2v
                                        ; -- End function
	.set .L_Z50ncclDevFunc_Reduce_RING_SIMPLE_MinMax_f8e4m3_0_0_2v.num_vgpr, max(64, .L_ZN12_GLOBAL__N_17runRingI14__hip_fp8_e4m310FuncMinMaxIS1_E11ProtoSimpleILi1ELi1ELi0ELi2ELi0ELi0EELi0ELi2ELi0EEEviiP15ncclDevWorkColl.num_vgpr)
	.set .L_Z50ncclDevFunc_Reduce_RING_SIMPLE_MinMax_f8e4m3_0_0_2v.num_agpr, max(0, .L_ZN12_GLOBAL__N_17runRingI14__hip_fp8_e4m310FuncMinMaxIS1_E11ProtoSimpleILi1ELi1ELi0ELi2ELi0ELi0EELi0ELi2ELi0EEEviiP15ncclDevWorkColl.num_agpr)
	.set .L_Z50ncclDevFunc_Reduce_RING_SIMPLE_MinMax_f8e4m3_0_0_2v.numbered_sgpr, max(84, .L_ZN12_GLOBAL__N_17runRingI14__hip_fp8_e4m310FuncMinMaxIS1_E11ProtoSimpleILi1ELi1ELi0ELi2ELi0ELi0EELi0ELi2ELi0EEEviiP15ncclDevWorkColl.numbered_sgpr)
	.set .L_Z50ncclDevFunc_Reduce_RING_SIMPLE_MinMax_f8e4m3_0_0_2v.num_named_barrier, max(0, .L_ZN12_GLOBAL__N_17runRingI14__hip_fp8_e4m310FuncMinMaxIS1_E11ProtoSimpleILi1ELi1ELi0ELi2ELi0ELi0EELi0ELi2ELi0EEEviiP15ncclDevWorkColl.num_named_barrier)
	.set .L_Z50ncclDevFunc_Reduce_RING_SIMPLE_MinMax_f8e4m3_0_0_2v.private_seg_size, 32+max(.L_ZN12_GLOBAL__N_17runRingI14__hip_fp8_e4m310FuncMinMaxIS1_E11ProtoSimpleILi1ELi1ELi0ELi2ELi0ELi0EELi0ELi2ELi0EEEviiP15ncclDevWorkColl.private_seg_size)
	.set .L_Z50ncclDevFunc_Reduce_RING_SIMPLE_MinMax_f8e4m3_0_0_2v.uses_vcc, or(1, .L_ZN12_GLOBAL__N_17runRingI14__hip_fp8_e4m310FuncMinMaxIS1_E11ProtoSimpleILi1ELi1ELi0ELi2ELi0ELi0EELi0ELi2ELi0EEEviiP15ncclDevWorkColl.uses_vcc)
	.set .L_Z50ncclDevFunc_Reduce_RING_SIMPLE_MinMax_f8e4m3_0_0_2v.uses_flat_scratch, or(0, .L_ZN12_GLOBAL__N_17runRingI14__hip_fp8_e4m310FuncMinMaxIS1_E11ProtoSimpleILi1ELi1ELi0ELi2ELi0ELi0EELi0ELi2ELi0EEEviiP15ncclDevWorkColl.uses_flat_scratch)
	.set .L_Z50ncclDevFunc_Reduce_RING_SIMPLE_MinMax_f8e4m3_0_0_2v.has_dyn_sized_stack, or(0, .L_ZN12_GLOBAL__N_17runRingI14__hip_fp8_e4m310FuncMinMaxIS1_E11ProtoSimpleILi1ELi1ELi0ELi2ELi0ELi0EELi0ELi2ELi0EEEviiP15ncclDevWorkColl.has_dyn_sized_stack)
	.set .L_Z50ncclDevFunc_Reduce_RING_SIMPLE_MinMax_f8e4m3_0_0_2v.has_recursion, or(1, .L_ZN12_GLOBAL__N_17runRingI14__hip_fp8_e4m310FuncMinMaxIS1_E11ProtoSimpleILi1ELi1ELi0ELi2ELi0ELi0EELi0ELi2ELi0EEEviiP15ncclDevWorkColl.has_recursion)
	.set .L_Z50ncclDevFunc_Reduce_RING_SIMPLE_MinMax_f8e4m3_0_0_2v.has_indirect_call, or(0, .L_ZN12_GLOBAL__N_17runRingI14__hip_fp8_e4m310FuncMinMaxIS1_E11ProtoSimpleILi1ELi1ELi0ELi2ELi0ELi0EELi0ELi2ELi0EEEviiP15ncclDevWorkColl.has_indirect_call)
	.section	.AMDGPU.csdata,"",@progbits
; Function info:
; codeLenInByte = 1056
; TotalNumSgprs: 100
; NumVgprs: 64
; ScratchSize: 336
; MemoryBound: 0
	.text
	.p2align	2                               ; -- Begin function _ZN12_GLOBAL__N_17runRingI14__hip_fp8_e4m310FuncMinMaxIS1_E11ProtoSimpleILi1ELi1ELi0ELi4ELi0ELi0EELi0ELi4ELi0EEEviiP15ncclDevWorkColl
	.type	_ZN12_GLOBAL__N_17runRingI14__hip_fp8_e4m310FuncMinMaxIS1_E11ProtoSimpleILi1ELi1ELi0ELi4ELi0ELi0EELi0ELi4ELi0EEEviiP15ncclDevWorkColl,@function
_ZN12_GLOBAL__N_17runRingI14__hip_fp8_e4m310FuncMinMaxIS1_E11ProtoSimpleILi1ELi1ELi0ELi4ELi0ELi0EELi0ELi4ELi0EEEviiP15ncclDevWorkColl: ; @_ZN12_GLOBAL__N_17runRingI14__hip_fp8_e4m310FuncMinMaxIS1_E11ProtoSimpleILi1ELi1ELi0ELi4ELi0ELi0EELi0ELi4ELi0EEEviiP15ncclDevWorkColl
; %bb.0:
	s_waitcnt vmcnt(0) expcnt(0) lgkmcnt(0)
	s_mov_b32 s4, s33
	s_mov_b32 s33, s32
	s_or_saveexec_b64 s[6:7], -1
	buffer_store_dword v63, off, s[0:3], s33 offset:360 ; 4-byte Folded Spill
	s_mov_b64 exec, s[6:7]
	v_writelane_b32 v63, s4, 20
	s_addk_i32 s32, 0x5c00
	buffer_store_dword v40, off, s[0:3], s33 offset:56 ; 4-byte Folded Spill
	buffer_store_dword v41, off, s[0:3], s33 offset:52 ; 4-byte Folded Spill
	;; [unrolled: 1-line block ×14, first 2 shown]
	buffer_store_dword v62, off, s[0:3], s33 ; 4-byte Folded Spill
	v_writelane_b32 v63, s34, 0
	v_writelane_b32 v63, s35, 1
	;; [unrolled: 1-line block ×20, first 2 shown]
	buffer_store_dword v31, off, s[0:3], s33 offset:260 ; 4-byte Folded Spill
	v_mov_b32_e32 v61, v1
	buffer_store_dword v0, off, s[0:3], s33 offset:220 ; 4-byte Folded Spill
	s_trap 2
	ds_read_b64 v[0:1], v0
                                        ; implicit-def: $vgpr16_vgpr17
                                        ; implicit-def: $vgpr18_vgpr19
	s_waitcnt lgkmcnt(0)
	v_ashrrev_i32_e32 v7, 31, v1
	v_mov_b32_e32 v6, v1
	v_lshlrev_b64 v[6:7], 2, v[6:7]
	ds_read_b32 v5, v0
	v_add_co_u32_e32 v4, vcc, v0, v6
	v_addc_co_u32_e32 v1, vcc, v1, v7, vcc
	v_add_co_u32_e32 v6, vcc, -4, v4
	flat_load_ushort v15, v[2:3] offset:8
	flat_load_dwordx2 v[8:9], v[2:3]
	v_addc_co_u32_e32 v7, vcc, -1, v1, vcc
	flat_load_dword v4, v[6:7]
                                        ; implicit-def: $vgpr6_vgpr7
                                        ; kill: killed $vgpr6_vgpr7
	s_waitcnt vmcnt(0) lgkmcnt(0)
	v_mov_b32_e32 v14, v9
	v_cmp_ne_u32_sdwa s[4:5], v5, v8 src0_sel:DWORD src1_sel:BYTE_0
	s_and_saveexec_b64 s[6:7], s[4:5]
	s_xor_b64 s[4:5], exec, s[6:7]
	s_cbranch_execz .LBB6_6
; %bb.1:
	v_not_b32_sdwa v1, v8 dst_sel:DWORD dst_unused:UNUSED_PAD src0_sel:BYTE_0
	v_cmp_ne_u32_sdwa s[6:7], v5, v8 src0_sel:DWORD src1_sel:BYTE_1
                                        ; implicit-def: $vgpr16_vgpr17
                                        ; implicit-def: $vgpr18_vgpr19
                                        ; implicit-def: $vgpr6_vgpr7
                                        ; kill: killed $vgpr6_vgpr7
	s_and_saveexec_b64 s[10:11], s[6:7]
	s_xor_b64 s[6:7], exec, s[10:11]
	s_cbranch_execz .LBB6_3
; %bb.2:
	flat_load_dwordx4 v[6:9], v[2:3] offset:72
	flat_load_dwordx2 v[10:11], v[2:3] offset:96
	v_add_u32_e32 v1, v5, v1
	v_ashrrev_i32_e32 v5, 31, v1
	s_waitcnt vmcnt(0) lgkmcnt(0)
	v_mul_lo_u32 v5, v8, v5
	v_mad_u64_u32 v[6:7], s[10:11], v8, v1, v[6:7]
	v_mul_lo_u32 v1, v9, v1
	v_mov_b32_e32 v19, v9
	v_lshrrev_b64 v[16:17], 12, v[10:11]
	v_mov_b32_e32 v18, v8
	v_add3_u32 v7, v1, v7, v5
	buffer_store_dword v6, off, s[0:3], s33 offset:224 ; 4-byte Folded Spill
	s_nop 0
	buffer_store_dword v7, off, s[0:3], s33 offset:228 ; 4-byte Folded Spill
                                        ; implicit-def: $vgpr8
                                        ; implicit-def: $vgpr1
.LBB6_3:
	s_andn2_saveexec_b64 s[6:7], s[6:7]
	s_cbranch_execz .LBB6_5
; %bb.4:
	flat_load_dwordx4 v[9:12], v[2:3] offset:72
	flat_load_dwordx4 v[18:21], v[2:3] offset:88
	v_add_u32_sdwa v1, v8, v1 dst_sel:DWORD dst_unused:UNUSED_PAD src0_sel:BYTE_1 src1_sel:DWORD
	v_ashrrev_i32_e32 v5, 31, v1
	s_waitcnt vmcnt(0) lgkmcnt(0)
	v_mul_lo_u32 v5, v11, v5
	v_mad_u64_u32 v[6:7], s[10:11], v11, v1, v[9:10]
	v_mul_lo_u32 v1, v12, v1
	v_lshrrev_b32_e32 v16, 1, v21
	v_add3_u32 v7, v1, v7, v5
	buffer_store_dword v6, off, s[0:3], s33 offset:224 ; 4-byte Folded Spill
	s_nop 0
	buffer_store_dword v7, off, s[0:3], s33 offset:228 ; 4-byte Folded Spill
.LBB6_5:
	s_or_b64 exec, exec, s[6:7]
.LBB6_6:
	s_andn2_saveexec_b64 s[4:5], s[4:5]
	s_cbranch_execz .LBB6_8
; %bb.7:
	flat_load_dwordx2 v[5:6], v[2:3] offset:96
	flat_load_dwordx2 v[18:19], v[2:3] offset:72
	s_waitcnt vmcnt(0) lgkmcnt(0)
	v_lshlrev_b64 v[16:17], 9, v[5:6]
	v_mov_b32_e32 v5, 0
	v_mov_b32_e32 v6, 0
	buffer_store_dword v5, off, s[0:3], s33 offset:224 ; 4-byte Folded Spill
	s_nop 0
	buffer_store_dword v6, off, s[0:3], s33 offset:228 ; 4-byte Folded Spill
.LBB6_8:
	s_or_b64 exec, exec, s[4:5]
	s_trap 2
	ds_read_b64 v[6:7], v0
	s_waitcnt lgkmcnt(0)
	v_cmp_ne_u32_e32 vcc, -1, v6
	v_cndmask_b32_e64 v6, 0, 1, vcc
	v_cmp_ne_u32_e32 vcc, -1, v7
	v_addc_co_u32_e64 v1, s[4:5], 0, v6, vcc
	v_lshlrev_b32_e32 v5, 1, v1
	v_cmp_le_u32_e64 s[4:5], v5, v61
	s_and_saveexec_b64 s[6:7], s[4:5]
	s_xor_b64 s[40:41], exec, s[6:7]
	s_cbranch_execnz .LBB6_9
; %bb.10818:
	s_getpc_b64 s[68:69]
.Lpost_getpc8:
	s_add_u32 s68, s68, (.LBB6_10803-.Lpost_getpc8)&4294967295
	s_addc_u32 s69, s69, (.LBB6_10803-.Lpost_getpc8)>>32
	s_setpc_b64 s[68:69]
.LBB6_9:
	buffer_store_dword v18, off, s[0:3], s33 offset:176 ; 4-byte Folded Spill
	s_nop 0
	buffer_store_dword v19, off, s[0:3], s33 offset:180 ; 4-byte Folded Spill
	buffer_store_dword v20, off, s[0:3], s33 offset:184 ; 4-byte Folded Spill
	;; [unrolled: 1-line block ×3, first 2 shown]
	flat_load_dwordx4 v[10:13], v[2:3] offset:16
	s_nop 0
	flat_load_dwordx2 v[17:18], v[2:3] offset:104
	s_trap 2
	s_load_dword s4, s[8:9], 0x0
	v_mov_b32_e32 v2, 0
	s_waitcnt lgkmcnt(0)
	s_cmp_lt_u32 s12, s4
	s_cselect_b32 s4, 12, 18
	s_add_u32 s4, s8, s4
	s_addc_u32 s5, s9, 0
	global_load_ushort v2, v2, s[4:5]
	s_waitcnt vmcnt(0)
	buffer_store_dword v2, off, s[0:3], s33 offset:264 ; 4-byte Folded Spill
	ds_read_b32 v2, v0
	s_waitcnt lgkmcnt(0)
	v_readfirstlane_b32 s50, v2
	buffer_load_dword v2, off, s[0:3], s33 offset:220 ; 4-byte Folded Reload
	s_waitcnt vmcnt(0)
	v_cmp_ge_u32_e64 s[4:5], v2, v6
	v_mov_b32_e32 v2, 4
	s_and_saveexec_b64 s[6:7], s[4:5]
	s_cbranch_execz .LBB6_19
; %bb.10:
	buffer_load_dword v2, off, s[0:3], s33 offset:220 ; 4-byte Folded Reload
	s_waitcnt vmcnt(0)
	v_cmp_ge_u32_e64 s[4:5], v2, v1
                                        ; implicit-def: $vgpr2
	s_and_saveexec_b64 s[10:11], s[4:5]
	s_xor_b64 s[4:5], exec, s[10:11]
	s_cbranch_execz .LBB6_16
; %bb.11:
	buffer_load_dword v3, off, s[0:3], s33 offset:220 ; 4-byte Folded Reload
	v_cndmask_b32_e64 v2, 0, 1, vcc
	v_sub_u32_e32 v2, v61, v2
	s_waitcnt vmcnt(0)
	v_cmp_ge_u32_e32 vcc, v3, v2
	s_and_saveexec_b64 s[10:11], vcc
	s_xor_b64 s[10:11], exec, s[10:11]
; %bb.12:
                                        ; implicit-def: $vgpr1
; %bb.13:
	s_or_saveexec_b64 s[10:11], s[10:11]
	v_mov_b32_e32 v2, 16
	s_xor_b64 exec, exec, s[10:11]
	s_cbranch_execz .LBB6_15
; %bb.14:
	buffer_load_dword v2, off, s[0:3], s33 offset:220 ; 4-byte Folded Reload
	v_sub_u32_e32 v1, v61, v1
	s_waitcnt vmcnt(0)
	v_cmp_lt_i32_e32 vcc, v2, v1
	v_cndmask_b32_e64 v2, 32, 0, vcc
.LBB6_15:
	s_or_b64 exec, exec, s[10:11]
.LBB6_16:
	s_andn2_saveexec_b64 s[4:5], s[4:5]
; %bb.17:
	v_mov_b32_e32 v2, 8
; %bb.18:
	s_or_b64 exec, exec, s[4:5]
.LBB6_19:
	s_or_b64 exec, exec, s[6:7]
	v_and_b32_e32 v1, 36, v2
	v_cmp_ne_u32_e32 vcc, 0, v1
	v_mov_b32_e32 v1, -1
	buffer_store_dword v2, off, s[0:3], s33 offset:76 ; 4-byte Folded Spill
	s_and_saveexec_b64 s[4:5], vcc
	s_cbranch_execz .LBB6_21
; %bb.20:
	s_trap 2
	ds_read_b32 v1, v0
.LBB6_21:
	s_or_b64 exec, exec, s[4:5]
	buffer_load_dword v2, off, s[0:3], s33 offset:76 ; 4-byte Folded Reload
	s_waitcnt vmcnt(0)
	v_and_b32_e32 v2, 24, v2
	v_cmp_ne_u32_e64 s[4:5], 0, v2
	s_and_saveexec_b64 s[6:7], s[4:5]
	s_cbranch_execz .LBB6_23
; %bb.22:
	s_trap 2
	s_waitcnt lgkmcnt(0)
	ds_read_b32 v1, v0
.LBB6_23:
	s_or_b64 exec, exec, s[6:7]
	v_mov_b32_e32 v7, 0
	v_mov_b32_e32 v8, 0
	buffer_store_dword v7, off, s[0:3], s33 offset:252 ; 4-byte Folded Spill
	s_nop 0
	buffer_store_dword v8, off, s[0:3], s33 offset:256 ; 4-byte Folded Spill
	v_lshrrev_b64 v[2:3], 31, v[14:15]
                                        ; implicit-def: $vgpr7_vgpr8
	v_mov_b32_e32 v19, 0
                                        ; kill: killed $vgpr7_vgpr8
                                        ; implicit-def: $vgpr7_vgpr8
	v_and_b32_e32 v3, 3, v2
	v_mov_b32_e32 v20, 0
	s_waitcnt lgkmcnt(0)
	v_ashrrev_i32_e32 v2, 31, v1
                                        ; kill: killed $vgpr7_vgpr8
                                        ; implicit-def: $vgpr7_vgpr8
                                        ; implicit-def: $vgpr5
                                        ; kill: killed $vgpr5
                                        ; kill: killed $vgpr7_vgpr8
                                        ; implicit-def: $vgpr7_vgpr8
                                        ; kill: killed $vgpr7_vgpr8
	s_and_saveexec_b64 s[4:5], vcc
	s_cbranch_execz .LBB6_33
; %bb.24:
	s_trap 2
	ds_read_b64 v[7:8], v0
	v_lshlrev_b64 v[19:20], 3, v[1:2]
	v_and_b32_e32 v5, 0xffff, v3
	s_movk_i32 s6, 0xa8
	s_waitcnt lgkmcnt(0)
	v_add_co_u32_e32 v7, vcc, v7, v19
	v_addc_co_u32_e32 v8, vcc, v8, v20, vcc
	flat_load_dwordx2 v[7:8], v[7:8]
	s_waitcnt vmcnt(0) lgkmcnt(0)
	v_mad_u64_u32 v[19:20], s[6:7], v5, s6, v[7:8]
                                        ; implicit-def: $vgpr7_vgpr8
                                        ; kill: killed $vgpr7_vgpr8
	flat_load_dword v5, v[19:20] offset:640
	s_waitcnt vmcnt(0) lgkmcnt(0)
	v_cmp_eq_u32_e32 vcc, 1, v5
	s_and_saveexec_b64 s[6:7], vcc
	s_cbranch_execz .LBB6_26
; %bb.25:
	flat_load_dwordx2 v[21:22], v[19:20] offset:648
	s_waitcnt vmcnt(0) lgkmcnt(0)
	flat_load_dwordx2 v[7:8], v[21:22]
	s_trap 2
	s_waitcnt vmcnt(0) lgkmcnt(0)
	ds_write_b64 v0, v[7:8]
	flat_load_dwordx2 v[7:8], v[21:22] offset:8
	s_waitcnt vmcnt(0) lgkmcnt(0)
	ds_write_b64 v0, v[7:8]
	buffer_store_dword v21, off, s[0:3], s33 offset:308 ; 4-byte Folded Spill
	s_nop 0
	buffer_store_dword v22, off, s[0:3], s33 offset:312 ; 4-byte Folded Spill
	buffer_load_dword v5, off, s[0:3], s33 offset:76 ; 4-byte Folded Reload
	flat_load_dwordx2 v[7:8], v[21:22] offset:16
	s_waitcnt vmcnt(0)
	v_or_b32_e32 v5, 0x2000, v5
	buffer_store_dword v5, off, s[0:3], s33 offset:76 ; 4-byte Folded Spill
	s_waitcnt lgkmcnt(0)
	ds_write_b64 v0, v[7:8]
.LBB6_26:
	s_or_b64 exec, exec, s[6:7]
	buffer_load_dword v5, off, s[0:3], s33 offset:76 ; 4-byte Folded Reload
	flat_load_dwordx2 v[23:24], v[19:20] offset:608
                                        ; implicit-def: $vgpr7_vgpr8
                                        ; kill: killed $vgpr7_vgpr8
	s_waitcnt vmcnt(0)
	v_and_b32_e32 v5, 32, v5
	v_cmp_ne_u32_e32 vcc, 0, v5
	s_and_saveexec_b64 s[6:7], vcc
	s_cbranch_execz .LBB6_28
; %bb.27:
	flat_load_dwordx2 v[7:8], v[19:20] offset:560
	s_waitcnt vmcnt(0) lgkmcnt(0)
	buffer_store_dword v7, off, s[0:3], s33 offset:68 ; 4-byte Folded Spill
	s_nop 0
	buffer_store_dword v8, off, s[0:3], s33 offset:72 ; 4-byte Folded Spill
	flat_store_dwordx2 v[7:8], v[23:24]
.LBB6_28:
	s_or_b64 exec, exec, s[6:7]
	v_add_co_u32_e32 v7, vcc, 0x1f8, v19
	v_addc_co_u32_e32 v8, vcc, 0, v20, vcc
	buffer_store_dword v7, off, s[0:3], s33 offset:252 ; 4-byte Folded Spill
	s_nop 0
	buffer_store_dword v8, off, s[0:3], s33 offset:256 ; 4-byte Folded Spill
	buffer_load_dword v5, off, s[0:3], s33 offset:76 ; 4-byte Folded Reload
	v_mov_b32_e32 v21, 0
	v_mov_b32_e32 v22, 0
                                        ; implicit-def: $vgpr7_vgpr8
                                        ; kill: killed $vgpr7_vgpr8
                                        ; implicit-def: $vgpr7_vgpr8
                                        ; kill: killed $vgpr7_vgpr8
	s_waitcnt vmcnt(0)
	v_and_b32_e32 v5, 4, v5
	v_cmp_ne_u32_e32 vcc, 0, v5
                                        ; implicit-def: $vgpr5
                                        ; kill: killed $vgpr5
	s_and_saveexec_b64 s[6:7], vcc
	s_cbranch_execz .LBB6_32
; %bb.29:
	buffer_load_dword v5, off, s[0:3], s33 offset:76 ; 4-byte Folded Reload
	s_waitcnt vmcnt(0)
	v_and_b32_e32 v5, 0x800, v5
	v_cmp_eq_u32_e32 vcc, 0, v5
	s_and_saveexec_b64 s[10:11], vcc
	s_cbranch_execz .LBB6_31
; %bb.30:
	s_trap 2
	buffer_load_dword v7, off, s[0:3], s33 offset:252 ; 4-byte Folded Reload
	buffer_load_dword v8, off, s[0:3], s33 offset:256 ; 4-byte Folded Reload
	s_waitcnt vmcnt(0)
	ds_write_b64 v0, v[7:8]
.LBB6_31:
	s_or_b64 exec, exec, s[10:11]
	flat_load_dwordx2 v[7:8], v[19:20] offset:552
	s_waitcnt lgkmcnt(0)
	v_mov_b32_e32 v28, v24
	v_mov_b32_e32 v27, v23
	s_waitcnt vmcnt(0)
	buffer_store_dword v7, off, s[0:3], s33 offset:68 ; 4-byte Folded Spill
	s_nop 0
	buffer_store_dword v8, off, s[0:3], s33 offset:72 ; 4-byte Folded Spill
	flat_load_dwordx2 v[7:8], v[7:8] glc
	s_waitcnt vmcnt(0) lgkmcnt(0)
	buffer_store_dword v7, off, s[0:3], s33 offset:60 ; 4-byte Folded Spill
	s_nop 0
	buffer_store_dword v8, off, s[0:3], s33 offset:64 ; 4-byte Folded Spill
	flat_load_dwordx2 v[25:26], v[19:20] offset:600
	flat_load_dword v5, v[19:20] offset:576
	s_nop 0
	flat_load_dwordx2 v[7:8], v[19:20] offset:520
	s_waitcnt vmcnt(0) lgkmcnt(0)
	v_cmp_eq_u64_e32 vcc, 0, v[25:26]
	buffer_store_dword v5, off, s[0:3], s33 offset:232 ; 4-byte Folded Spill
	buffer_store_dword v7, off, s[0:3], s33 offset:212 ; 4-byte Folded Spill
	s_nop 0
	buffer_store_dword v8, off, s[0:3], s33 offset:216 ; 4-byte Folded Spill
	buffer_load_dword v7, off, s[0:3], s33 offset:76 ; 4-byte Folded Reload
	v_mov_b32_e32 v21, v25
	v_mov_b32_e32 v22, v26
	;; [unrolled: 1-line block ×4, first 2 shown]
	s_waitcnt vmcnt(0)
	v_or_b32_e32 v5, 0x100, v7
	v_cndmask_b32_e32 v7, v5, v7, vcc
	buffer_store_dword v7, off, s[0:3], s33 offset:76 ; 4-byte Folded Spill
.LBB6_32:
	s_or_b64 exec, exec, s[6:7]
	s_waitcnt lgkmcnt(0)
	v_mov_b32_e32 v19, v21
	v_mov_b32_e32 v20, v22
	v_mov_b32_e32 v21, v23
	v_mov_b32_e32 v22, v24
.LBB6_33:
	s_or_b64 exec, exec, s[4:5]
	buffer_load_dword v5, off, s[0:3], s33 offset:76 ; 4-byte Folded Reload
                                        ; implicit-def: $vgpr36_vgpr37
	s_waitcnt vmcnt(0)
	v_and_b32_e32 v5, 24, v5
	v_cmp_ne_u32_e32 vcc, 0, v5
	s_and_saveexec_b64 s[4:5], vcc
	s_cbranch_execz .LBB6_41
; %bb.34:
	s_trap 2
	ds_read_b64 v[7:8], v0
	v_lshlrev_b64 v[1:2], 3, v[1:2]
	v_and_b32_e32 v3, 0xffff, v3
	s_movk_i32 s6, 0xa8
                                        ; implicit-def: $vgpr36_vgpr37
	s_waitcnt lgkmcnt(0)
	v_add_co_u32_e32 v1, vcc, v7, v1
	v_addc_co_u32_e32 v2, vcc, v8, v2, vcc
	flat_load_dwordx2 v[1:2], v[1:2]
	s_waitcnt vmcnt(0) lgkmcnt(0)
	v_mad_u64_u32 v[1:2], s[6:7], v3, s6, v[1:2]
	buffer_store_dword v1, off, s[0:3], s33 offset:252 ; 4-byte Folded Spill
	s_nop 0
	buffer_store_dword v2, off, s[0:3], s33 offset:256 ; 4-byte Folded Spill
	flat_load_dwordx4 v[19:22], v[1:2] offset:96
	s_nop 0
	buffer_load_dword v2, off, s[0:3], s33 offset:76 ; 4-byte Folded Reload
	s_waitcnt vmcnt(0) lgkmcnt(0)
	v_cmp_eq_u64_e32 vcc, 0, v[19:20]
	v_or_b32_e32 v1, 0x100, v2
	v_cndmask_b32_e32 v2, v1, v2, vcc
	v_and_b32_e32 v1, 16, v2
	v_cmp_ne_u32_e32 vcc, 0, v1
	buffer_store_dword v2, off, s[0:3], s33 offset:76 ; 4-byte Folded Spill
	s_and_saveexec_b64 s[6:7], vcc
	s_cbranch_execz .LBB6_36
; %bb.35:
	buffer_load_dword v1, off, s[0:3], s33 offset:252 ; 4-byte Folded Reload
	buffer_load_dword v2, off, s[0:3], s33 offset:256 ; 4-byte Folded Reload
	s_waitcnt vmcnt(0)
	flat_load_dwordx2 v[7:8], v[1:2] offset:48
	s_waitcnt vmcnt(0) lgkmcnt(0)
	buffer_store_dword v7, off, s[0:3], s33 offset:68 ; 4-byte Folded Spill
	s_nop 0
	buffer_store_dword v8, off, s[0:3], s33 offset:72 ; 4-byte Folded Spill
	flat_load_dwordx2 v[36:37], v[1:2] offset:120
	s_nop 0
	flat_load_dwordx2 v[1:2], v[1:2] offset:16
	s_waitcnt vmcnt(0) lgkmcnt(0)
	buffer_store_dword v1, off, s[0:3], s33 offset:212 ; 4-byte Folded Spill
	s_nop 0
	buffer_store_dword v2, off, s[0:3], s33 offset:216 ; 4-byte Folded Spill
.LBB6_36:
	s_or_b64 exec, exec, s[6:7]
	buffer_load_dword v1, off, s[0:3], s33 offset:76 ; 4-byte Folded Reload
	s_waitcnt vmcnt(0)
	v_and_b32_e32 v1, 8, v1
	v_cmp_ne_u32_e32 vcc, 0, v1
	s_and_saveexec_b64 s[6:7], vcc
	s_cbranch_execz .LBB6_40
; %bb.37:
	buffer_load_dword v1, off, s[0:3], s33 offset:76 ; 4-byte Folded Reload
	s_waitcnt vmcnt(0)
	v_and_b32_e32 v1, 0x800, v1
	v_cmp_eq_u32_e32 vcc, 0, v1
	s_and_saveexec_b64 s[10:11], vcc
	s_cbranch_execz .LBB6_39
; %bb.38:
	s_trap 2
	buffer_load_dword v1, off, s[0:3], s33 offset:252 ; 4-byte Folded Reload
	buffer_load_dword v2, off, s[0:3], s33 offset:256 ; 4-byte Folded Reload
	s_waitcnt vmcnt(0)
	ds_write_b64 v0, v[1:2]
.LBB6_39:
	s_or_b64 exec, exec, s[10:11]
	buffer_load_dword v1, off, s[0:3], s33 offset:252 ; 4-byte Folded Reload
	buffer_load_dword v2, off, s[0:3], s33 offset:256 ; 4-byte Folded Reload
	s_waitcnt vmcnt(0)
	flat_load_dwordx2 v[7:8], v[1:2] offset:56
	s_waitcnt vmcnt(0) lgkmcnt(0)
	buffer_store_dword v7, off, s[0:3], s33 offset:68 ; 4-byte Folded Spill
	s_nop 0
	buffer_store_dword v8, off, s[0:3], s33 offset:72 ; 4-byte Folded Spill
	flat_load_dwordx2 v[7:8], v[7:8] glc
	s_waitcnt vmcnt(0) lgkmcnt(0)
	buffer_store_dword v7, off, s[0:3], s33 offset:60 ; 4-byte Folded Spill
	s_nop 0
	buffer_store_dword v8, off, s[0:3], s33 offset:64 ; 4-byte Folded Spill
	flat_load_dword v3, v[1:2] offset:72
	s_nop 0
	flat_load_dwordx2 v[1:2], v[1:2] offset:16
	s_waitcnt vmcnt(0) lgkmcnt(0)
	buffer_store_dword v3, off, s[0:3], s33 offset:232 ; 4-byte Folded Spill
	buffer_store_dword v1, off, s[0:3], s33 offset:212 ; 4-byte Folded Spill
	s_nop 0
	buffer_store_dword v2, off, s[0:3], s33 offset:216 ; 4-byte Folded Spill
.LBB6_40:
	s_or_b64 exec, exec, s[6:7]
.LBB6_41:
	s_or_b64 exec, exec, s[4:5]
	buffer_load_dword v1, off, s[0:3], s33 offset:220 ; 4-byte Folded Reload
	s_waitcnt vmcnt(0)
	v_cmp_eq_u32_e64 s[4:5], 0, v1
	s_and_saveexec_b64 s[6:7], s[4:5]
	s_cbranch_execz .LBB6_43
; %bb.42:
	v_mov_b32_e32 v1, v12
	v_mov_b32_e32 v2, v13
	;; [unrolled: 1-line block ×4, first 2 shown]
	ds_write2_b64 v0, v[1:2], v[7:8] offset1:1
	v_mov_b32_e32 v1, 0
	v_mov_b32_e32 v2, v1
	s_trap 2
	ds_write_b64 v0, v[1:2]
	ds_write_b64 v0, v[17:18]
.LBB6_43:
	s_or_b64 exec, exec, s[6:7]
	v_and_b32_e32 v1, 0x3ffffe00, v16
	v_mov_b32_e32 v2, 0
	buffer_store_dword v1, off, s[0:3], s33 offset:92 ; 4-byte Folded Spill
	s_nop 0
	buffer_store_dword v2, off, s[0:3], s33 offset:96 ; 4-byte Folded Spill
	v_bfe_u32 v1, v14, 1, 30
	v_cmp_ne_u32_e32 vcc, v4, v1
                                        ; implicit-def: $vgpr2_vgpr3
                                        ; kill: killed $vgpr2_vgpr3
	s_mov_b64 s[6:7], exec
	buffer_load_dword v14, off, s[0:3], s33 offset:176 ; 4-byte Folded Reload
	buffer_load_dword v15, off, s[0:3], s33 offset:180 ; 4-byte Folded Reload
	buffer_load_dword v16, off, s[0:3], s33 offset:184 ; 4-byte Folded Reload
	buffer_load_dword v17, off, s[0:3], s33 offset:188 ; 4-byte Folded Reload
	s_and_b64 s[10:11], s[6:7], vcc
	s_xor_b64 s[42:43], s[10:11], s[6:7]
	s_mov_b64 exec, s[10:11]
	s_cbranch_execnz .LBB6_44
; %bb.10820:
	s_getpc_b64 s[68:69]
.Lpost_getpc9:
	s_add_u32 s68, s68, (.LBB6_10597-.Lpost_getpc9)&4294967295
	s_addc_u32 s69, s69, (.LBB6_10597-.Lpost_getpc9)>>32
	s_setpc_b64 s[68:69]
.LBB6_44:
	v_cmp_ne_u32_e32 vcc, v0, v1
                                        ; implicit-def: $vgpr0_vgpr1
                                        ; kill: killed $vgpr0_vgpr1
	s_and_saveexec_b64 s[6:7], vcc
	s_xor_b64 s[44:45], exec, s[6:7]
	s_cbranch_execnz .LBB6_45
; %bb.10822:
	s_getpc_b64 s[68:69]
.Lpost_getpc10:
	s_add_u32 s68, s68, (.LBB6_5324-.Lpost_getpc10)&4294967295
	s_addc_u32 s69, s69, (.LBB6_5324-.Lpost_getpc10)>>32
	s_setpc_b64 s[68:69]
.LBB6_45:
	v_mov_b32_e32 v0, 0
	s_waitcnt vmcnt(2)
	v_cmp_ne_u64_e32 vcc, 0, v[14:15]
	v_mov_b32_e32 v1, 0
	buffer_store_dword v0, off, s[0:3], s33 offset:80 ; 4-byte Folded Spill
	s_nop 0
	buffer_store_dword v1, off, s[0:3], s33 offset:84 ; 4-byte Folded Spill
	s_and_saveexec_b64 s[46:47], vcc
	s_cbranch_execnz .LBB6_46
; %bb.10824:
	s_getpc_b64 s[68:69]
.Lpost_getpc11:
	s_add_u32 s68, s68, (.LBB6_5323-.Lpost_getpc11)&4294967295
	s_addc_u32 s69, s69, (.LBB6_5323-.Lpost_getpc11)>>32
	s_setpc_b64 s[68:69]
.LBB6_46:
	s_trap 2
	buffer_load_dword v2, off, s[0:3], s33 offset:220 ; 4-byte Folded Reload
	buffer_load_dword v0, off, s[0:3], s33 offset:232 ; 4-byte Folded Reload
	v_mov_b32_e32 v1, v61
	s_ashr_i32 s6, s50, 31
	v_lshrrev_b32_e32 v4, 6, v61
	v_and_b32_e32 v48, 0x3fc0, v1
	s_lshr_b32 s6, s6, 24
	s_add_i32 s6, s50, s6
	s_ashr_i32 s51, s6, 8
	v_cmp_eq_u32_e32 vcc, 64, v61
	s_mov_b32 s58, 0
	v_cmp_eq_u64_e64 s[18:19], 0, v[36:37]
	v_mov_b32_e32 v49, 0
	s_mov_b32 s78, -1
	v_cmp_ne_u32_e64 s[10:11], 64, v61
	s_mov_b32 s59, 0x1000000
	v_lshlrev_b32_e32 v39, 10, v4
	s_mov_b64 s[60:61], 0
	v_mov_b32_e32 v50, 0
	s_movk_i32 s52, 0x108
	v_mov_b32_e32 v51, 1
	s_xor_b64 s[62:63], vcc, -1
	s_movk_i32 s53, 0x80
	s_movk_i32 s54, 0x7f
	s_brev_b32 s55, 1
	s_mov_b64 s[72:73], 0x7f800000
	s_mov_b64 s[74:75], 0x43e00001
	s_movk_i32 s64, 0x7a
	s_mov_b64 s[76:77], 0xffffff
	s_mov_b32 s79, 0xffffff
	s_movk_i32 s65, 0xffc0
	s_mov_b32 s66, 0x3ffffc00
	v_mov_b32_e32 v52, 0xc8
	v_mov_b32_e32 v53, 0x90
	v_bfrev_b32_e32 v62, 60
	v_mov_b32_e32 v41, 0xffffff82
	v_mov_b32_e32 v40, 0x7f800001
	v_bfrev_b32_e32 v54, 1
	s_waitcnt vmcnt(1)
	v_and_b32_e32 v3, 63, v2
	s_waitcnt vmcnt(0)
	v_ashrrev_i32_e32 v38, 31, v0
	buffer_load_dword v0, off, s[0:3], s33 offset:264 ; 4-byte Folded Reload
	v_cmp_ge_u32_e64 s[6:7], v2, v61
	buffer_store_dword v3, off, s[0:3], s33 offset:352 ; 4-byte Folded Spill
	v_cmp_le_u32_e64 s[14:15], v3, v6
	v_cmp_lt_u32_e64 s[16:17], v3, v6
	s_waitcnt vmcnt(1)
	v_cmp_ne_u32_sdwa s[56:57], v61, v0 src0_sel:DWORD src1_sel:WORD_0
	buffer_load_dword v0, off, s[0:3], s33 offset:260 ; 4-byte Folded Reload
	v_mov_b32_e32 v61, 0
	s_waitcnt vmcnt(0)
	v_and_b32_e32 v0, 63, v0
	v_cmp_eq_u32_e64 s[12:13], 0, v0
	v_lshrrev_b32_e32 v0, 6, v2
	buffer_store_dword v0, off, s[0:3], s33 offset:332 ; 4-byte Folded Spill
	v_lshlrev_b32_e32 v0, 12, v0
	v_lshl_or_b32 v0, v3, 4, v0
	buffer_store_dword v0, off, s[0:3], s33 offset:356 ; 4-byte Folded Spill
	buffer_store_dword v4, off, s[0:3], s33 offset:100 ; 4-byte Folded Spill
	;; [unrolled: 1-line block ×3, first 2 shown]
	v_mov_b32_e32 v0, 0
	v_mov_b32_e32 v1, 0
	buffer_store_dword v0, off, s[0:3], s33 offset:80 ; 4-byte Folded Spill
	s_nop 0
	buffer_store_dword v1, off, s[0:3], s33 offset:84 ; 4-byte Folded Spill
	buffer_load_dword v2, off, s[0:3], s33 offset:92 ; 4-byte Folded Reload
	buffer_load_dword v3, off, s[0:3], s33 offset:96 ; 4-byte Folded Reload
	s_nop 0
	buffer_store_dword v36, off, s[0:3], s33 offset:268 ; 4-byte Folded Spill
	s_nop 0
	buffer_store_dword v37, off, s[0:3], s33 offset:272 ; 4-byte Folded Spill
	buffer_store_dword v38, off, s[0:3], s33 offset:316 ; 4-byte Folded Spill
	;; [unrolled: 1-line block ×3, first 2 shown]
	s_branch .LBB6_49
.LBB6_47:                               ;   in Loop: Header=BB6_49 Depth=1
	s_or_b64 exec, exec, s[20:21]
.LBB6_48:                               ;   in Loop: Header=BB6_49 Depth=1
	s_or_b64 exec, exec, s[22:23]
	buffer_load_dword v2, off, s[0:3], s33 offset:92 ; 4-byte Folded Reload
	buffer_load_dword v3, off, s[0:3], s33 offset:96 ; 4-byte Folded Reload
	s_waitcnt vmcnt(0)
	v_add_co_u32_e32 v49, vcc, v49, v2
	v_addc_co_u32_e32 v50, vcc, 0, v50, vcc
	v_cmp_ge_u64_e32 vcc, v[49:50], v[14:15]
	s_or_b64 s[60:61], vcc, s[60:61]
	s_andn2_b64 exec, exec, s[60:61]
	s_cbranch_execnz .LBB6_49
; %bb.10826:
	s_getpc_b64 s[68:69]
.Lpost_getpc12:
	s_add_u32 s68, s68, (.LBB6_5322-.Lpost_getpc12)&4294967295
	s_addc_u32 s69, s69, (.LBB6_5322-.Lpost_getpc12)>>32
	s_setpc_b64 s[68:69]
.LBB6_49:                               ; =>This Loop Header: Depth=1
                                        ;     Child Loop BB6_58 Depth 2
                                        ;     Child Loop BB6_84 Depth 2
	;; [unrolled: 1-line block ×10, first 2 shown]
	v_sub_co_u32_e32 v0, vcc, v14, v49
	v_subb_co_u32_e32 v1, vcc, v15, v50, vcc
	s_waitcnt vmcnt(0)
	v_cmp_lt_u64_e32 vcc, v[2:3], v[0:1]
	v_cndmask_b32_e64 v43, v1, 0, vcc
	v_cndmask_b32_e32 v42, v0, v2, vcc
	v_cmp_eq_u64_e32 vcc, 0, v[42:43]
	v_add_u32_e32 v0, 15, v42
	v_and_b32_e32 v0, 0x7ffffff0, v0
	s_or_b64 s[88:89], s[6:7], vcc
	v_max_i32_e32 v43, s51, v0
	s_xor_b64 s[20:21], s[88:89], -1
	v_mov_b32_e32 v0, v61
	s_and_saveexec_b64 s[90:91], s[20:21]
	s_cbranch_execnz .LBB6_50
; %bb.10828:                            ;   in Loop: Header=BB6_49 Depth=1
	s_getpc_b64 s[68:69]
.Lpost_getpc13:
	s_add_u32 s68, s68, (.LBB6_5272-.Lpost_getpc13)&4294967295
	s_addc_u32 s69, s69, (.LBB6_5272-.Lpost_getpc13)>>32
	s_setpc_b64 s[68:69]
.LBB6_50:                               ;   in Loop: Header=BB6_49 Depth=1
	s_and_saveexec_b64 s[20:21], s[4:5]
	s_cbranch_execz .LBB6_52
; %bb.51:                               ;   in Loop: Header=BB6_49 Depth=1
	s_trap 2
	ds_read_b64 v[0:1], v0
	buffer_load_dword v2, off, s[0:3], s33 offset:224 ; 4-byte Folded Reload
	buffer_load_dword v3, off, s[0:3], s33 offset:228 ; 4-byte Folded Reload
	v_mov_b32_e32 v60, v61
	s_waitcnt vmcnt(0) lgkmcnt(0)
	v_add_co_u32_e32 v0, vcc, v0, v2
	s_waitcnt vmcnt(0)
	v_addc_co_u32_e32 v1, vcc, v1, v3, vcc
	v_add_co_u32_e32 v0, vcc, v0, v49
	v_addc_co_u32_e32 v1, vcc, v1, v50, vcc
	ds_write_b64 v0, v[0:1]
	ds_write_b64 v0, v[60:61]
.LBB6_52:                               ;   in Loop: Header=BB6_49 Depth=1
	s_or_b64 exec, exec, s[20:21]
	buffer_load_dword v0, off, s[0:3], s33 offset:76 ; 4-byte Folded Reload
	v_min_u32_e32 v43, v43, v42
	s_waitcnt vmcnt(0)
	v_and_b32_e32 v0, 12, v0
	v_cmp_ne_u32_e32 vcc, 0, v0
	s_and_saveexec_b64 s[22:23], vcc
	s_cbranch_execz .LBB6_76
; %bb.53:                               ;   in Loop: Header=BB6_49 Depth=1
	buffer_load_dword v0, off, s[0:3], s33 offset:76 ; 4-byte Folded Reload
	s_waitcnt vmcnt(0)
	v_and_b32_e32 v2, 8, v0
	buffer_load_dword v0, off, s[0:3], s33 offset:60 ; 4-byte Folded Reload
	buffer_load_dword v1, off, s[0:3], s33 offset:64 ; 4-byte Folded Reload
	s_waitcnt vmcnt(0)
	v_add_co_u32_e32 v3, vcc, v0, v2
	s_waitcnt vmcnt(0)
	v_addc_co_u32_e32 v4, vcc, 0, v1, vcc
	v_add_co_u32_e32 v0, vcc, 1, v21
	v_addc_co_u32_e32 v1, vcc, 0, v22, vcc
	v_cmp_lt_u64_e32 vcc, v[3:4], v[0:1]
	s_and_saveexec_b64 s[24:25], vcc
	s_cbranch_execz .LBB6_65
; %bb.54:                               ;   in Loop: Header=BB6_49 Depth=1
	buffer_load_dword v3, off, s[0:3], s33 offset:76 ; 4-byte Folded Reload
	s_mov_b32 s67, 0
	s_mov_b64 s[26:27], 0
                                        ; implicit-def: $sgpr28_sgpr29
                                        ; implicit-def: $sgpr92_sgpr93
                                        ; implicit-def: $sgpr94_sgpr95
	s_waitcnt vmcnt(0)
	v_and_b32_e32 v3, 64, v3
	v_cmp_eq_u32_e32 vcc, 0, v3
	s_branch .LBB6_58
.LBB6_55:                               ;   in Loop: Header=BB6_58 Depth=2
	buffer_load_dword v4, off, s[0:3], s33 offset:60 ; 4-byte Folded Reload
	buffer_load_dword v5, off, s[0:3], s33 offset:64 ; 4-byte Folded Reload
	s_or_b64 s[36:37], s[36:37], exec
	s_waitcnt vmcnt(1)
	v_add_co_u32_e64 v4, s[20:21], v4, v2
	s_waitcnt vmcnt(0)
	v_addc_co_u32_e64 v5, s[20:21], 0, v5, s[20:21]
	v_cmp_ge_u64_e64 s[20:21], v[4:5], v[0:1]
	s_orn2_b64 s[34:35], s[20:21], exec
.LBB6_56:                               ;   in Loop: Header=BB6_58 Depth=2
	s_or_b64 exec, exec, s[48:49]
	s_andn2_b64 s[20:21], s[94:95], exec
	s_and_b64 s[94:95], s[36:37], exec
	s_or_b64 s[94:95], s[20:21], s[94:95]
	s_andn2_b64 s[20:21], s[92:93], exec
	s_and_b64 s[92:93], s[34:35], exec
	s_or_b64 s[92:93], s[20:21], s[92:93]
.LBB6_57:                               ;   in Loop: Header=BB6_58 Depth=2
	s_or_b64 exec, exec, s[30:31]
	s_and_b64 s[20:21], exec, s[92:93]
	s_or_b64 s[26:27], s[20:21], s[26:27]
	s_andn2_b64 s[20:21], s[28:29], exec
	s_and_b64 s[28:29], s[94:95], exec
	s_or_b64 s[28:29], s[20:21], s[28:29]
	s_andn2_b64 exec, exec, s[26:27]
	s_cbranch_execz .LBB6_62
.LBB6_58:                               ;   Parent Loop BB6_49 Depth=1
                                        ; =>  This Inner Loop Header: Depth=2
	s_sleep 1
	buffer_load_dword v3, off, s[0:3], s33 offset:68 ; 4-byte Folded Reload
	buffer_load_dword v4, off, s[0:3], s33 offset:72 ; 4-byte Folded Reload
	s_or_b64 s[94:95], s[94:95], exec
	s_or_b64 s[92:93], s[92:93], exec
	s_waitcnt vmcnt(0)
	flat_load_dwordx2 v[3:4], v[3:4] glc
	s_waitcnt vmcnt(0) lgkmcnt(0)
	buffer_store_dword v3, off, s[0:3], s33 offset:60 ; 4-byte Folded Spill
	s_nop 0
	buffer_store_dword v4, off, s[0:3], s33 offset:64 ; 4-byte Folded Spill
                                        ; implicit-def: $vgpr3
	s_and_saveexec_b64 s[30:31], vcc
	s_cbranch_execz .LBB6_57
; %bb.59:                               ;   in Loop: Header=BB6_58 Depth=2
	s_cmpk_lt_i32 s67, 0x270f
	s_cselect_b64 s[38:39], -1, 0
	s_cmpk_gt_i32 s67, 0x270e
	s_mov_b64 s[34:35], -1
	s_cbranch_scc0 .LBB6_61
; %bb.60:                               ;   in Loop: Header=BB6_58 Depth=2
	s_trap 2
	ds_read_b64 v[3:4], v0
	s_andn2_b64 s[38:39], s[38:39], exec
	s_mov_b32 s67, 0
	s_mov_b64 s[36:37], 0
	s_waitcnt vmcnt(0) lgkmcnt(0)
	flat_load_dword v3, v[3:4] glc
	s_waitcnt vmcnt(0) lgkmcnt(0)
	buffer_wbinvl1_vol
	v_cmp_eq_u32_e64 s[20:21], 0, v3
	s_and_b64 s[20:21], s[20:21], exec
	s_or_b64 s[38:39], s[38:39], s[20:21]
	s_and_saveexec_b64 s[48:49], s[38:39]
	s_cbranch_execz .LBB6_56
	s_branch .LBB6_55
.LBB6_61:                               ;   in Loop: Header=BB6_58 Depth=2
	s_add_i32 s67, s67, 1
	s_mov_b64 s[36:37], -1
                                        ; implicit-def: $vgpr3
	s_and_saveexec_b64 s[48:49], s[38:39]
	s_cbranch_execz .LBB6_56
	s_branch .LBB6_55
.LBB6_62:                               ;   in Loop: Header=BB6_49 Depth=1
	s_or_b64 exec, exec, s[26:27]
	s_xor_b64 s[20:21], s[28:29], -1
	s_and_saveexec_b64 s[26:27], s[20:21]
	s_xor_b64 s[20:21], exec, s[26:27]
	s_cbranch_execz .LBB6_64
; %bb.63:                               ;   in Loop: Header=BB6_49 Depth=1
	ds_write_b32 v0, v3
	s_trap 2
	buffer_load_dword v3, off, s[0:3], s33 offset:76 ; 4-byte Folded Reload
	s_waitcnt vmcnt(0)
	v_or_b32_e32 v3, 64, v3
	buffer_store_dword v3, off, s[0:3], s33 offset:76 ; 4-byte Folded Spill
.LBB6_64:                               ;   in Loop: Header=BB6_49 Depth=1
	s_or_b64 exec, exec, s[20:21]
.LBB6_65:                               ;   in Loop: Header=BB6_49 Depth=1
	s_or_b64 exec, exec, s[24:25]
	;;#ASMSTART
	s_wakeup
	;;#ASMEND
	buffer_load_dword v3, off, s[0:3], s33 offset:76 ; 4-byte Folded Reload
	s_waitcnt vmcnt(0)
	v_and_b32_e32 v3, 0x108, v3
	v_cmp_ne_u32_e32 vcc, s52, v3
	v_and_b32_e32 v3, 7, v21
	s_and_saveexec_b64 s[20:21], vcc
	s_xor_b64 s[20:21], exec, s[20:21]
	s_andn2_saveexec_b64 s[20:21], s[20:21]
	s_cbranch_execz .LBB6_67
; %bb.66:                               ;   in Loop: Header=BB6_49 Depth=1
	v_mad_u64_u32 v[4:5], s[24:25], v3, 24, v[19:20]
	v_mov_b32_e32 v44, v61
	flat_store_dwordx2 v[4:5], v[43:44] offset:8
.LBB6_67:                               ;   in Loop: Header=BB6_49 Depth=1
	s_or_b64 exec, exec, s[20:21]
	buffer_load_dword v4, off, s[0:3], s33 offset:76 ; 4-byte Folded Reload
	s_mov_b64 s[20:21], -1
                                        ; implicit-def: $vgpr8_vgpr9
	s_waitcnt vmcnt(0)
	v_and_b32_e32 v4, 0x100, v4
	v_cmp_ne_u32_e32 vcc, 0, v4
	s_and_saveexec_b64 s[24:25], vcc
	s_cbranch_execz .LBB6_71
; %bb.68:                               ;   in Loop: Header=BB6_49 Depth=1
	v_mad_u64_u32 v[10:11], s[20:21], v3, 24, v[19:20]
                                        ; implicit-def: $vgpr8_vgpr9
	v_mov_b32_e32 v4, v11
	v_mad_u64_u32 v[4:5], s[20:21], v61, 24, v[4:5]
	v_mov_b32_e32 v11, v4
	flat_load_dword v4, v[10:11]
	s_waitcnt vmcnt(0) lgkmcnt(0)
	v_cmp_ne_u32_e32 vcc, 1, v4
	v_cmp_eq_u32_e64 s[20:21], 1, v4
	s_and_saveexec_b64 s[26:27], s[20:21]
	s_cbranch_execz .LBB6_70
; %bb.69:                               ;   in Loop: Header=BB6_49 Depth=1
	flat_load_dword v8, v[10:11] offset:4 glc
	s_waitcnt vmcnt(0) lgkmcnt(0)
	v_ashrrev_i32_e32 v9, 31, v8
.LBB6_70:                               ;   in Loop: Header=BB6_49 Depth=1
	s_or_b64 exec, exec, s[26:27]
	s_orn2_b64 s[20:21], vcc, exec
.LBB6_71:                               ;   in Loop: Header=BB6_49 Depth=1
	s_or_b64 exec, exec, s[24:25]
	s_and_saveexec_b64 s[24:25], s[20:21]
	s_cbranch_execz .LBB6_73
; %bb.72:                               ;   in Loop: Header=BB6_49 Depth=1
	buffer_load_dword v6, off, s[0:3], s33 offset:232 ; 4-byte Folded Reload
	v_mul_lo_u32 v5, v3, v38
	s_waitcnt vmcnt(0)
	v_mul_lo_u32 v4, v61, v6
	v_mad_u64_u32 v[8:9], s[20:21], v3, v6, 0
	v_add3_u32 v9, v9, v5, v4
.LBB6_73:                               ;   in Loop: Header=BB6_49 Depth=1
	s_or_b64 exec, exec, s[24:25]
	v_cmp_eq_u32_e32 vcc, 0, v2
	buffer_load_dword v2, off, s[0:3], s33 offset:212 ; 4-byte Folded Reload
	buffer_load_dword v3, off, s[0:3], s33 offset:216 ; 4-byte Folded Reload
	v_cndmask_b32_e32 v4, v52, v53, vcc
	v_add_u32_e32 v4, v0, v4
	s_waitcnt vmcnt(0)
	v_add_co_u32_e32 v2, vcc, v2, v8
	v_addc_co_u32_e32 v3, vcc, v3, v9, vcc
	ds_write_b64 v4, v[2:3] offset:584
	buffer_load_dword v2, off, s[0:3], s33 offset:76 ; 4-byte Folded Reload
	s_waitcnt vmcnt(0)
	v_and_b32_e32 v2, 0x2000, v2
	v_cmp_ne_u32_e32 vcc, 0, v2
	s_and_saveexec_b64 s[20:21], vcc
	s_cbranch_execz .LBB6_75
; %bb.74:                               ;   in Loop: Header=BB6_49 Depth=1
	ds_read_b64 v[2:3], v0 offset:872
	s_waitcnt lgkmcnt(0)
	v_add_co_u32_e32 v2, vcc, 1, v2
	v_addc_co_u32_e32 v3, vcc, 0, v3, vcc
	ds_write_b64 v0, v[2:3] offset:872
.LBB6_75:                               ;   in Loop: Header=BB6_49 Depth=1
	s_or_b64 exec, exec, s[20:21]
	v_mov_b32_e32 v22, v1
	v_mov_b32_e32 v21, v0
.LBB6_76:                               ;   in Loop: Header=BB6_49 Depth=1
	s_or_b64 exec, exec, s[22:23]
	s_and_saveexec_b64 s[20:21], s[10:11]
	s_cbranch_execz .LBB6_95
; %bb.77:                               ;   in Loop: Header=BB6_49 Depth=1
	s_and_saveexec_b64 s[22:23], s[56:57]
	s_xor_b64 s[22:23], exec, s[22:23]
	s_cbranch_execz .LBB6_92
; %bb.78:                               ;   in Loop: Header=BB6_49 Depth=1
	s_and_saveexec_b64 s[24:25], s[12:13]
	s_cbranch_execz .LBB6_91
; %bb.79:                               ;   in Loop: Header=BB6_49 Depth=1
	s_mov_b64 s[28:29], exec
	v_mbcnt_lo_u32_b32 v0, s28, 0
	v_mbcnt_hi_u32_b32 v0, s29, v0
	v_cmp_eq_u32_e32 vcc, 0, v0
	s_waitcnt lgkmcnt(0)
	buffer_wbinvl1_vol
	s_and_saveexec_b64 s[26:27], vcc
	s_cbranch_execz .LBB6_81
; %bb.80:                               ;   in Loop: Header=BB6_49 Depth=1
	s_bcnt1_i32_b64 s28, s[28:29]
	v_mov_b32_e32 v60, s28
	ds_add_u64 v0, v[60:61]
	s_trap 2
.LBB6_81:                               ;   in Loop: Header=BB6_49 Depth=1
	s_or_b64 exec, exec, s[26:27]
	s_trap 2
	ds_read_b64 v[0:1], v0
	s_waitcnt lgkmcnt(0)
	buffer_load_dword v2, off, s[0:3], s33 offset:80 ; 4-byte Folded Reload
	buffer_load_dword v3, off, s[0:3], s33 offset:84 ; 4-byte Folded Reload
	;; [unrolled: 1-line block ×3, first 2 shown]
	s_waitcnt vmcnt(0)
	v_add_co_u32_e32 v2, vcc, v2, v4
	v_addc_co_u32_e32 v3, vcc, 0, v3, vcc
	buffer_store_dword v2, off, s[0:3], s33 offset:80 ; 4-byte Folded Spill
	s_nop 0
	buffer_store_dword v3, off, s[0:3], s33 offset:84 ; 4-byte Folded Spill
	v_cmp_lt_u64_e32 vcc, v[0:1], v[2:3]
	s_and_saveexec_b64 s[26:27], vcc
	s_cbranch_execz .LBB6_90
; %bb.82:                               ;   in Loop: Header=BB6_49 Depth=1
	s_mov_b32 s36, 0
	s_mov_b64 s[28:29], 0
                                        ; implicit-def: $sgpr92_sgpr93
                                        ; implicit-def: $sgpr94_sgpr95
	s_branch .LBB6_84
.LBB6_83:                               ;   in Loop: Header=BB6_84 Depth=2
	s_or_b64 exec, exec, s[34:35]
	s_and_b64 vcc, exec, vcc
	s_or_b64 s[28:29], vcc, s[28:29]
	s_andn2_b64 s[92:93], s[92:93], exec
	s_and_b64 vcc, s[94:95], exec
	s_or_b64 s[92:93], s[92:93], vcc
	s_andn2_b64 exec, exec, s[28:29]
	s_cbranch_execz .LBB6_88
.LBB6_84:                               ;   Parent Loop BB6_49 Depth=1
                                        ; =>  This Inner Loop Header: Depth=2
	s_add_i32 s36, s36, 1
	s_cmpk_lg_i32 s36, 0x2710
	s_cselect_b64 s[30:31], -1, 0
	s_and_b64 vcc, exec, s[30:31]
	s_cbranch_vccz .LBB6_86
; %bb.85:                               ;   in Loop: Header=BB6_84 Depth=2
	s_mov_b64 vcc, -1
	s_or_b64 s[94:95], s[94:95], exec
	s_and_saveexec_b64 s[34:35], s[30:31]
	s_cbranch_execz .LBB6_83
	s_branch .LBB6_87
.LBB6_86:                               ;   in Loop: Header=BB6_84 Depth=2
	s_trap 2
	ds_read_b64 v[0:1], v0
	s_andn2_b64 s[30:31], s[30:31], exec
	s_mov_b32 s36, 0
	s_waitcnt vmcnt(0) lgkmcnt(0)
	flat_load_dword v0, v[0:1] glc
	s_waitcnt vmcnt(0) lgkmcnt(0)
	buffer_wbinvl1_vol
	v_cmp_eq_u32_e32 vcc, 0, v0
	s_and_b64 vcc, vcc, exec
	s_or_b64 s[30:31], s[30:31], vcc
	s_mov_b64 vcc, -1
	s_or_b64 s[94:95], s[94:95], exec
	s_and_saveexec_b64 s[34:35], s[30:31]
	s_cbranch_execz .LBB6_83
.LBB6_87:                               ;   in Loop: Header=BB6_84 Depth=2
	s_sleep 1
	s_trap 2
	ds_read_b64 v[0:1], v0
	s_waitcnt lgkmcnt(0)
	buffer_load_dword v2, off, s[0:3], s33 offset:80 ; 4-byte Folded Reload
	buffer_load_dword v3, off, s[0:3], s33 offset:84 ; 4-byte Folded Reload
	s_andn2_b64 s[94:95], s[94:95], exec
	s_waitcnt vmcnt(0)
	v_cmp_ge_u64_e32 vcc, v[0:1], v[2:3]
	s_orn2_b64 vcc, vcc, exec
	s_branch .LBB6_83
.LBB6_88:                               ;   in Loop: Header=BB6_49 Depth=1
	s_or_b64 exec, exec, s[28:29]
	s_and_saveexec_b64 s[28:29], s[92:93]
	s_xor_b64 s[28:29], exec, s[28:29]
	s_cbranch_execz .LBB6_90
; %bb.89:                               ;   in Loop: Header=BB6_49 Depth=1
	ds_write_b32 v0, v51
	s_trap 2
.LBB6_90:                               ;   in Loop: Header=BB6_49 Depth=1
	s_or_b64 exec, exec, s[26:27]
	;;#ASMSTART
	s_wakeup
	;;#ASMEND
.LBB6_91:                               ;   in Loop: Header=BB6_49 Depth=1
	s_or_b64 exec, exec, s[24:25]
.LBB6_92:                               ;   in Loop: Header=BB6_49 Depth=1
	s_andn2_saveexec_b64 s[22:23], s[22:23]
	s_cbranch_execz .LBB6_94
; %bb.93:                               ;   in Loop: Header=BB6_49 Depth=1
	s_waitcnt vmcnt(0) lgkmcnt(0)
	buffer_wbinvl1_vol
	s_barrier
.LBB6_94:                               ;   in Loop: Header=BB6_49 Depth=1
	s_or_b64 exec, exec, s[22:23]
.LBB6_95:                               ;   in Loop: Header=BB6_49 Depth=1
	s_or_b64 exec, exec, s[20:21]
	s_trap 2
	buffer_load_dword v1, off, s[0:3], s33 offset:76 ; 4-byte Folded Reload
	ds_read_b32 v0, v0
	s_waitcnt vmcnt(0)
	v_and_b32_e32 v1, 0x4000, v1
	v_cmp_ne_u32_e32 vcc, 0, v1
	s_and_b64 s[22:23], s[62:63], vcc
	s_and_saveexec_b64 s[20:21], s[22:23]
	s_cbranch_execz .LBB6_114
; %bb.96:                               ;   in Loop: Header=BB6_49 Depth=1
	s_and_saveexec_b64 s[22:23], s[56:57]
	s_xor_b64 s[22:23], exec, s[22:23]
	s_cbranch_execz .LBB6_111
; %bb.97:                               ;   in Loop: Header=BB6_49 Depth=1
	s_and_saveexec_b64 s[24:25], s[12:13]
	s_cbranch_execz .LBB6_110
; %bb.98:                               ;   in Loop: Header=BB6_49 Depth=1
	s_mov_b64 s[28:29], exec
	v_mbcnt_lo_u32_b32 v1, s28, 0
	v_mbcnt_hi_u32_b32 v1, s29, v1
	v_cmp_eq_u32_e32 vcc, 0, v1
	s_waitcnt lgkmcnt(0)
	buffer_wbinvl1_vol
	s_and_saveexec_b64 s[26:27], vcc
	s_cbranch_execz .LBB6_100
; %bb.99:                               ;   in Loop: Header=BB6_49 Depth=1
	s_bcnt1_i32_b64 s28, s[28:29]
	v_mov_b32_e32 v60, s28
	ds_add_u64 v0, v[60:61]
	s_trap 2
.LBB6_100:                              ;   in Loop: Header=BB6_49 Depth=1
	s_or_b64 exec, exec, s[26:27]
	s_trap 2
	ds_read_b64 v[1:2], v0
	s_waitcnt lgkmcnt(0)
	buffer_load_dword v3, off, s[0:3], s33 offset:80 ; 4-byte Folded Reload
	buffer_load_dword v4, off, s[0:3], s33 offset:84 ; 4-byte Folded Reload
	;; [unrolled: 1-line block ×3, first 2 shown]
	s_waitcnt vmcnt(0)
	v_add_co_u32_e32 v3, vcc, v3, v5
	v_addc_co_u32_e32 v4, vcc, 0, v4, vcc
	buffer_store_dword v3, off, s[0:3], s33 offset:80 ; 4-byte Folded Spill
	s_nop 0
	buffer_store_dword v4, off, s[0:3], s33 offset:84 ; 4-byte Folded Spill
	v_cmp_lt_u64_e32 vcc, v[1:2], v[3:4]
	s_and_saveexec_b64 s[26:27], vcc
	s_cbranch_execz .LBB6_109
; %bb.101:                              ;   in Loop: Header=BB6_49 Depth=1
	s_mov_b32 s36, 0
	s_mov_b64 s[28:29], 0
                                        ; implicit-def: $sgpr92_sgpr93
                                        ; implicit-def: $sgpr94_sgpr95
	s_branch .LBB6_103
.LBB6_102:                              ;   in Loop: Header=BB6_103 Depth=2
	s_or_b64 exec, exec, s[34:35]
	s_and_b64 vcc, exec, vcc
	s_or_b64 s[28:29], vcc, s[28:29]
	s_andn2_b64 s[92:93], s[92:93], exec
	s_and_b64 vcc, s[94:95], exec
	s_or_b64 s[92:93], s[92:93], vcc
	s_andn2_b64 exec, exec, s[28:29]
	s_cbranch_execz .LBB6_107
.LBB6_103:                              ;   Parent Loop BB6_49 Depth=1
                                        ; =>  This Inner Loop Header: Depth=2
	s_add_i32 s36, s36, 1
	s_cmpk_lg_i32 s36, 0x2710
	s_cselect_b64 s[30:31], -1, 0
	s_and_b64 vcc, exec, s[30:31]
	s_cbranch_vccz .LBB6_105
; %bb.104:                              ;   in Loop: Header=BB6_103 Depth=2
	s_mov_b64 vcc, -1
	s_or_b64 s[94:95], s[94:95], exec
	s_and_saveexec_b64 s[34:35], s[30:31]
	s_cbranch_execz .LBB6_102
	s_branch .LBB6_106
.LBB6_105:                              ;   in Loop: Header=BB6_103 Depth=2
	s_trap 2
	ds_read_b64 v[1:2], v0
	s_andn2_b64 s[30:31], s[30:31], exec
	s_mov_b32 s36, 0
	s_waitcnt vmcnt(0) lgkmcnt(0)
	flat_load_dword v1, v[1:2] glc
	s_waitcnt vmcnt(0) lgkmcnt(0)
	buffer_wbinvl1_vol
	v_cmp_eq_u32_e32 vcc, 0, v1
	s_and_b64 vcc, vcc, exec
	s_or_b64 s[30:31], s[30:31], vcc
	s_mov_b64 vcc, -1
	s_or_b64 s[94:95], s[94:95], exec
	s_and_saveexec_b64 s[34:35], s[30:31]
	s_cbranch_execz .LBB6_102
.LBB6_106:                              ;   in Loop: Header=BB6_103 Depth=2
	s_sleep 1
	s_trap 2
	ds_read_b64 v[1:2], v0
	s_waitcnt lgkmcnt(0)
	buffer_load_dword v3, off, s[0:3], s33 offset:80 ; 4-byte Folded Reload
	buffer_load_dword v4, off, s[0:3], s33 offset:84 ; 4-byte Folded Reload
	s_andn2_b64 s[94:95], s[94:95], exec
	s_waitcnt vmcnt(0)
	v_cmp_ge_u64_e32 vcc, v[1:2], v[3:4]
	s_orn2_b64 vcc, vcc, exec
	s_branch .LBB6_102
.LBB6_107:                              ;   in Loop: Header=BB6_49 Depth=1
	s_or_b64 exec, exec, s[28:29]
	s_and_saveexec_b64 s[28:29], s[92:93]
	s_xor_b64 s[28:29], exec, s[28:29]
	s_cbranch_execz .LBB6_109
; %bb.108:                              ;   in Loop: Header=BB6_49 Depth=1
	ds_write_b32 v0, v51
	s_trap 2
.LBB6_109:                              ;   in Loop: Header=BB6_49 Depth=1
	s_or_b64 exec, exec, s[26:27]
	;;#ASMSTART
	s_wakeup
	;;#ASMEND
.LBB6_110:                              ;   in Loop: Header=BB6_49 Depth=1
	s_or_b64 exec, exec, s[24:25]
.LBB6_111:                              ;   in Loop: Header=BB6_49 Depth=1
	s_andn2_saveexec_b64 s[22:23], s[22:23]
	s_cbranch_execz .LBB6_113
; %bb.112:                              ;   in Loop: Header=BB6_49 Depth=1
	s_waitcnt vmcnt(0) lgkmcnt(0)
	buffer_wbinvl1_vol
	s_barrier
.LBB6_113:                              ;   in Loop: Header=BB6_49 Depth=1
	s_or_b64 exec, exec, s[22:23]
.LBB6_114:                              ;   in Loop: Header=BB6_49 Depth=1
	s_or_b64 exec, exec, s[20:21]
	s_trap 2
	s_waitcnt lgkmcnt(0)
	ds_read_b64 v[56:57], v0
	s_waitcnt lgkmcnt(0)
	v_cmp_eq_u64_e32 vcc, 0, v[56:57]
	s_cbranch_vccnz .LBB6_122
; %bb.115:                              ;   in Loop: Header=BB6_49 Depth=1
	s_trap 2
	ds_read_b64 v[44:45], v0
	s_waitcnt lgkmcnt(0)
	v_cmp_eq_u64_e32 vcc, 0, v[44:45]
	s_cbranch_vccnz .LBB6_122
; %bb.116:                              ;   in Loop: Header=BB6_49 Depth=1
	s_trap 2
	ds_read_b64 v[1:2], v0
	s_mov_b64 s[22:23], -1
	s_waitcnt lgkmcnt(0)
	v_readfirstlane_b32 s67, v1
	s_and_saveexec_b64 s[20:21], s[14:15]
	s_cbranch_execz .LBB6_118
; %bb.117:                              ;   in Loop: Header=BB6_49 Depth=1
	ds_read_b32 v1, v0 offset:720
	s_waitcnt lgkmcnt(0)
	v_and_b32_e32 v1, 15, v1
	v_cmp_eq_u32_e32 vcc, 0, v1
	s_orn2_b64 s[22:23], vcc, exec
.LBB6_118:                              ;   in Loop: Header=BB6_49 Depth=1
	s_or_b64 exec, exec, s[20:21]
	s_and_saveexec_b64 s[20:21], s[16:17]
	s_cbranch_execz .LBB6_120
; %bb.119:                              ;   in Loop: Header=BB6_49 Depth=1
	ds_read_b32 v1, v0 offset:784
	s_waitcnt lgkmcnt(0)
	v_and_b32_e32 v1, 15, v1
	v_cmp_eq_u32_e32 vcc, 0, v1
	s_and_b64 s[24:25], s[22:23], vcc
	s_andn2_b64 s[22:23], s[22:23], exec
	s_and_b64 s[24:25], s[24:25], exec
	s_or_b64 s[22:23], s[22:23], s[24:25]
.LBB6_120:                              ;   in Loop: Header=BB6_49 Depth=1
	s_or_b64 exec, exec, s[20:21]
	buffer_store_dword v19, off, s[0:3], s33 offset:236 ; 4-byte Folded Spill
	s_nop 0
	buffer_store_dword v20, off, s[0:3], s33 offset:240 ; 4-byte Folded Spill
	buffer_store_dword v21, off, s[0:3], s33 offset:244 ; 4-byte Folded Spill
	;; [unrolled: 1-line block ×3, first 2 shown]
	buffer_load_dword v2, off, s[0:3], s33 offset:220 ; 4-byte Folded Reload
	v_cmp_eq_u32_e32 vcc, 0, v0
	s_xor_b64 s[22:23], s[22:23], -1
	v_cndmask_b32_e32 v55, 0, v43, vcc
	v_cndmask_b32_e64 v0, 0, 1, s[22:23]
	s_mov_b64 s[20:21], -1
	v_cmp_ne_u32_e32 vcc, 0, v0
	v_mov_b32_e32 v7, 0
	v_mov_b32_e32 v3, v55
	s_cbranch_vccz .LBB6_123
; %bb.121:                              ;   in Loop: Header=BB6_49 Depth=1
	s_and_saveexec_b64 s[26:27], s[20:21]
	s_cbranch_execnz .LBB6_3654
; %bb.10806:                            ;   in Loop: Header=BB6_49 Depth=1
	s_getpc_b64 s[68:69]
.Lpost_getpc2:
	s_add_u32 s68, s68, (.LBB6_5246-.Lpost_getpc2)&4294967295
	s_addc_u32 s69, s69, (.LBB6_5246-.Lpost_getpc2)>>32
	s_setpc_b64 s[68:69]
.LBB6_122:                              ;   in Loop: Header=BB6_49 Depth=1
	s_mov_b64 s[20:21], 0
	s_and_saveexec_b64 s[22:23], s[10:11]
	s_cbranch_execz .LBB6_10808
; %bb.10830:                            ;   in Loop: Header=BB6_49 Depth=1
	s_getpc_b64 s[68:69]
.Lpost_getpc14:
	s_add_u32 s68, s68, (.LBB6_5247-.Lpost_getpc14)&4294967295
	s_addc_u32 s69, s69, (.LBB6_5247-.Lpost_getpc14)>>32
	s_setpc_b64 s[68:69]
.LBB6_10808:                            ;   in Loop: Header=BB6_49 Depth=1
	s_getpc_b64 s[68:69]
.Lpost_getpc3:
	s_add_u32 s68, s68, (.LBB6_5265-.Lpost_getpc3)&4294967295
	s_addc_u32 s69, s69, (.LBB6_5265-.Lpost_getpc3)>>32
	s_setpc_b64 s[68:69]
.LBB6_123:                              ;   in Loop: Header=BB6_49 Depth=1
	buffer_load_dword v1, off, s[0:3], s33 offset:332 ; 4-byte Folded Reload
	v_lshrrev_b32_e32 v0, 12, v55
	s_waitcnt vmcnt(0)
	v_sub_u32_e32 v5, v0, v1
	v_cmp_lt_i32_e32 vcc, 0, v5
	s_and_saveexec_b64 s[24:25], vcc
	s_cbranch_execz .LBB6_2943
; %bb.124:                              ;   in Loop: Header=BB6_49 Depth=1
	buffer_store_dword v55, off, s[0:3], s33 offset:304 ; 4-byte Folded Spill
	buffer_store_dword v43, off, s[0:3], s33 offset:296 ; 4-byte Folded Spill
	s_nop 0
	buffer_store_dword v44, off, s[0:3], s33 offset:300 ; 4-byte Folded Spill
	buffer_store_dword v42, off, s[0:3], s33 offset:284 ; 4-byte Folded Spill
	s_nop 0
	;; [unrolled: 3-line block ×3, first 2 shown]
	buffer_store_dword v50, off, s[0:3], s33 offset:280 ; 4-byte Folded Spill
	s_trap 2
	buffer_load_dword v4, off, s[0:3], s33 offset:356 ; 4-byte Folded Reload
	ds_read_b64 v[2:3], v0
	s_bitcmp1_b32 s67, 0
	s_mov_b64 s[26:27], 0
	s_cselect_b64 s[28:29], -1, 0
	s_waitcnt vmcnt(0)
	v_add_co_u32_e32 v0, vcc, v56, v4
	buffer_store_dword v56, off, s[0:3], s33 offset:344 ; 4-byte Folded Spill
	s_nop 0
	buffer_store_dword v57, off, s[0:3], s33 offset:348 ; 4-byte Folded Spill
	v_addc_co_u32_e32 v1, vcc, 0, v57, vcc
	s_waitcnt lgkmcnt(0)
	v_add_co_u32_e32 v52, vcc, v2, v4
	v_addc_co_u32_e32 v53, vcc, 0, v3, vcc
	v_add_co_u32_e32 v58, vcc, v44, v4
	buffer_store_dword v44, off, s[0:3], s33 offset:336 ; 4-byte Folded Spill
	s_nop 0
	buffer_store_dword v45, off, s[0:3], s33 offset:340 ; 4-byte Folded Spill
	v_addc_co_u32_e32 v59, vcc, 0, v45, vcc
	s_branch .LBB6_126
.LBB6_125:                              ;   in Loop: Header=BB6_126 Depth=2
	s_or_b64 exec, exec, s[20:21]
	buffer_load_dword v11, off, s[0:3], s33 offset:204 ; 4-byte Folded Reload
	buffer_load_dword v17, off, s[0:3], s33 offset:112 ; 4-byte Folded Reload
	v_lshl_or_b32 v12, v34, 8, v35
	v_lshlrev_b32_e32 v13, 16, v28
	v_lshlrev_b32_e32 v15, 24, v45
	;; [unrolled: 1-line block ×5, first 2 shown]
	v_lshl_or_b32 v3, v18, 8, v3
	s_waitcnt vmcnt(1)
	v_lshl_or_b32 v11, v11, 8, v50
	s_waitcnt vmcnt(0)
	v_lshlrev_b32_e32 v17, 24, v17
	v_or3_b32 v34, v11, v13, v15
	v_or3_b32 v33, v12, v16, v17
	v_lshl_or_b32 v11, v54, 8, v43
	v_lshlrev_b32_e32 v12, 16, v38
	v_or3_b32 v35, v11, v12, v4
	v_lshl_or_b32 v4, v7, 8, v6
	v_lshlrev_b32_e32 v6, 24, v9
	v_lshlrev_b32_e32 v7, 16, v8
	v_or3_b32 v36, v4, v7, v6
	buffer_load_dword v4, off, s[0:3], s33 offset:148 ; 4-byte Folded Reload
	buffer_load_dword v6, off, s[0:3], s33 offset:152 ; 4-byte Folded Reload
	;; [unrolled: 1-line block ×3, first 2 shown]
	v_lshl_or_b32 v8, v49, 8, v51
	s_waitcnt vmcnt(2)
	v_lshl_or_b32 v4, v4, 8, v47
	s_waitcnt vmcnt(1)
	v_lshlrev_b32_e32 v6, 16, v6
	s_waitcnt vmcnt(0)
	v_lshlrev_b32_e32 v7, 24, v7
	v_or3_b32 v7, v4, v6, v7
	buffer_load_dword v6, off, s[0:3], s33 offset:104 ; 4-byte Folded Reload
	v_lshlrev_b32_e32 v4, 16, v60
	s_waitcnt vmcnt(0)
	v_lshlrev_b32_e32 v6, 24, v6
	v_or3_b32 v6, v8, v4, v6
	buffer_load_dword v4, off, s[0:3], s33 offset:160 ; 4-byte Folded Reload
	buffer_load_dword v8, off, s[0:3], s33 offset:164 ; 4-byte Folded Reload
	;; [unrolled: 1-line block ×5, first 2 shown]
	s_waitcnt vmcnt(3)
	v_lshl_or_b32 v4, v8, 8, v4
	buffer_load_dword v8, off, s[0:3], s33 offset:168 ; 4-byte Folded Reload
	s_waitcnt vmcnt(3)
	v_lshl_or_b32 v11, v11, 8, v32
	s_waitcnt vmcnt(1)
	v_lshlrev_b32_e32 v9, 24, v9
	v_lshlrev_b32_e32 v12, 24, v12
	s_waitcnt vmcnt(0)
	v_lshlrev_b32_e32 v8, 16, v8
	v_or3_b32 v8, v4, v8, v9
	v_lshlrev_b32_e32 v4, 24, v42
	v_lshlrev_b32_e32 v9, 16, v29
	v_or3_b32 v9, v11, v9, v4
	v_lshl_or_b32 v4, v39, 8, v46
	v_lshlrev_b32_e32 v11, 16, v30
	v_or3_b32 v29, v4, v11, v12
	buffer_load_dword v4, off, s[0:3], s33 offset:136 ; 4-byte Folded Reload
	buffer_load_dword v11, off, s[0:3], s33 offset:144 ; 4-byte Folded Reload
	v_lshlrev_b32_e32 v12, 24, v44
	s_waitcnt vmcnt(0)
	v_lshl_or_b32 v4, v4, 8, v11
	buffer_load_dword v11, off, s[0:3], s33 offset:196 ; 4-byte Folded Reload
	s_waitcnt vmcnt(0)
	v_lshlrev_b32_e32 v11, 16, v11
	v_or3_b32 v28, v4, v11, v12
	buffer_load_dword v4, off, s[0:3], s33 offset:192 ; 4-byte Folded Reload
	buffer_load_dword v12, off, s[0:3], s33 offset:88 ; 4-byte Folded Reload
	v_lshlrev_b32_e32 v11, 16, v37
	s_waitcnt vmcnt(1)
	v_lshl_or_b32 v4, v19, 8, v4
	s_waitcnt vmcnt(0)
	v_lshlrev_b32_e32 v12, 24, v12
	v_or3_b32 v30, v4, v11, v12
	buffer_load_dword v12, off, s[0:3], s33 offset:124 ; 4-byte Folded Reload
	buffer_load_dword v13, off, s[0:3], s33 offset:132 ; 4-byte Folded Reload
	v_lshlrev_b32_e32 v4, 24, v48
	v_lshlrev_b32_e32 v11, 16, v40
	s_waitcnt vmcnt(0)
	v_lshl_or_b32 v12, v12, 8, v13
	v_or3_b32 v31, v12, v11, v4
	v_lshl_or_b32 v4, v26, 8, v21
	v_lshlrev_b32_e32 v11, 16, v20
	v_lshlrev_b32_e32 v12, 24, v27
	v_or3_b32 v12, v4, v11, v12
	v_lshl_or_b32 v4, v23, 8, v22
	v_lshlrev_b32_e32 v11, 16, v24
	v_lshlrev_b32_e32 v13, 24, v25
	v_or3_b32 v11, v4, v11, v13
	v_lshl_or_b32 v4, v57, 8, v56
	v_lshlrev_b32_e32 v13, 16, v55
	v_or3_b32 v13, v4, v13, v2
	v_lshlrev_b32_e32 v2, 24, v10
	v_lshlrev_b32_e32 v4, 16, v14
	v_or3_b32 v14, v3, v4, v2
	global_store_dwordx4 v[58:59], v[28:31], off glc slc
	global_store_dwordx4 v[58:59], v[6:9], off offset:1024 glc slc
	global_store_dwordx4 v[58:59], v[33:36], off offset:2048 glc slc
	;; [unrolled: 1-line block ×3, first 2 shown]
	buffer_load_dword v3, off, s[0:3], s33 offset:100 ; 4-byte Folded Reload
	s_waitcnt vmcnt(0)
	v_lshlrev_b32_e32 v2, 12, v3
	v_add_co_u32_e32 v0, vcc, v0, v2
	v_addc_co_u32_e32 v1, vcc, 0, v1, vcc
	v_add_co_u32_e32 v52, vcc, v52, v2
	v_addc_co_u32_e32 v53, vcc, 0, v53, vcc
	v_sub_u32_e32 v5, v5, v3
	v_cmp_gt_i32_e32 vcc, 1, v5
	s_or_b64 s[26:27], vcc, s[26:27]
	v_add_co_u32_e32 v58, vcc, v58, v2
	v_addc_co_u32_e32 v59, vcc, 0, v59, vcc
	s_andn2_b64 exec, exec, s[26:27]
	s_cbranch_execz .LBB6_2942
.LBB6_126:                              ;   Parent Loop BB6_49 Depth=1
                                        ; =>  This Inner Loop Header: Depth=2
	global_load_dwordx4 v[48:51], v[0:1], off glc slc
	global_load_dwordx4 v[32:35], v[0:1], off offset:1024 glc slc
	global_load_dwordx4 v[22:25], v[0:1], off offset:2048 glc slc
	;; [unrolled: 1-line block ×3, first 2 shown]
	global_load_dwordx4 v[36:39], v[52:53], off glc slc
	global_load_dwordx4 v[26:29], v[52:53], off offset:1024 glc slc
	global_load_dwordx4 v[18:21], v[52:53], off offset:2048 glc slc
	;; [unrolled: 1-line block ×3, first 2 shown]
	s_mov_b64 s[22:23], -1
	s_and_b64 vcc, exec, s[28:29]
                                        ; implicit-def: $vgpr3
	s_waitcnt vmcnt(7)
	v_cmp_ne_u16_sdwa s[20:21], v48, v61 src0_sel:BYTE_0 src1_sel:DWORD
	s_cbranch_vccz .LBB6_140
; %bb.127:                              ;   in Loop: Header=BB6_126 Depth=2
	v_mov_b32_e32 v3, 0
	v_mov_b32_e32 v2, 0
	s_and_saveexec_b64 s[22:23], s[20:21]
	s_cbranch_execz .LBB6_133
; %bb.128:                              ;   in Loop: Header=BB6_126 Depth=2
	v_cmp_ne_u16_sdwa s[94:95], v48, s53 src0_sel:BYTE_0 src1_sel:DWORD
	v_bfrev_b32_e32 v2, 1
	s_and_saveexec_b64 s[92:93], s[94:95]
	s_cbranch_execz .LBB6_132
; %bb.129:                              ;   in Loop: Header=BB6_126 Depth=2
	v_and_b32_e32 v4, 0x7f, v48
	v_cmp_ne_u32_e32 vcc, s54, v4
	v_mov_b32_e32 v2, 0x7f800001
	s_and_saveexec_b64 s[94:95], vcc
	s_cbranch_execz .LBB6_131
; %bb.130:                              ;   in Loop: Header=BB6_126 Depth=2
	v_and_b32_e32 v2, 7, v48
	v_ffbh_u32_e32 v2, v2
	v_min_u32_e32 v2, 32, v2
	v_lshrrev_b32_e32 v6, 3, v4
	v_cmp_gt_u32_e32 vcc, 8, v4
	v_subrev_u32_e32 v4, 28, v2
	v_sub_u32_e32 v2, 29, v2
	v_cndmask_b32_e32 v4, 0, v4, vcc
	v_cndmask_b32_e32 v2, v6, v2, vcc
	v_lshlrev_b64 v[6:7], v4, v[48:49]
	v_lshl_add_u32 v2, v2, 23, v62
	v_lshlrev_b32_e32 v4, 20, v6
	v_lshlrev_b32_e32 v6, 24, v48
	v_and_b32_e32 v4, 0x700000, v4
	v_and_b32_e32 v6, 0x80000000, v6
	v_or3_b32 v2, v6, v2, v4
.LBB6_131:                              ;   in Loop: Header=BB6_126 Depth=2
	s_or_b64 exec, exec, s[94:95]
.LBB6_132:                              ;   in Loop: Header=BB6_126 Depth=2
	s_or_b64 exec, exec, s[92:93]
.LBB6_133:                              ;   in Loop: Header=BB6_126 Depth=2
	s_or_b64 exec, exec, s[22:23]
	s_waitcnt vmcnt(3)
	v_cmp_ne_u16_sdwa s[92:93], v36, v61 src0_sel:BYTE_0 src1_sel:DWORD
	s_and_saveexec_b64 s[22:23], s[92:93]
	s_cbranch_execz .LBB6_139
; %bb.134:                              ;   in Loop: Header=BB6_126 Depth=2
	v_cmp_ne_u16_sdwa s[94:95], v36, s53 src0_sel:BYTE_0 src1_sel:DWORD
	v_bfrev_b32_e32 v3, 1
	s_and_saveexec_b64 s[92:93], s[94:95]
	s_cbranch_execz .LBB6_138
; %bb.135:                              ;   in Loop: Header=BB6_126 Depth=2
	v_and_b32_e32 v4, 0x7f, v36
	v_cmp_ne_u32_e32 vcc, s54, v4
	v_mov_b32_e32 v3, 0x7f800001
	s_and_saveexec_b64 s[94:95], vcc
	s_cbranch_execz .LBB6_137
; %bb.136:                              ;   in Loop: Header=BB6_126 Depth=2
	v_and_b32_e32 v3, 7, v36
	v_ffbh_u32_e32 v3, v3
	v_min_u32_e32 v3, 32, v3
	v_lshrrev_b32_e32 v6, 3, v4
	v_cmp_gt_u32_e32 vcc, 8, v4
	v_subrev_u32_e32 v4, 28, v3
	v_sub_u32_e32 v3, 29, v3
	v_cndmask_b32_e32 v6, v6, v3, vcc
	v_cndmask_b32_e32 v3, 0, v4, vcc
	v_lshlrev_b64 v[3:4], v3, v[36:37]
	v_lshlrev_b32_e32 v4, 24, v36
	v_lshlrev_b32_e32 v3, 20, v3
	v_and_b32_e32 v3, 0x700000, v3
	v_and_b32_e32 v4, 0x80000000, v4
	v_lshl_add_u32 v6, v6, 23, v62
	v_or3_b32 v3, v4, v6, v3
.LBB6_137:                              ;   in Loop: Header=BB6_126 Depth=2
	s_or_b64 exec, exec, s[94:95]
.LBB6_138:                              ;   in Loop: Header=BB6_126 Depth=2
	s_or_b64 exec, exec, s[92:93]
.LBB6_139:                              ;   in Loop: Header=BB6_126 Depth=2
	s_or_b64 exec, exec, s[22:23]
	v_max_f32_e32 v3, v3, v3
	v_max_f32_e32 v2, v2, v2
	;; [unrolled: 1-line block ×3, first 2 shown]
	s_mov_b64 s[22:23], 0
.LBB6_140:                              ;   in Loop: Header=BB6_126 Depth=2
	s_and_b64 vcc, exec, s[22:23]
	s_cbranch_vccz .LBB6_154
; %bb.141:                              ;   in Loop: Header=BB6_126 Depth=2
	v_mov_b32_e32 v3, 0
	v_mov_b32_e32 v2, 0
	s_and_saveexec_b64 s[22:23], s[20:21]
	s_cbranch_execz .LBB6_147
; %bb.142:                              ;   in Loop: Header=BB6_126 Depth=2
	v_cmp_ne_u16_sdwa s[92:93], v48, s53 src0_sel:BYTE_0 src1_sel:DWORD
	v_bfrev_b32_e32 v2, 1
	s_and_saveexec_b64 s[20:21], s[92:93]
	s_cbranch_execz .LBB6_146
; %bb.143:                              ;   in Loop: Header=BB6_126 Depth=2
	v_and_b32_e32 v4, 0x7f, v48
	v_cmp_ne_u32_e32 vcc, s54, v4
	v_mov_b32_e32 v2, 0x7f800001
	s_and_saveexec_b64 s[92:93], vcc
	s_cbranch_execz .LBB6_145
; %bb.144:                              ;   in Loop: Header=BB6_126 Depth=2
	v_and_b32_e32 v2, 7, v48
	v_ffbh_u32_e32 v2, v2
	v_min_u32_e32 v2, 32, v2
	v_lshrrev_b32_e32 v6, 3, v4
	v_cmp_gt_u32_e32 vcc, 8, v4
	v_subrev_u32_e32 v4, 28, v2
	v_sub_u32_e32 v2, 29, v2
	v_cndmask_b32_e32 v4, 0, v4, vcc
	v_cndmask_b32_e32 v2, v6, v2, vcc
	v_lshlrev_b64 v[6:7], v4, v[48:49]
	v_lshl_add_u32 v2, v2, 23, v62
	v_lshlrev_b32_e32 v4, 20, v6
	v_lshlrev_b32_e32 v6, 24, v48
	v_and_b32_e32 v4, 0x700000, v4
	v_and_b32_e32 v6, 0x80000000, v6
	v_or3_b32 v2, v6, v2, v4
.LBB6_145:                              ;   in Loop: Header=BB6_126 Depth=2
	s_or_b64 exec, exec, s[92:93]
.LBB6_146:                              ;   in Loop: Header=BB6_126 Depth=2
	s_or_b64 exec, exec, s[20:21]
.LBB6_147:                              ;   in Loop: Header=BB6_126 Depth=2
	s_or_b64 exec, exec, s[22:23]
	s_waitcnt vmcnt(3)
	v_cmp_ne_u16_sdwa s[22:23], v36, v61 src0_sel:BYTE_0 src1_sel:DWORD
	s_and_saveexec_b64 s[20:21], s[22:23]
	s_cbranch_execz .LBB6_153
; %bb.148:                              ;   in Loop: Header=BB6_126 Depth=2
	v_cmp_ne_u16_sdwa s[92:93], v36, s53 src0_sel:BYTE_0 src1_sel:DWORD
	v_bfrev_b32_e32 v3, 1
	s_and_saveexec_b64 s[22:23], s[92:93]
	s_cbranch_execz .LBB6_152
; %bb.149:                              ;   in Loop: Header=BB6_126 Depth=2
	v_and_b32_e32 v4, 0x7f, v36
	v_cmp_ne_u32_e32 vcc, s54, v4
	v_mov_b32_e32 v3, 0x7f800001
	s_and_saveexec_b64 s[92:93], vcc
	s_cbranch_execz .LBB6_151
; %bb.150:                              ;   in Loop: Header=BB6_126 Depth=2
	v_and_b32_e32 v3, 7, v36
	v_ffbh_u32_e32 v3, v3
	v_min_u32_e32 v3, 32, v3
	v_lshrrev_b32_e32 v6, 3, v4
	v_cmp_gt_u32_e32 vcc, 8, v4
	v_subrev_u32_e32 v4, 28, v3
	v_sub_u32_e32 v3, 29, v3
	v_cndmask_b32_e32 v6, v6, v3, vcc
	v_cndmask_b32_e32 v3, 0, v4, vcc
	v_lshlrev_b64 v[3:4], v3, v[36:37]
	v_lshlrev_b32_e32 v4, 24, v36
	v_lshlrev_b32_e32 v3, 20, v3
	v_and_b32_e32 v3, 0x700000, v3
	v_and_b32_e32 v4, 0x80000000, v4
	v_lshl_add_u32 v6, v6, 23, v62
	v_or3_b32 v3, v4, v6, v3
.LBB6_151:                              ;   in Loop: Header=BB6_126 Depth=2
	s_or_b64 exec, exec, s[92:93]
.LBB6_152:                              ;   in Loop: Header=BB6_126 Depth=2
	s_or_b64 exec, exec, s[22:23]
.LBB6_153:                              ;   in Loop: Header=BB6_126 Depth=2
	s_or_b64 exec, exec, s[20:21]
	v_max_f32_e32 v3, v3, v3
	v_max_f32_e32 v2, v2, v2
	v_min_f32_e32 v3, v2, v3
.LBB6_154:                              ;   in Loop: Header=BB6_126 Depth=2
	v_and_b32_e32 v60, 0x7f800000, v3
	v_cmp_ne_u64_e32 vcc, s[72:73], v[60:61]
                                        ; implicit-def: $vgpr40
	s_and_saveexec_b64 s[20:21], vcc
	s_xor_b64 s[22:23], exec, s[20:21]
	s_cbranch_execz .LBB6_168
; %bb.155:                              ;   in Loop: Header=BB6_126 Depth=2
	v_and_b32_e32 v60, 0x7fffffff, v3
	v_cmp_gt_u64_e32 vcc, s[74:75], v[60:61]
	v_and_b32_sdwa v2, v3, s53 dst_sel:DWORD dst_unused:UNUSED_PAD src0_sel:BYTE_3 src1_sel:DWORD
                                        ; implicit-def: $vgpr40
	s_and_saveexec_b64 s[20:21], vcc
	s_xor_b64 s[92:93], exec, s[20:21]
	s_cbranch_execz .LBB6_165
; %bb.156:                              ;   in Loop: Header=BB6_126 Depth=2
	v_mov_b32_e32 v40, 0
	v_cmp_ne_u32_e32 vcc, 0, v3
	s_and_saveexec_b64 s[94:95], vcc
	s_cbranch_execz .LBB6_164
; %bb.157:                              ;   in Loop: Header=BB6_126 Depth=2
	v_and_b32_e32 v6, 0x7fffff, v3
	v_bfe_u32 v3, v3, 23, 8
	v_cmp_gt_u32_e64 s[20:21], s64, v3
	v_sub_u32_e32 v4, 0x79, v3
	v_cmp_eq_u32_e32 vcc, 0, v3
	v_cndmask_b32_e64 v4, 0, v4, s[20:21]
	v_mov_b32_e32 v8, 0x78
	v_or_b32_e32 v7, 0x800000, v6
	v_cndmask_b32_e32 v4, v4, v8, vcc
	v_cndmask_b32_e32 v60, v7, v6, vcc
	v_add_u32_e32 v6, 20, v4
	v_lshlrev_b64 v[6:7], v6, -1
	v_add_u32_e32 v8, 19, v4
	v_lshlrev_b64 v[8:9], v8, 1
	v_lshrrev_b64 v[30:31], v4, v[60:61]
	v_bfi_b32 v7, v7, 0, 0
	v_bfi_b32 v6, v6, 0, v60
	v_cmp_eq_u64_e64 s[20:21], v[6:7], v[8:9]
	v_mov_b32_e32 v43, v31
	v_mov_b32_e32 v42, v30
	s_and_saveexec_b64 s[30:31], s[20:21]
; %bb.158:                              ;   in Loop: Header=BB6_126 Depth=2
	v_bfe_u32 v6, v30, 20, 1
	v_add_co_u32_e64 v6, s[20:21], v30, v6
	v_add_co_u32_e64 v42, s[20:21], -1, v6
; %bb.159:                              ;   in Loop: Header=BB6_126 Depth=2
	s_or_b64 exec, exec, s[30:31]
	v_add_u32_e32 v3, 0xffffff81, v3
	v_cndmask_b32_e32 v3, v3, v41, vcc
	v_lshrrev_b32_e32 v6, 23, v30
	v_add3_u32 v6, v4, v3, v6
	v_add_u32_e32 v4, 6, v6
	v_and_b32_e32 v3, 0xfffff, v42
	v_add_u32_e32 v60, v3, v30
	v_cmp_ne_u32_e32 vcc, 0, v4
                                        ; implicit-def: $vgpr30_vgpr31
                                        ; implicit-def: $vgpr3
	s_and_saveexec_b64 s[20:21], vcc
	s_xor_b64 s[20:21], exec, s[20:21]
; %bb.160:                              ;   in Loop: Header=BB6_126 Depth=2
	v_cmp_lt_u64_e32 vcc, s[76:77], v[60:61]
	v_add_u32_e32 v3, 7, v6
	v_cndmask_b32_e32 v3, v4, v3, vcc
	v_cndmask_b32_e64 v4, 0, 1, vcc
	v_lshrrev_b64 v[30:31], v4, v[60:61]
; %bb.161:                              ;   in Loop: Header=BB6_126 Depth=2
	s_andn2_saveexec_b64 s[20:21], s[20:21]
; %bb.162:                              ;   in Loop: Header=BB6_126 Depth=2
	v_mov_b32_e32 v30, v60
	v_bfe_u32 v3, v60, 23, 1
	v_mov_b32_e32 v31, v61
; %bb.163:                              ;   in Loop: Header=BB6_126 Depth=2
	s_or_b64 exec, exec, s[20:21]
	v_lshrrev_b64 v[6:7], 20, v[30:31]
	v_cmp_gt_i32_e32 vcc, 16, v3
	v_cndmask_b32_e32 v7, 0, v7, vcc
	v_cndmask_b32_e32 v6, 7, v6, vcc
	v_cmp_eq_u32_e32 vcc, 0, v3
	v_min_i32_e32 v3, 15, v3
	v_cmp_eq_u64_e64 s[20:21], 0, v[6:7]
	v_lshlrev_b32_e32 v3, 3, v3
	v_and_b32_e32 v3, 0xf8, v3
	v_and_or_b32 v3, v6, 7, v3
	s_and_b64 s[20:21], vcc, s[20:21]
	v_cndmask_b32_e64 v3, v3, 0, s[20:21]
	v_or_b32_e32 v40, v3, v2
.LBB6_164:                              ;   in Loop: Header=BB6_126 Depth=2
	s_or_b64 exec, exec, s[94:95]
                                        ; implicit-def: $vgpr2
.LBB6_165:                              ;   in Loop: Header=BB6_126 Depth=2
	s_andn2_saveexec_b64 s[20:21], s[92:93]
; %bb.166:                              ;   in Loop: Header=BB6_126 Depth=2
	v_or_b32_e32 v40, 0x7e, v2
; %bb.167:                              ;   in Loop: Header=BB6_126 Depth=2
	s_or_b64 exec, exec, s[20:21]
                                        ; implicit-def: $vgpr3
.LBB6_168:                              ;   in Loop: Header=BB6_126 Depth=2
	s_andn2_saveexec_b64 s[20:21], s[22:23]
; %bb.169:                              ;   in Loop: Header=BB6_126 Depth=2
	v_or_b32_sdwa v40, v3, s54 dst_sel:DWORD dst_unused:UNUSED_PAD src0_sel:BYTE_3 src1_sel:DWORD
; %bb.170:                              ;   in Loop: Header=BB6_126 Depth=2
	s_or_b64 exec, exec, s[20:21]
	v_lshrrev_b16_e32 v42, 8, v48
	s_waitcnt vmcnt(3)
	v_lshrrev_b16_e32 v31, 8, v36
	v_cmp_ne_u16_e64 s[20:21], 0, v42
	s_mov_b64 s[22:23], -1
	s_and_b64 vcc, exec, s[28:29]
                                        ; implicit-def: $vgpr3
	s_cbranch_vccz .LBB6_184
; %bb.171:                              ;   in Loop: Header=BB6_126 Depth=2
	v_mov_b32_e32 v3, 0
	v_mov_b32_e32 v2, 0
	s_and_saveexec_b64 s[22:23], s[20:21]
	s_cbranch_execz .LBB6_177
; %bb.172:                              ;   in Loop: Header=BB6_126 Depth=2
	v_cmp_ne_u16_e32 vcc, s53, v42
	v_bfrev_b32_e32 v2, 1
	s_and_saveexec_b64 s[92:93], vcc
	s_cbranch_execz .LBB6_176
; %bb.173:                              ;   in Loop: Header=BB6_126 Depth=2
	v_and_b32_e32 v4, 0x7f, v42
	v_cmp_ne_u32_e32 vcc, s54, v4
	v_mov_b32_e32 v2, 0x7f800001
	s_and_saveexec_b64 s[94:95], vcc
	s_cbranch_execz .LBB6_175
; %bb.174:                              ;   in Loop: Header=BB6_126 Depth=2
	v_and_b32_e32 v2, 7, v42
	v_lshrrev_b32_e32 v8, 3, v4
	v_cmp_gt_u32_e32 vcc, 8, v4
	v_ffbh_u32_e32 v4, v2
	v_min_u32_e32 v4, 32, v4
	v_subrev_u32_e32 v6, 28, v4
	v_lshlrev_b64 v[6:7], v6, v[42:43]
	v_sub_u32_e32 v4, 29, v4
	v_and_b32_e32 v6, 7, v6
	v_cndmask_b32_e32 v4, v8, v4, vcc
	v_cndmask_b32_e32 v2, v2, v6, vcc
	v_lshlrev_b32_e32 v6, 16, v48
	v_lshlrev_b32_e32 v2, 20, v2
	v_and_b32_e32 v6, 0x80000000, v6
	v_lshl_add_u32 v4, v4, 23, v62
	v_or3_b32 v2, v6, v4, v2
.LBB6_175:                              ;   in Loop: Header=BB6_126 Depth=2
	s_or_b64 exec, exec, s[94:95]
.LBB6_176:                              ;   in Loop: Header=BB6_126 Depth=2
	s_or_b64 exec, exec, s[92:93]
.LBB6_177:                              ;   in Loop: Header=BB6_126 Depth=2
	s_or_b64 exec, exec, s[22:23]
	v_cmp_ne_u16_e32 vcc, 0, v31
	s_and_saveexec_b64 s[22:23], vcc
	s_cbranch_execz .LBB6_183
; %bb.178:                              ;   in Loop: Header=BB6_126 Depth=2
	v_cmp_ne_u16_e32 vcc, s53, v31
	v_bfrev_b32_e32 v3, 1
	s_and_saveexec_b64 s[92:93], vcc
	s_cbranch_execz .LBB6_182
; %bb.179:                              ;   in Loop: Header=BB6_126 Depth=2
	v_and_b32_e32 v4, 0x7f, v31
	v_cmp_ne_u32_e32 vcc, s54, v4
	v_mov_b32_e32 v3, 0x7f800001
	s_and_saveexec_b64 s[94:95], vcc
	s_cbranch_execz .LBB6_181
; %bb.180:                              ;   in Loop: Header=BB6_126 Depth=2
	v_and_b32_e32 v6, 7, v31
	v_ffbh_u32_e32 v3, v6
	v_min_u32_e32 v8, 32, v3
	v_subrev_u32_e32 v3, 28, v8
	v_lshrrev_b32_e32 v7, 3, v4
	v_cmp_gt_u32_e32 vcc, 8, v4
	v_lshlrev_b64 v[3:4], v3, v[31:32]
	v_sub_u32_e32 v4, 29, v8
	v_and_b32_e32 v3, 7, v3
	v_cndmask_b32_e32 v4, v7, v4, vcc
	v_cndmask_b32_e32 v3, v6, v3, vcc
	v_lshlrev_b32_e32 v6, 16, v36
	v_lshlrev_b32_e32 v3, 20, v3
	v_and_b32_e32 v6, 0x80000000, v6
	v_lshl_add_u32 v4, v4, 23, v62
	v_or3_b32 v3, v6, v4, v3
.LBB6_181:                              ;   in Loop: Header=BB6_126 Depth=2
	s_or_b64 exec, exec, s[94:95]
.LBB6_182:                              ;   in Loop: Header=BB6_126 Depth=2
	s_or_b64 exec, exec, s[92:93]
.LBB6_183:                              ;   in Loop: Header=BB6_126 Depth=2
	s_or_b64 exec, exec, s[22:23]
	v_max_f32_e32 v3, v3, v3
	v_max_f32_e32 v2, v2, v2
	;; [unrolled: 1-line block ×3, first 2 shown]
	s_mov_b64 s[22:23], 0
.LBB6_184:                              ;   in Loop: Header=BB6_126 Depth=2
	s_and_b64 vcc, exec, s[22:23]
	s_cbranch_vccz .LBB6_198
; %bb.185:                              ;   in Loop: Header=BB6_126 Depth=2
	v_mov_b32_e32 v3, 0
	v_mov_b32_e32 v2, 0
	s_and_saveexec_b64 s[22:23], s[20:21]
	s_cbranch_execz .LBB6_191
; %bb.186:                              ;   in Loop: Header=BB6_126 Depth=2
	v_cmp_ne_u16_e32 vcc, s53, v42
	v_bfrev_b32_e32 v2, 1
	s_and_saveexec_b64 s[20:21], vcc
	s_cbranch_execz .LBB6_190
; %bb.187:                              ;   in Loop: Header=BB6_126 Depth=2
	v_and_b32_e32 v4, 0x7f, v42
	v_cmp_ne_u32_e32 vcc, s54, v4
	v_mov_b32_e32 v2, 0x7f800001
	s_and_saveexec_b64 s[92:93], vcc
	s_cbranch_execz .LBB6_189
; %bb.188:                              ;   in Loop: Header=BB6_126 Depth=2
	v_and_b32_e32 v2, 7, v42
	v_lshrrev_b32_e32 v8, 3, v4
	v_cmp_gt_u32_e32 vcc, 8, v4
	v_ffbh_u32_e32 v4, v2
	v_min_u32_e32 v4, 32, v4
	v_subrev_u32_e32 v6, 28, v4
	v_lshlrev_b64 v[6:7], v6, v[42:43]
	v_sub_u32_e32 v4, 29, v4
	v_and_b32_e32 v6, 7, v6
	v_cndmask_b32_e32 v4, v8, v4, vcc
	v_cndmask_b32_e32 v2, v2, v6, vcc
	v_lshlrev_b32_e32 v6, 16, v48
	v_lshlrev_b32_e32 v2, 20, v2
	v_and_b32_e32 v6, 0x80000000, v6
	v_lshl_add_u32 v4, v4, 23, v62
	v_or3_b32 v2, v6, v4, v2
.LBB6_189:                              ;   in Loop: Header=BB6_126 Depth=2
	s_or_b64 exec, exec, s[92:93]
.LBB6_190:                              ;   in Loop: Header=BB6_126 Depth=2
	s_or_b64 exec, exec, s[20:21]
.LBB6_191:                              ;   in Loop: Header=BB6_126 Depth=2
	s_or_b64 exec, exec, s[22:23]
	v_cmp_ne_u16_e32 vcc, 0, v31
	s_and_saveexec_b64 s[20:21], vcc
	s_cbranch_execz .LBB6_197
; %bb.192:                              ;   in Loop: Header=BB6_126 Depth=2
	v_cmp_ne_u16_e32 vcc, s53, v31
	v_bfrev_b32_e32 v3, 1
	s_and_saveexec_b64 s[22:23], vcc
	s_cbranch_execz .LBB6_196
; %bb.193:                              ;   in Loop: Header=BB6_126 Depth=2
	v_and_b32_e32 v4, 0x7f, v31
	v_cmp_ne_u32_e32 vcc, s54, v4
	v_mov_b32_e32 v3, 0x7f800001
	s_and_saveexec_b64 s[92:93], vcc
	s_cbranch_execz .LBB6_195
; %bb.194:                              ;   in Loop: Header=BB6_126 Depth=2
	v_and_b32_e32 v6, 7, v31
	v_ffbh_u32_e32 v3, v6
	v_min_u32_e32 v8, 32, v3
	v_subrev_u32_e32 v3, 28, v8
	v_lshrrev_b32_e32 v7, 3, v4
	v_cmp_gt_u32_e32 vcc, 8, v4
	v_lshlrev_b64 v[3:4], v3, v[31:32]
	v_sub_u32_e32 v4, 29, v8
	v_and_b32_e32 v3, 7, v3
	v_cndmask_b32_e32 v4, v7, v4, vcc
	v_cndmask_b32_e32 v3, v6, v3, vcc
	v_lshlrev_b32_e32 v6, 16, v36
	v_lshlrev_b32_e32 v3, 20, v3
	v_and_b32_e32 v6, 0x80000000, v6
	v_lshl_add_u32 v4, v4, 23, v62
	v_or3_b32 v3, v6, v4, v3
.LBB6_195:                              ;   in Loop: Header=BB6_126 Depth=2
	s_or_b64 exec, exec, s[92:93]
.LBB6_196:                              ;   in Loop: Header=BB6_126 Depth=2
	s_or_b64 exec, exec, s[22:23]
.LBB6_197:                              ;   in Loop: Header=BB6_126 Depth=2
	s_or_b64 exec, exec, s[20:21]
	v_max_f32_e32 v3, v3, v3
	v_max_f32_e32 v2, v2, v2
	v_min_f32_e32 v3, v2, v3
.LBB6_198:                              ;   in Loop: Header=BB6_126 Depth=2
	v_and_b32_e32 v60, 0x7f800000, v3
	v_cmp_ne_u64_e32 vcc, s[72:73], v[60:61]
                                        ; implicit-def: $vgpr44
	s_and_saveexec_b64 s[20:21], vcc
	s_xor_b64 s[22:23], exec, s[20:21]
	s_cbranch_execz .LBB6_212
; %bb.199:                              ;   in Loop: Header=BB6_126 Depth=2
	v_and_b32_e32 v60, 0x7fffffff, v3
	v_cmp_gt_u64_e32 vcc, s[74:75], v[60:61]
	v_and_b32_sdwa v2, v3, s53 dst_sel:DWORD dst_unused:UNUSED_PAD src0_sel:BYTE_3 src1_sel:DWORD
                                        ; implicit-def: $vgpr44
	s_and_saveexec_b64 s[20:21], vcc
	s_xor_b64 s[92:93], exec, s[20:21]
	s_cbranch_execz .LBB6_209
; %bb.200:                              ;   in Loop: Header=BB6_126 Depth=2
	v_mov_b32_e32 v44, 0
	v_cmp_ne_u32_e32 vcc, 0, v3
	s_and_saveexec_b64 s[94:95], vcc
	s_cbranch_execz .LBB6_208
; %bb.201:                              ;   in Loop: Header=BB6_126 Depth=2
	v_and_b32_e32 v6, 0x7fffff, v3
	v_bfe_u32 v3, v3, 23, 8
	v_cmp_gt_u32_e64 s[20:21], s64, v3
	v_sub_u32_e32 v4, 0x79, v3
	v_cmp_eq_u32_e32 vcc, 0, v3
	v_cndmask_b32_e64 v4, 0, v4, s[20:21]
	v_mov_b32_e32 v8, 0x78
	v_or_b32_e32 v7, 0x800000, v6
	v_cndmask_b32_e32 v4, v4, v8, vcc
	v_cndmask_b32_e32 v60, v7, v6, vcc
	v_add_u32_e32 v6, 20, v4
	v_lshlrev_b64 v[6:7], v6, -1
	v_add_u32_e32 v8, 19, v4
	v_lshlrev_b64 v[8:9], v8, 1
	v_lshrrev_b64 v[30:31], v4, v[60:61]
	v_bfi_b32 v7, v7, 0, 0
	v_bfi_b32 v6, v6, 0, v60
	v_cmp_eq_u64_e64 s[20:21], v[6:7], v[8:9]
	v_mov_b32_e32 v43, v31
	v_mov_b32_e32 v42, v30
	s_and_saveexec_b64 s[30:31], s[20:21]
; %bb.202:                              ;   in Loop: Header=BB6_126 Depth=2
	v_bfe_u32 v6, v30, 20, 1
	v_add_co_u32_e64 v6, s[20:21], v30, v6
	v_add_co_u32_e64 v42, s[20:21], -1, v6
; %bb.203:                              ;   in Loop: Header=BB6_126 Depth=2
	s_or_b64 exec, exec, s[30:31]
	v_add_u32_e32 v3, 0xffffff81, v3
	v_cndmask_b32_e32 v3, v3, v41, vcc
	v_lshrrev_b32_e32 v6, 23, v30
	v_add3_u32 v6, v4, v3, v6
	v_add_u32_e32 v4, 6, v6
	v_and_b32_e32 v3, 0xfffff, v42
	v_add_u32_e32 v60, v3, v30
	v_cmp_ne_u32_e32 vcc, 0, v4
                                        ; implicit-def: $vgpr30_vgpr31
                                        ; implicit-def: $vgpr3
	s_and_saveexec_b64 s[20:21], vcc
	s_xor_b64 s[20:21], exec, s[20:21]
; %bb.204:                              ;   in Loop: Header=BB6_126 Depth=2
	v_cmp_lt_u64_e32 vcc, s[76:77], v[60:61]
	v_add_u32_e32 v3, 7, v6
	v_cndmask_b32_e32 v3, v4, v3, vcc
	v_cndmask_b32_e64 v4, 0, 1, vcc
	v_lshrrev_b64 v[30:31], v4, v[60:61]
; %bb.205:                              ;   in Loop: Header=BB6_126 Depth=2
	s_andn2_saveexec_b64 s[20:21], s[20:21]
; %bb.206:                              ;   in Loop: Header=BB6_126 Depth=2
	v_mov_b32_e32 v30, v60
	v_bfe_u32 v3, v60, 23, 1
	v_mov_b32_e32 v31, v61
; %bb.207:                              ;   in Loop: Header=BB6_126 Depth=2
	s_or_b64 exec, exec, s[20:21]
	v_lshrrev_b64 v[6:7], 20, v[30:31]
	v_cmp_gt_i32_e32 vcc, 16, v3
	v_cndmask_b32_e32 v7, 0, v7, vcc
	v_cndmask_b32_e32 v6, 7, v6, vcc
	v_cmp_eq_u32_e32 vcc, 0, v3
	v_min_i32_e32 v3, 15, v3
	v_cmp_eq_u64_e64 s[20:21], 0, v[6:7]
	v_lshlrev_b32_e32 v3, 3, v3
	v_and_b32_e32 v3, 0xf8, v3
	v_and_or_b32 v3, v6, 7, v3
	s_and_b64 s[20:21], vcc, s[20:21]
	v_cndmask_b32_e64 v3, v3, 0, s[20:21]
	v_or_b32_e32 v44, v3, v2
.LBB6_208:                              ;   in Loop: Header=BB6_126 Depth=2
	s_or_b64 exec, exec, s[94:95]
                                        ; implicit-def: $vgpr2
.LBB6_209:                              ;   in Loop: Header=BB6_126 Depth=2
	s_andn2_saveexec_b64 s[20:21], s[92:93]
; %bb.210:                              ;   in Loop: Header=BB6_126 Depth=2
	v_or_b32_e32 v44, 0x7e, v2
; %bb.211:                              ;   in Loop: Header=BB6_126 Depth=2
	s_or_b64 exec, exec, s[20:21]
                                        ; implicit-def: $vgpr3
.LBB6_212:                              ;   in Loop: Header=BB6_126 Depth=2
	s_andn2_saveexec_b64 s[20:21], s[22:23]
; %bb.213:                              ;   in Loop: Header=BB6_126 Depth=2
	v_or_b32_sdwa v44, v3, s54 dst_sel:DWORD dst_unused:UNUSED_PAD src0_sel:BYTE_3 src1_sel:DWORD
; %bb.214:                              ;   in Loop: Header=BB6_126 Depth=2
	s_or_b64 exec, exec, s[20:21]
	v_lshrrev_b32_e32 v42, 16, v48
	v_lshrrev_b32_e32 v31, 16, v36
	v_cmp_ne_u16_sdwa s[20:21], v42, v61 src0_sel:BYTE_0 src1_sel:DWORD
	s_mov_b64 s[22:23], -1
	s_and_b64 vcc, exec, s[28:29]
                                        ; implicit-def: $vgpr3
	s_cbranch_vccz .LBB6_228
; %bb.215:                              ;   in Loop: Header=BB6_126 Depth=2
	v_mov_b32_e32 v3, 0
	v_mov_b32_e32 v2, 0
	s_and_saveexec_b64 s[22:23], s[20:21]
	s_cbranch_execz .LBB6_221
; %bb.216:                              ;   in Loop: Header=BB6_126 Depth=2
	v_cmp_ne_u16_sdwa s[94:95], v42, s53 src0_sel:BYTE_0 src1_sel:DWORD
	v_bfrev_b32_e32 v2, 1
	s_and_saveexec_b64 s[92:93], s[94:95]
	s_cbranch_execz .LBB6_220
; %bb.217:                              ;   in Loop: Header=BB6_126 Depth=2
	v_bfe_u32 v4, v48, 16, 7
	v_cmp_ne_u32_e32 vcc, s54, v4
	v_mov_b32_e32 v2, 0x7f800001
	s_and_saveexec_b64 s[94:95], vcc
	s_cbranch_execz .LBB6_219
; %bb.218:                              ;   in Loop: Header=BB6_126 Depth=2
	v_and_b32_e32 v2, 7, v42
	v_lshrrev_b32_e32 v8, 3, v4
	v_cmp_gt_u32_e32 vcc, 8, v4
	v_ffbh_u32_e32 v4, v2
	v_min_u32_e32 v4, 32, v4
	v_subrev_u32_e32 v6, 28, v4
	v_lshlrev_b64 v[6:7], v6, v[42:43]
	v_sub_u32_e32 v4, 29, v4
	v_and_b32_e32 v6, 7, v6
	v_cndmask_b32_e32 v4, v8, v4, vcc
	v_cndmask_b32_e32 v2, v2, v6, vcc
	v_lshlrev_b32_e32 v6, 24, v42
	v_lshlrev_b32_e32 v2, 20, v2
	v_and_b32_e32 v6, 0x80000000, v6
	v_lshl_add_u32 v4, v4, 23, v62
	v_or3_b32 v2, v6, v4, v2
.LBB6_219:                              ;   in Loop: Header=BB6_126 Depth=2
	s_or_b64 exec, exec, s[94:95]
.LBB6_220:                              ;   in Loop: Header=BB6_126 Depth=2
	s_or_b64 exec, exec, s[92:93]
.LBB6_221:                              ;   in Loop: Header=BB6_126 Depth=2
	s_or_b64 exec, exec, s[22:23]
	v_cmp_ne_u16_sdwa s[92:93], v31, v61 src0_sel:BYTE_0 src1_sel:DWORD
	s_and_saveexec_b64 s[22:23], s[92:93]
	s_cbranch_execz .LBB6_227
; %bb.222:                              ;   in Loop: Header=BB6_126 Depth=2
	v_cmp_ne_u16_sdwa s[94:95], v31, s53 src0_sel:BYTE_0 src1_sel:DWORD
	v_bfrev_b32_e32 v3, 1
	s_and_saveexec_b64 s[92:93], s[94:95]
	s_cbranch_execz .LBB6_226
; %bb.223:                              ;   in Loop: Header=BB6_126 Depth=2
	v_bfe_u32 v4, v36, 16, 7
	v_cmp_ne_u32_e32 vcc, s54, v4
	v_mov_b32_e32 v3, 0x7f800001
	s_and_saveexec_b64 s[94:95], vcc
	s_cbranch_execz .LBB6_225
; %bb.224:                              ;   in Loop: Header=BB6_126 Depth=2
	v_and_b32_e32 v6, 7, v31
	v_ffbh_u32_e32 v3, v6
	v_min_u32_e32 v8, 32, v3
	v_subrev_u32_e32 v3, 28, v8
	v_lshrrev_b32_e32 v7, 3, v4
	v_cmp_gt_u32_e32 vcc, 8, v4
	v_lshlrev_b64 v[3:4], v3, v[31:32]
	v_sub_u32_e32 v4, 29, v8
	v_and_b32_e32 v3, 7, v3
	v_cndmask_b32_e32 v4, v7, v4, vcc
	v_cndmask_b32_e32 v3, v6, v3, vcc
	v_lshlrev_b32_e32 v6, 24, v31
	v_lshlrev_b32_e32 v3, 20, v3
	v_and_b32_e32 v6, 0x80000000, v6
	v_lshl_add_u32 v4, v4, 23, v62
	v_or3_b32 v3, v6, v4, v3
.LBB6_225:                              ;   in Loop: Header=BB6_126 Depth=2
	s_or_b64 exec, exec, s[94:95]
.LBB6_226:                              ;   in Loop: Header=BB6_126 Depth=2
	s_or_b64 exec, exec, s[92:93]
.LBB6_227:                              ;   in Loop: Header=BB6_126 Depth=2
	s_or_b64 exec, exec, s[22:23]
	v_max_f32_e32 v3, v3, v3
	v_max_f32_e32 v2, v2, v2
	;; [unrolled: 1-line block ×3, first 2 shown]
	s_mov_b64 s[22:23], 0
.LBB6_228:                              ;   in Loop: Header=BB6_126 Depth=2
	s_and_b64 vcc, exec, s[22:23]
	s_cbranch_vccz .LBB6_242
; %bb.229:                              ;   in Loop: Header=BB6_126 Depth=2
	v_mov_b32_e32 v3, 0
	v_mov_b32_e32 v2, 0
	s_and_saveexec_b64 s[22:23], s[20:21]
	s_cbranch_execz .LBB6_235
; %bb.230:                              ;   in Loop: Header=BB6_126 Depth=2
	v_cmp_ne_u16_sdwa s[92:93], v42, s53 src0_sel:BYTE_0 src1_sel:DWORD
	v_bfrev_b32_e32 v2, 1
	s_and_saveexec_b64 s[20:21], s[92:93]
	s_cbranch_execz .LBB6_234
; %bb.231:                              ;   in Loop: Header=BB6_126 Depth=2
	v_bfe_u32 v4, v48, 16, 7
	v_cmp_ne_u32_e32 vcc, s54, v4
	v_mov_b32_e32 v2, 0x7f800001
	s_and_saveexec_b64 s[92:93], vcc
	s_cbranch_execz .LBB6_233
; %bb.232:                              ;   in Loop: Header=BB6_126 Depth=2
	v_and_b32_e32 v2, 7, v42
	v_lshrrev_b32_e32 v8, 3, v4
	v_cmp_gt_u32_e32 vcc, 8, v4
	v_ffbh_u32_e32 v4, v2
	v_min_u32_e32 v4, 32, v4
	v_subrev_u32_e32 v6, 28, v4
	v_lshlrev_b64 v[6:7], v6, v[42:43]
	v_sub_u32_e32 v4, 29, v4
	v_and_b32_e32 v6, 7, v6
	v_cndmask_b32_e32 v4, v8, v4, vcc
	v_cndmask_b32_e32 v2, v2, v6, vcc
	v_lshlrev_b32_e32 v6, 24, v42
	v_lshlrev_b32_e32 v2, 20, v2
	v_and_b32_e32 v6, 0x80000000, v6
	v_lshl_add_u32 v4, v4, 23, v62
	v_or3_b32 v2, v6, v4, v2
.LBB6_233:                              ;   in Loop: Header=BB6_126 Depth=2
	s_or_b64 exec, exec, s[92:93]
.LBB6_234:                              ;   in Loop: Header=BB6_126 Depth=2
	s_or_b64 exec, exec, s[20:21]
.LBB6_235:                              ;   in Loop: Header=BB6_126 Depth=2
	s_or_b64 exec, exec, s[22:23]
	v_cmp_ne_u16_sdwa s[22:23], v31, v61 src0_sel:BYTE_0 src1_sel:DWORD
	s_and_saveexec_b64 s[20:21], s[22:23]
	s_cbranch_execz .LBB6_241
; %bb.236:                              ;   in Loop: Header=BB6_126 Depth=2
	v_cmp_ne_u16_sdwa s[92:93], v31, s53 src0_sel:BYTE_0 src1_sel:DWORD
	v_bfrev_b32_e32 v3, 1
	s_and_saveexec_b64 s[22:23], s[92:93]
	s_cbranch_execz .LBB6_240
; %bb.237:                              ;   in Loop: Header=BB6_126 Depth=2
	v_bfe_u32 v4, v36, 16, 7
	v_cmp_ne_u32_e32 vcc, s54, v4
	v_mov_b32_e32 v3, 0x7f800001
	s_and_saveexec_b64 s[92:93], vcc
	s_cbranch_execz .LBB6_239
; %bb.238:                              ;   in Loop: Header=BB6_126 Depth=2
	v_and_b32_e32 v6, 7, v31
	v_ffbh_u32_e32 v3, v6
	v_min_u32_e32 v8, 32, v3
	v_subrev_u32_e32 v3, 28, v8
	v_lshrrev_b32_e32 v7, 3, v4
	v_cmp_gt_u32_e32 vcc, 8, v4
	v_lshlrev_b64 v[3:4], v3, v[31:32]
	v_sub_u32_e32 v4, 29, v8
	v_and_b32_e32 v3, 7, v3
	v_cndmask_b32_e32 v4, v7, v4, vcc
	v_cndmask_b32_e32 v3, v6, v3, vcc
	v_lshlrev_b32_e32 v6, 24, v31
	v_lshlrev_b32_e32 v3, 20, v3
	v_and_b32_e32 v6, 0x80000000, v6
	v_lshl_add_u32 v4, v4, 23, v62
	v_or3_b32 v3, v6, v4, v3
.LBB6_239:                              ;   in Loop: Header=BB6_126 Depth=2
	s_or_b64 exec, exec, s[92:93]
.LBB6_240:                              ;   in Loop: Header=BB6_126 Depth=2
	s_or_b64 exec, exec, s[22:23]
.LBB6_241:                              ;   in Loop: Header=BB6_126 Depth=2
	s_or_b64 exec, exec, s[20:21]
	v_max_f32_e32 v3, v3, v3
	v_max_f32_e32 v2, v2, v2
	v_min_f32_e32 v3, v2, v3
.LBB6_242:                              ;   in Loop: Header=BB6_126 Depth=2
	v_and_b32_e32 v60, 0x7f800000, v3
	v_cmp_ne_u64_e32 vcc, s[72:73], v[60:61]
                                        ; implicit-def: $vgpr45
	s_and_saveexec_b64 s[20:21], vcc
	s_xor_b64 s[22:23], exec, s[20:21]
	s_cbranch_execz .LBB6_256
; %bb.243:                              ;   in Loop: Header=BB6_126 Depth=2
	v_and_b32_e32 v60, 0x7fffffff, v3
	v_cmp_gt_u64_e32 vcc, s[74:75], v[60:61]
	v_and_b32_sdwa v2, v3, s53 dst_sel:DWORD dst_unused:UNUSED_PAD src0_sel:BYTE_3 src1_sel:DWORD
                                        ; implicit-def: $vgpr45
	s_and_saveexec_b64 s[20:21], vcc
	s_xor_b64 s[92:93], exec, s[20:21]
	s_cbranch_execz .LBB6_253
; %bb.244:                              ;   in Loop: Header=BB6_126 Depth=2
	v_mov_b32_e32 v45, 0
	v_cmp_ne_u32_e32 vcc, 0, v3
	s_and_saveexec_b64 s[94:95], vcc
	s_cbranch_execz .LBB6_252
; %bb.245:                              ;   in Loop: Header=BB6_126 Depth=2
	v_and_b32_e32 v6, 0x7fffff, v3
	v_bfe_u32 v3, v3, 23, 8
	v_cmp_gt_u32_e64 s[20:21], s64, v3
	v_sub_u32_e32 v4, 0x79, v3
	v_cmp_eq_u32_e32 vcc, 0, v3
	v_cndmask_b32_e64 v4, 0, v4, s[20:21]
	v_mov_b32_e32 v8, 0x78
	v_or_b32_e32 v7, 0x800000, v6
	v_cndmask_b32_e32 v4, v4, v8, vcc
	v_cndmask_b32_e32 v60, v7, v6, vcc
	v_add_u32_e32 v6, 20, v4
	v_lshlrev_b64 v[6:7], v6, -1
	v_add_u32_e32 v8, 19, v4
	v_lshlrev_b64 v[8:9], v8, 1
	v_lshrrev_b64 v[30:31], v4, v[60:61]
	v_bfi_b32 v7, v7, 0, 0
	v_bfi_b32 v6, v6, 0, v60
	v_cmp_eq_u64_e64 s[20:21], v[6:7], v[8:9]
	v_mov_b32_e32 v43, v31
	v_mov_b32_e32 v42, v30
	s_and_saveexec_b64 s[30:31], s[20:21]
; %bb.246:                              ;   in Loop: Header=BB6_126 Depth=2
	v_bfe_u32 v6, v30, 20, 1
	v_add_co_u32_e64 v6, s[20:21], v30, v6
	v_add_co_u32_e64 v42, s[20:21], -1, v6
; %bb.247:                              ;   in Loop: Header=BB6_126 Depth=2
	s_or_b64 exec, exec, s[30:31]
	v_add_u32_e32 v3, 0xffffff81, v3
	v_cndmask_b32_e32 v3, v3, v41, vcc
	v_lshrrev_b32_e32 v6, 23, v30
	v_add3_u32 v6, v4, v3, v6
	v_add_u32_e32 v4, 6, v6
	v_and_b32_e32 v3, 0xfffff, v42
	v_add_u32_e32 v60, v3, v30
	v_cmp_ne_u32_e32 vcc, 0, v4
                                        ; implicit-def: $vgpr30_vgpr31
                                        ; implicit-def: $vgpr3
	s_and_saveexec_b64 s[20:21], vcc
	s_xor_b64 s[20:21], exec, s[20:21]
; %bb.248:                              ;   in Loop: Header=BB6_126 Depth=2
	v_cmp_lt_u64_e32 vcc, s[76:77], v[60:61]
	v_add_u32_e32 v3, 7, v6
	v_cndmask_b32_e32 v3, v4, v3, vcc
	v_cndmask_b32_e64 v4, 0, 1, vcc
	v_lshrrev_b64 v[30:31], v4, v[60:61]
; %bb.249:                              ;   in Loop: Header=BB6_126 Depth=2
	s_andn2_saveexec_b64 s[20:21], s[20:21]
; %bb.250:                              ;   in Loop: Header=BB6_126 Depth=2
	v_mov_b32_e32 v30, v60
	v_bfe_u32 v3, v60, 23, 1
	v_mov_b32_e32 v31, v61
; %bb.251:                              ;   in Loop: Header=BB6_126 Depth=2
	s_or_b64 exec, exec, s[20:21]
	v_lshrrev_b64 v[6:7], 20, v[30:31]
	v_cmp_gt_i32_e32 vcc, 16, v3
	v_cndmask_b32_e32 v7, 0, v7, vcc
	v_cndmask_b32_e32 v6, 7, v6, vcc
	v_cmp_eq_u32_e32 vcc, 0, v3
	v_min_i32_e32 v3, 15, v3
	v_cmp_eq_u64_e64 s[20:21], 0, v[6:7]
	v_lshlrev_b32_e32 v3, 3, v3
	v_and_b32_e32 v3, 0xf8, v3
	v_and_or_b32 v3, v6, 7, v3
	s_and_b64 s[20:21], vcc, s[20:21]
	v_cndmask_b32_e64 v3, v3, 0, s[20:21]
	v_or_b32_e32 v45, v3, v2
.LBB6_252:                              ;   in Loop: Header=BB6_126 Depth=2
	s_or_b64 exec, exec, s[94:95]
                                        ; implicit-def: $vgpr2
.LBB6_253:                              ;   in Loop: Header=BB6_126 Depth=2
	s_andn2_saveexec_b64 s[20:21], s[92:93]
; %bb.254:                              ;   in Loop: Header=BB6_126 Depth=2
	v_or_b32_e32 v45, 0x7e, v2
; %bb.255:                              ;   in Loop: Header=BB6_126 Depth=2
	s_or_b64 exec, exec, s[20:21]
                                        ; implicit-def: $vgpr3
.LBB6_256:                              ;   in Loop: Header=BB6_126 Depth=2
	s_andn2_saveexec_b64 s[20:21], s[22:23]
; %bb.257:                              ;   in Loop: Header=BB6_126 Depth=2
	v_or_b32_sdwa v45, v3, s54 dst_sel:DWORD dst_unused:UNUSED_PAD src0_sel:BYTE_3 src1_sel:DWORD
; %bb.258:                              ;   in Loop: Header=BB6_126 Depth=2
	s_or_b64 exec, exec, s[20:21]
	v_lshrrev_b32_e32 v42, 24, v48
	v_lshrrev_b32_e32 v31, 24, v36
	v_cmp_lt_u32_e64 s[20:21], s79, v48
	s_mov_b64 s[22:23], -1
	s_and_b64 vcc, exec, s[28:29]
                                        ; implicit-def: $vgpr3
	s_cbranch_vccz .LBB6_272
; %bb.259:                              ;   in Loop: Header=BB6_126 Depth=2
	v_mov_b32_e32 v3, 0
	v_mov_b32_e32 v2, 0
	s_and_saveexec_b64 s[22:23], s[20:21]
	s_cbranch_execz .LBB6_265
; %bb.260:                              ;   in Loop: Header=BB6_126 Depth=2
	v_cmp_ne_u32_e32 vcc, s53, v42
	v_bfrev_b32_e32 v2, 1
	s_and_saveexec_b64 s[92:93], vcc
	s_cbranch_execz .LBB6_264
; %bb.261:                              ;   in Loop: Header=BB6_126 Depth=2
	v_bfe_u32 v4, v48, 24, 7
	v_cmp_ne_u32_e32 vcc, s54, v4
	v_mov_b32_e32 v2, 0x7f800001
	s_and_saveexec_b64 s[94:95], vcc
	s_cbranch_execz .LBB6_263
; %bb.262:                              ;   in Loop: Header=BB6_126 Depth=2
	v_and_b32_e32 v2, 7, v42
	v_lshrrev_b32_e32 v8, 3, v4
	v_cmp_gt_u32_e32 vcc, 8, v4
	v_ffbh_u32_e32 v4, v2
	v_min_u32_e32 v4, 32, v4
	v_subrev_u32_e32 v6, 28, v4
	v_lshlrev_b64 v[6:7], v6, v[42:43]
	v_sub_u32_e32 v4, 29, v4
	v_and_b32_e32 v6, 7, v6
	v_cndmask_b32_e32 v4, v8, v4, vcc
	v_cndmask_b32_e32 v2, v2, v6, vcc
	v_lshlrev_b32_e32 v6, 24, v42
	v_lshlrev_b32_e32 v2, 20, v2
	v_and_b32_e32 v6, 0x80000000, v6
	v_lshl_add_u32 v4, v4, 23, v62
	v_or3_b32 v2, v6, v4, v2
.LBB6_263:                              ;   in Loop: Header=BB6_126 Depth=2
	s_or_b64 exec, exec, s[94:95]
.LBB6_264:                              ;   in Loop: Header=BB6_126 Depth=2
	s_or_b64 exec, exec, s[92:93]
.LBB6_265:                              ;   in Loop: Header=BB6_126 Depth=2
	s_or_b64 exec, exec, s[22:23]
	v_cmp_lt_u32_e32 vcc, s79, v36
	s_and_saveexec_b64 s[22:23], vcc
	s_cbranch_execz .LBB6_271
; %bb.266:                              ;   in Loop: Header=BB6_126 Depth=2
	v_cmp_ne_u32_e32 vcc, s53, v31
	v_bfrev_b32_e32 v3, 1
	s_and_saveexec_b64 s[92:93], vcc
	s_cbranch_execz .LBB6_270
; %bb.267:                              ;   in Loop: Header=BB6_126 Depth=2
	v_bfe_u32 v4, v36, 24, 7
	v_cmp_ne_u32_e32 vcc, s54, v4
	v_mov_b32_e32 v3, 0x7f800001
	s_and_saveexec_b64 s[94:95], vcc
	s_cbranch_execz .LBB6_269
; %bb.268:                              ;   in Loop: Header=BB6_126 Depth=2
	v_and_b32_e32 v6, 7, v31
	v_ffbh_u32_e32 v3, v6
	v_min_u32_e32 v8, 32, v3
	v_subrev_u32_e32 v3, 28, v8
	v_lshrrev_b32_e32 v7, 3, v4
	v_cmp_gt_u32_e32 vcc, 8, v4
	v_lshlrev_b64 v[3:4], v3, v[31:32]
	v_sub_u32_e32 v4, 29, v8
	v_and_b32_e32 v3, 7, v3
	v_cndmask_b32_e32 v4, v7, v4, vcc
	v_cndmask_b32_e32 v3, v6, v3, vcc
	v_lshlrev_b32_e32 v6, 24, v31
	v_lshlrev_b32_e32 v3, 20, v3
	v_and_b32_e32 v6, 0x80000000, v6
	v_lshl_add_u32 v4, v4, 23, v62
	v_or3_b32 v3, v6, v4, v3
.LBB6_269:                              ;   in Loop: Header=BB6_126 Depth=2
	s_or_b64 exec, exec, s[94:95]
.LBB6_270:                              ;   in Loop: Header=BB6_126 Depth=2
	s_or_b64 exec, exec, s[92:93]
.LBB6_271:                              ;   in Loop: Header=BB6_126 Depth=2
	s_or_b64 exec, exec, s[22:23]
	v_max_f32_e32 v3, v3, v3
	v_max_f32_e32 v2, v2, v2
	;; [unrolled: 1-line block ×3, first 2 shown]
	s_mov_b64 s[22:23], 0
.LBB6_272:                              ;   in Loop: Header=BB6_126 Depth=2
	s_and_b64 vcc, exec, s[22:23]
	s_cbranch_vccz .LBB6_286
; %bb.273:                              ;   in Loop: Header=BB6_126 Depth=2
	v_mov_b32_e32 v3, 0
	v_mov_b32_e32 v2, 0
	s_and_saveexec_b64 s[22:23], s[20:21]
	s_cbranch_execz .LBB6_279
; %bb.274:                              ;   in Loop: Header=BB6_126 Depth=2
	v_cmp_ne_u32_e32 vcc, s53, v42
	v_bfrev_b32_e32 v2, 1
	s_and_saveexec_b64 s[20:21], vcc
	s_cbranch_execz .LBB6_278
; %bb.275:                              ;   in Loop: Header=BB6_126 Depth=2
	v_bfe_u32 v4, v48, 24, 7
	v_cmp_ne_u32_e32 vcc, s54, v4
	v_mov_b32_e32 v2, 0x7f800001
	s_and_saveexec_b64 s[92:93], vcc
	s_cbranch_execz .LBB6_277
; %bb.276:                              ;   in Loop: Header=BB6_126 Depth=2
	v_and_b32_e32 v2, 7, v42
	v_lshrrev_b32_e32 v8, 3, v4
	v_cmp_gt_u32_e32 vcc, 8, v4
	v_ffbh_u32_e32 v4, v2
	v_min_u32_e32 v4, 32, v4
	v_subrev_u32_e32 v6, 28, v4
	v_lshlrev_b64 v[6:7], v6, v[42:43]
	v_sub_u32_e32 v4, 29, v4
	v_and_b32_e32 v6, 7, v6
	v_cndmask_b32_e32 v4, v8, v4, vcc
	v_cndmask_b32_e32 v2, v2, v6, vcc
	v_lshlrev_b32_e32 v6, 24, v42
	v_lshlrev_b32_e32 v2, 20, v2
	v_and_b32_e32 v6, 0x80000000, v6
	v_lshl_add_u32 v4, v4, 23, v62
	v_or3_b32 v2, v6, v4, v2
.LBB6_277:                              ;   in Loop: Header=BB6_126 Depth=2
	s_or_b64 exec, exec, s[92:93]
.LBB6_278:                              ;   in Loop: Header=BB6_126 Depth=2
	s_or_b64 exec, exec, s[20:21]
.LBB6_279:                              ;   in Loop: Header=BB6_126 Depth=2
	s_or_b64 exec, exec, s[22:23]
	v_cmp_lt_u32_e32 vcc, s79, v36
	s_and_saveexec_b64 s[20:21], vcc
	s_cbranch_execz .LBB6_285
; %bb.280:                              ;   in Loop: Header=BB6_126 Depth=2
	v_cmp_ne_u32_e32 vcc, s53, v31
	v_bfrev_b32_e32 v3, 1
	s_and_saveexec_b64 s[22:23], vcc
	s_cbranch_execz .LBB6_284
; %bb.281:                              ;   in Loop: Header=BB6_126 Depth=2
	v_bfe_u32 v4, v36, 24, 7
	v_cmp_ne_u32_e32 vcc, s54, v4
	v_mov_b32_e32 v3, 0x7f800001
	s_and_saveexec_b64 s[92:93], vcc
	s_cbranch_execz .LBB6_283
; %bb.282:                              ;   in Loop: Header=BB6_126 Depth=2
	v_and_b32_e32 v6, 7, v31
	v_ffbh_u32_e32 v3, v6
	v_min_u32_e32 v8, 32, v3
	v_subrev_u32_e32 v3, 28, v8
	v_lshrrev_b32_e32 v7, 3, v4
	v_cmp_gt_u32_e32 vcc, 8, v4
	v_lshlrev_b64 v[3:4], v3, v[31:32]
	v_sub_u32_e32 v4, 29, v8
	v_and_b32_e32 v3, 7, v3
	v_cndmask_b32_e32 v4, v7, v4, vcc
	v_cndmask_b32_e32 v3, v6, v3, vcc
	v_lshlrev_b32_e32 v6, 24, v31
	v_lshlrev_b32_e32 v3, 20, v3
	v_and_b32_e32 v6, 0x80000000, v6
	v_lshl_add_u32 v4, v4, 23, v62
	v_or3_b32 v3, v6, v4, v3
.LBB6_283:                              ;   in Loop: Header=BB6_126 Depth=2
	s_or_b64 exec, exec, s[92:93]
.LBB6_284:                              ;   in Loop: Header=BB6_126 Depth=2
	s_or_b64 exec, exec, s[22:23]
.LBB6_285:                              ;   in Loop: Header=BB6_126 Depth=2
	s_or_b64 exec, exec, s[20:21]
	v_max_f32_e32 v3, v3, v3
	v_max_f32_e32 v2, v2, v2
	v_min_f32_e32 v3, v2, v3
.LBB6_286:                              ;   in Loop: Header=BB6_126 Depth=2
	v_and_b32_e32 v60, 0x7f800000, v3
	v_cmp_ne_u64_e32 vcc, s[72:73], v[60:61]
                                        ; implicit-def: $vgpr57
	s_and_saveexec_b64 s[20:21], vcc
	s_xor_b64 s[22:23], exec, s[20:21]
	s_cbranch_execz .LBB6_300
; %bb.287:                              ;   in Loop: Header=BB6_126 Depth=2
	v_and_b32_e32 v60, 0x7fffffff, v3
	v_cmp_gt_u64_e32 vcc, s[74:75], v[60:61]
	v_and_b32_sdwa v2, v3, s53 dst_sel:DWORD dst_unused:UNUSED_PAD src0_sel:BYTE_3 src1_sel:DWORD
                                        ; implicit-def: $vgpr57
	s_and_saveexec_b64 s[20:21], vcc
	s_xor_b64 s[92:93], exec, s[20:21]
	s_cbranch_execz .LBB6_297
; %bb.288:                              ;   in Loop: Header=BB6_126 Depth=2
	v_mov_b32_e32 v57, 0
	v_cmp_ne_u32_e32 vcc, 0, v3
	s_and_saveexec_b64 s[94:95], vcc
	s_cbranch_execz .LBB6_296
; %bb.289:                              ;   in Loop: Header=BB6_126 Depth=2
	v_and_b32_e32 v6, 0x7fffff, v3
	v_bfe_u32 v3, v3, 23, 8
	v_cmp_gt_u32_e64 s[20:21], s64, v3
	v_sub_u32_e32 v4, 0x79, v3
	v_cmp_eq_u32_e32 vcc, 0, v3
	v_cndmask_b32_e64 v4, 0, v4, s[20:21]
	v_mov_b32_e32 v8, 0x78
	v_or_b32_e32 v7, 0x800000, v6
	v_cndmask_b32_e32 v4, v4, v8, vcc
	v_cndmask_b32_e32 v60, v7, v6, vcc
	v_add_u32_e32 v6, 20, v4
	v_lshlrev_b64 v[6:7], v6, -1
	v_add_u32_e32 v8, 19, v4
	v_lshlrev_b64 v[8:9], v8, 1
	v_lshrrev_b64 v[30:31], v4, v[60:61]
	v_bfi_b32 v7, v7, 0, 0
	v_bfi_b32 v6, v6, 0, v60
	v_cmp_eq_u64_e64 s[20:21], v[6:7], v[8:9]
	v_mov_b32_e32 v43, v31
	v_mov_b32_e32 v42, v30
	s_and_saveexec_b64 s[30:31], s[20:21]
; %bb.290:                              ;   in Loop: Header=BB6_126 Depth=2
	v_bfe_u32 v6, v30, 20, 1
	v_add_co_u32_e64 v6, s[20:21], v30, v6
	v_add_co_u32_e64 v42, s[20:21], -1, v6
; %bb.291:                              ;   in Loop: Header=BB6_126 Depth=2
	s_or_b64 exec, exec, s[30:31]
	v_add_u32_e32 v3, 0xffffff81, v3
	v_cndmask_b32_e32 v3, v3, v41, vcc
	v_lshrrev_b32_e32 v6, 23, v30
	v_add3_u32 v6, v4, v3, v6
	v_add_u32_e32 v4, 6, v6
	v_and_b32_e32 v3, 0xfffff, v42
	v_add_u32_e32 v60, v3, v30
	v_cmp_ne_u32_e32 vcc, 0, v4
                                        ; implicit-def: $vgpr30_vgpr31
                                        ; implicit-def: $vgpr3
	s_and_saveexec_b64 s[20:21], vcc
	s_xor_b64 s[20:21], exec, s[20:21]
; %bb.292:                              ;   in Loop: Header=BB6_126 Depth=2
	v_cmp_lt_u64_e32 vcc, s[76:77], v[60:61]
	v_add_u32_e32 v3, 7, v6
	v_cndmask_b32_e32 v3, v4, v3, vcc
	v_cndmask_b32_e64 v4, 0, 1, vcc
	v_lshrrev_b64 v[30:31], v4, v[60:61]
; %bb.293:                              ;   in Loop: Header=BB6_126 Depth=2
	s_andn2_saveexec_b64 s[20:21], s[20:21]
; %bb.294:                              ;   in Loop: Header=BB6_126 Depth=2
	v_mov_b32_e32 v30, v60
	v_bfe_u32 v3, v60, 23, 1
	v_mov_b32_e32 v31, v61
; %bb.295:                              ;   in Loop: Header=BB6_126 Depth=2
	s_or_b64 exec, exec, s[20:21]
	v_lshrrev_b64 v[6:7], 20, v[30:31]
	v_cmp_gt_i32_e32 vcc, 16, v3
	v_cndmask_b32_e32 v7, 0, v7, vcc
	v_cndmask_b32_e32 v6, 7, v6, vcc
	v_cmp_eq_u32_e32 vcc, 0, v3
	v_min_i32_e32 v3, 15, v3
	v_cmp_eq_u64_e64 s[20:21], 0, v[6:7]
	v_lshlrev_b32_e32 v3, 3, v3
	v_and_b32_e32 v3, 0xf8, v3
	v_and_or_b32 v3, v6, 7, v3
	s_and_b64 s[20:21], vcc, s[20:21]
	v_cndmask_b32_e64 v3, v3, 0, s[20:21]
	v_or_b32_e32 v57, v3, v2
.LBB6_296:                              ;   in Loop: Header=BB6_126 Depth=2
	s_or_b64 exec, exec, s[94:95]
                                        ; implicit-def: $vgpr2
.LBB6_297:                              ;   in Loop: Header=BB6_126 Depth=2
	s_andn2_saveexec_b64 s[20:21], s[92:93]
; %bb.298:                              ;   in Loop: Header=BB6_126 Depth=2
	v_or_b32_e32 v57, 0x7e, v2
; %bb.299:                              ;   in Loop: Header=BB6_126 Depth=2
	s_or_b64 exec, exec, s[20:21]
                                        ; implicit-def: $vgpr3
.LBB6_300:                              ;   in Loop: Header=BB6_126 Depth=2
	s_andn2_saveexec_b64 s[20:21], s[22:23]
; %bb.301:                              ;   in Loop: Header=BB6_126 Depth=2
	v_or_b32_sdwa v57, v3, s54 dst_sel:DWORD dst_unused:UNUSED_PAD src0_sel:BYTE_3 src1_sel:DWORD
; %bb.302:                              ;   in Loop: Header=BB6_126 Depth=2
	s_or_b64 exec, exec, s[20:21]
	v_mov_b32_e32 v60, v49
	v_mov_b32_e32 v42, v37
	;; [unrolled: 1-line block ×3, first 2 shown]
	v_cmp_ne_u16_sdwa s[20:21], v49, v61 src0_sel:BYTE_0 src1_sel:DWORD
	s_mov_b64 s[22:23], -1
	s_and_b64 vcc, exec, s[28:29]
                                        ; implicit-def: $vgpr3
	s_cbranch_vccz .LBB6_316
; %bb.303:                              ;   in Loop: Header=BB6_126 Depth=2
	v_mov_b32_e32 v3, 0
	v_mov_b32_e32 v2, 0
	s_and_saveexec_b64 s[22:23], s[20:21]
	s_cbranch_execz .LBB6_309
; %bb.304:                              ;   in Loop: Header=BB6_126 Depth=2
	v_cmp_ne_u16_sdwa s[94:95], v49, s53 src0_sel:BYTE_0 src1_sel:DWORD
	v_bfrev_b32_e32 v2, 1
	s_and_saveexec_b64 s[92:93], s[94:95]
	s_cbranch_execz .LBB6_308
; %bb.305:                              ;   in Loop: Header=BB6_126 Depth=2
	v_and_b32_e32 v4, 0x7f, v49
	v_cmp_ne_u32_e32 vcc, s54, v4
	v_mov_b32_e32 v2, 0x7f800001
	s_and_saveexec_b64 s[94:95], vcc
	s_cbranch_execz .LBB6_307
; %bb.306:                              ;   in Loop: Header=BB6_126 Depth=2
	v_and_b32_e32 v2, 7, v49
	v_ffbh_u32_e32 v2, v2
	v_min_u32_e32 v2, 32, v2
	v_lshrrev_b32_e32 v6, 3, v4
	v_cmp_gt_u32_e32 vcc, 8, v4
	v_subrev_u32_e32 v4, 28, v2
	v_sub_u32_e32 v2, 29, v2
	v_cndmask_b32_e32 v4, 0, v4, vcc
	v_cndmask_b32_e32 v2, v6, v2, vcc
	v_lshlrev_b64 v[6:7], v4, v[60:61]
	v_lshl_add_u32 v2, v2, 23, v62
	v_lshlrev_b32_e32 v4, 20, v6
	v_lshlrev_b32_e32 v6, 24, v60
	v_and_b32_e32 v4, 0x700000, v4
	v_and_b32_e32 v6, 0x80000000, v6
	v_or3_b32 v2, v6, v2, v4
.LBB6_307:                              ;   in Loop: Header=BB6_126 Depth=2
	s_or_b64 exec, exec, s[94:95]
.LBB6_308:                              ;   in Loop: Header=BB6_126 Depth=2
	s_or_b64 exec, exec, s[92:93]
.LBB6_309:                              ;   in Loop: Header=BB6_126 Depth=2
	s_or_b64 exec, exec, s[22:23]
	v_cmp_ne_u16_sdwa s[92:93], v37, v61 src0_sel:BYTE_0 src1_sel:DWORD
	s_and_saveexec_b64 s[22:23], s[92:93]
	s_cbranch_execz .LBB6_315
; %bb.310:                              ;   in Loop: Header=BB6_126 Depth=2
	v_cmp_ne_u16_sdwa s[94:95], v37, s53 src0_sel:BYTE_0 src1_sel:DWORD
	v_bfrev_b32_e32 v3, 1
	s_and_saveexec_b64 s[92:93], s[94:95]
	s_cbranch_execz .LBB6_314
; %bb.311:                              ;   in Loop: Header=BB6_126 Depth=2
	v_and_b32_e32 v4, 0x7f, v37
	v_cmp_ne_u32_e32 vcc, s54, v4
	v_mov_b32_e32 v3, 0x7f800001
	s_and_saveexec_b64 s[94:95], vcc
	s_cbranch_execz .LBB6_313
; %bb.312:                              ;   in Loop: Header=BB6_126 Depth=2
	v_and_b32_e32 v3, 7, v37
	v_ffbh_u32_e32 v3, v3
	v_min_u32_e32 v3, 32, v3
	v_lshrrev_b32_e32 v6, 3, v4
	v_cmp_gt_u32_e32 vcc, 8, v4
	v_subrev_u32_e32 v4, 28, v3
	v_sub_u32_e32 v3, 29, v3
	v_cndmask_b32_e32 v6, v6, v3, vcc
	v_cndmask_b32_e32 v3, 0, v4, vcc
	v_lshlrev_b64 v[3:4], v3, v[42:43]
	v_lshlrev_b32_e32 v4, 24, v42
	v_lshlrev_b32_e32 v3, 20, v3
	v_and_b32_e32 v3, 0x700000, v3
	v_and_b32_e32 v4, 0x80000000, v4
	v_lshl_add_u32 v6, v6, 23, v62
	v_or3_b32 v3, v4, v6, v3
.LBB6_313:                              ;   in Loop: Header=BB6_126 Depth=2
	s_or_b64 exec, exec, s[94:95]
.LBB6_314:                              ;   in Loop: Header=BB6_126 Depth=2
	s_or_b64 exec, exec, s[92:93]
.LBB6_315:                              ;   in Loop: Header=BB6_126 Depth=2
	s_or_b64 exec, exec, s[22:23]
	v_max_f32_e32 v3, v3, v3
	v_max_f32_e32 v2, v2, v2
	;; [unrolled: 1-line block ×3, first 2 shown]
	s_mov_b64 s[22:23], 0
.LBB6_316:                              ;   in Loop: Header=BB6_126 Depth=2
	s_and_b64 vcc, exec, s[22:23]
	s_cbranch_vccz .LBB6_330
; %bb.317:                              ;   in Loop: Header=BB6_126 Depth=2
	v_mov_b32_e32 v3, 0
	v_mov_b32_e32 v2, 0
	s_and_saveexec_b64 s[22:23], s[20:21]
	s_cbranch_execz .LBB6_323
; %bb.318:                              ;   in Loop: Header=BB6_126 Depth=2
	v_cmp_ne_u16_sdwa s[92:93], v49, s53 src0_sel:BYTE_0 src1_sel:DWORD
	v_bfrev_b32_e32 v2, 1
	s_and_saveexec_b64 s[20:21], s[92:93]
	s_cbranch_execz .LBB6_322
; %bb.319:                              ;   in Loop: Header=BB6_126 Depth=2
	v_and_b32_e32 v4, 0x7f, v49
	v_cmp_ne_u32_e32 vcc, s54, v4
	v_mov_b32_e32 v2, 0x7f800001
	s_and_saveexec_b64 s[92:93], vcc
	s_cbranch_execz .LBB6_321
; %bb.320:                              ;   in Loop: Header=BB6_126 Depth=2
	v_and_b32_e32 v2, 7, v49
	v_ffbh_u32_e32 v2, v2
	v_min_u32_e32 v2, 32, v2
	v_lshrrev_b32_e32 v6, 3, v4
	v_cmp_gt_u32_e32 vcc, 8, v4
	v_subrev_u32_e32 v4, 28, v2
	v_sub_u32_e32 v2, 29, v2
	v_cndmask_b32_e32 v4, 0, v4, vcc
	v_cndmask_b32_e32 v2, v6, v2, vcc
	v_lshlrev_b64 v[6:7], v4, v[60:61]
	v_lshl_add_u32 v2, v2, 23, v62
	v_lshlrev_b32_e32 v4, 20, v6
	v_lshlrev_b32_e32 v6, 24, v60
	v_and_b32_e32 v4, 0x700000, v4
	v_and_b32_e32 v6, 0x80000000, v6
	v_or3_b32 v2, v6, v2, v4
.LBB6_321:                              ;   in Loop: Header=BB6_126 Depth=2
	s_or_b64 exec, exec, s[92:93]
.LBB6_322:                              ;   in Loop: Header=BB6_126 Depth=2
	s_or_b64 exec, exec, s[20:21]
.LBB6_323:                              ;   in Loop: Header=BB6_126 Depth=2
	s_or_b64 exec, exec, s[22:23]
	v_cmp_ne_u16_sdwa s[22:23], v37, v61 src0_sel:BYTE_0 src1_sel:DWORD
	s_and_saveexec_b64 s[20:21], s[22:23]
	s_cbranch_execz .LBB6_329
; %bb.324:                              ;   in Loop: Header=BB6_126 Depth=2
	v_cmp_ne_u16_sdwa s[92:93], v37, s53 src0_sel:BYTE_0 src1_sel:DWORD
	v_bfrev_b32_e32 v3, 1
	s_and_saveexec_b64 s[22:23], s[92:93]
	s_cbranch_execz .LBB6_328
; %bb.325:                              ;   in Loop: Header=BB6_126 Depth=2
	v_and_b32_e32 v4, 0x7f, v37
	v_cmp_ne_u32_e32 vcc, s54, v4
	v_mov_b32_e32 v3, 0x7f800001
	s_and_saveexec_b64 s[92:93], vcc
	s_cbranch_execz .LBB6_327
; %bb.326:                              ;   in Loop: Header=BB6_126 Depth=2
	v_and_b32_e32 v3, 7, v37
	v_ffbh_u32_e32 v3, v3
	v_min_u32_e32 v3, 32, v3
	v_lshrrev_b32_e32 v6, 3, v4
	v_cmp_gt_u32_e32 vcc, 8, v4
	v_subrev_u32_e32 v4, 28, v3
	v_sub_u32_e32 v3, 29, v3
	v_cndmask_b32_e32 v6, v6, v3, vcc
	v_cndmask_b32_e32 v3, 0, v4, vcc
	v_lshlrev_b64 v[3:4], v3, v[42:43]
	v_lshlrev_b32_e32 v4, 24, v42
	v_lshlrev_b32_e32 v3, 20, v3
	v_and_b32_e32 v3, 0x700000, v3
	v_and_b32_e32 v4, 0x80000000, v4
	v_lshl_add_u32 v6, v6, 23, v62
	v_or3_b32 v3, v4, v6, v3
.LBB6_327:                              ;   in Loop: Header=BB6_126 Depth=2
	s_or_b64 exec, exec, s[92:93]
.LBB6_328:                              ;   in Loop: Header=BB6_126 Depth=2
	s_or_b64 exec, exec, s[22:23]
.LBB6_329:                              ;   in Loop: Header=BB6_126 Depth=2
	s_or_b64 exec, exec, s[20:21]
	v_max_f32_e32 v3, v3, v3
	v_max_f32_e32 v2, v2, v2
	v_min_f32_e32 v3, v2, v3
.LBB6_330:                              ;   in Loop: Header=BB6_126 Depth=2
	v_and_b32_e32 v6, 0x7f800000, v3
	v_mov_b32_e32 v7, v61
	v_cmp_ne_u64_e32 vcc, s[72:73], v[6:7]
                                        ; implicit-def: $vgpr46
	s_and_saveexec_b64 s[20:21], vcc
	s_xor_b64 s[22:23], exec, s[20:21]
	s_cbranch_execz .LBB6_344
; %bb.331:                              ;   in Loop: Header=BB6_126 Depth=2
	v_and_b32_e32 v6, 0x7fffffff, v3
	v_mov_b32_e32 v7, v61
	v_cmp_gt_u64_e32 vcc, s[74:75], v[6:7]
	v_and_b32_sdwa v2, v3, s53 dst_sel:DWORD dst_unused:UNUSED_PAD src0_sel:BYTE_3 src1_sel:DWORD
                                        ; implicit-def: $vgpr46
	s_and_saveexec_b64 s[20:21], vcc
	s_xor_b64 s[92:93], exec, s[20:21]
	s_cbranch_execz .LBB6_341
; %bb.332:                              ;   in Loop: Header=BB6_126 Depth=2
	v_mov_b32_e32 v46, 0
	v_cmp_ne_u32_e32 vcc, 0, v3
	s_and_saveexec_b64 s[94:95], vcc
	s_cbranch_execz .LBB6_340
; %bb.333:                              ;   in Loop: Header=BB6_126 Depth=2
	v_and_b32_e32 v6, 0x7fffff, v3
	v_bfe_u32 v3, v3, 23, 8
	v_cmp_gt_u32_e64 s[20:21], s64, v3
	v_sub_u32_e32 v4, 0x79, v3
	v_cmp_eq_u32_e32 vcc, 0, v3
	v_cndmask_b32_e64 v4, 0, v4, s[20:21]
	v_mov_b32_e32 v8, 0x78
	v_cndmask_b32_e32 v4, v4, v8, vcc
	v_add_u32_e32 v8, 20, v4
	v_or_b32_e32 v7, 0x800000, v6
	v_lshlrev_b64 v[8:9], v8, -1
	v_add_u32_e32 v30, 19, v4
	v_cndmask_b32_e32 v6, v7, v6, vcc
	v_lshlrev_b64 v[30:31], v30, 1
	v_mov_b32_e32 v7, v61
	v_bfi_b32 v9, v9, 0, 0
	v_bfi_b32 v8, v8, 0, v6
	v_cmp_eq_u64_e64 s[20:21], v[8:9], v[30:31]
	v_lshrrev_b64 v[30:31], v4, v[6:7]
	v_mov_b32_e32 v55, v31
	v_mov_b32_e32 v54, v30
	s_and_saveexec_b64 s[30:31], s[20:21]
; %bb.334:                              ;   in Loop: Header=BB6_126 Depth=2
	v_bfe_u32 v6, v30, 20, 1
	v_add_co_u32_e64 v6, s[20:21], v30, v6
	v_add_co_u32_e64 v54, s[20:21], -1, v6
; %bb.335:                              ;   in Loop: Header=BB6_126 Depth=2
	s_or_b64 exec, exec, s[30:31]
	v_add_u32_e32 v3, 0xffffff81, v3
	v_cndmask_b32_e32 v3, v3, v41, vcc
	v_lshrrev_b32_e32 v6, 23, v30
	v_add3_u32 v6, v4, v3, v6
	v_add_u32_e32 v4, 6, v6
	v_and_b32_e32 v3, 0xfffff, v54
	v_add_u32_e32 v30, v3, v30
	v_mov_b32_e32 v31, v61
	v_cmp_ne_u32_e32 vcc, 0, v4
                                        ; implicit-def: $vgpr3
	s_and_saveexec_b64 s[20:21], vcc
	s_xor_b64 s[20:21], exec, s[20:21]
; %bb.336:                              ;   in Loop: Header=BB6_126 Depth=2
	v_cmp_lt_u64_e32 vcc, s[76:77], v[30:31]
	v_add_u32_e32 v3, 7, v6
	v_cndmask_b32_e32 v3, v4, v3, vcc
	v_cndmask_b32_e64 v4, 0, 1, vcc
	v_lshrrev_b64 v[30:31], v4, v[30:31]
; %bb.337:                              ;   in Loop: Header=BB6_126 Depth=2
	s_andn2_saveexec_b64 s[20:21], s[20:21]
; %bb.338:                              ;   in Loop: Header=BB6_126 Depth=2
	v_bfe_u32 v3, v30, 23, 1
; %bb.339:                              ;   in Loop: Header=BB6_126 Depth=2
	s_or_b64 exec, exec, s[20:21]
	v_lshrrev_b64 v[6:7], 20, v[30:31]
	v_cmp_gt_i32_e32 vcc, 16, v3
	v_cndmask_b32_e32 v7, 0, v7, vcc
	v_cndmask_b32_e32 v6, 7, v6, vcc
	v_cmp_eq_u32_e32 vcc, 0, v3
	v_min_i32_e32 v3, 15, v3
	v_cmp_eq_u64_e64 s[20:21], 0, v[6:7]
	v_lshlrev_b32_e32 v3, 3, v3
	v_and_b32_e32 v3, 0xf8, v3
	v_and_or_b32 v3, v6, 7, v3
	s_and_b64 s[20:21], vcc, s[20:21]
	v_cndmask_b32_e64 v3, v3, 0, s[20:21]
	v_or_b32_e32 v46, v3, v2
.LBB6_340:                              ;   in Loop: Header=BB6_126 Depth=2
	s_or_b64 exec, exec, s[94:95]
                                        ; implicit-def: $vgpr2
.LBB6_341:                              ;   in Loop: Header=BB6_126 Depth=2
	s_andn2_saveexec_b64 s[20:21], s[92:93]
; %bb.342:                              ;   in Loop: Header=BB6_126 Depth=2
	v_or_b32_e32 v46, 0x7e, v2
; %bb.343:                              ;   in Loop: Header=BB6_126 Depth=2
	s_or_b64 exec, exec, s[20:21]
                                        ; implicit-def: $vgpr3
.LBB6_344:                              ;   in Loop: Header=BB6_126 Depth=2
	s_andn2_saveexec_b64 s[20:21], s[22:23]
; %bb.345:                              ;   in Loop: Header=BB6_126 Depth=2
	v_or_b32_sdwa v46, v3, s54 dst_sel:DWORD dst_unused:UNUSED_PAD src0_sel:BYTE_3 src1_sel:DWORD
; %bb.346:                              ;   in Loop: Header=BB6_126 Depth=2
	s_or_b64 exec, exec, s[20:21]
	v_lshrrev_b16_e32 v43, 8, v60
	v_lshrrev_b16_e32 v31, 8, v42
	v_cmp_ne_u16_e64 s[20:21], 0, v43
	s_mov_b64 s[22:23], -1
	s_and_b64 vcc, exec, s[28:29]
                                        ; implicit-def: $vgpr3
	s_cbranch_vccz .LBB6_360
; %bb.347:                              ;   in Loop: Header=BB6_126 Depth=2
	v_mov_b32_e32 v3, 0
	v_mov_b32_e32 v2, 0
	s_and_saveexec_b64 s[22:23], s[20:21]
	s_cbranch_execz .LBB6_353
; %bb.348:                              ;   in Loop: Header=BB6_126 Depth=2
	v_cmp_ne_u16_e32 vcc, s53, v43
	v_bfrev_b32_e32 v2, 1
	s_and_saveexec_b64 s[92:93], vcc
	s_cbranch_execz .LBB6_352
; %bb.349:                              ;   in Loop: Header=BB6_126 Depth=2
	v_and_b32_e32 v4, 0x7f, v43
	v_cmp_ne_u32_e32 vcc, s54, v4
	v_mov_b32_e32 v2, 0x7f800001
	s_and_saveexec_b64 s[94:95], vcc
	s_cbranch_execz .LBB6_351
; %bb.350:                              ;   in Loop: Header=BB6_126 Depth=2
	v_and_b32_e32 v2, 7, v43
	v_lshrrev_b32_e32 v8, 3, v4
	v_cmp_gt_u32_e32 vcc, 8, v4
	v_ffbh_u32_e32 v4, v2
	v_min_u32_e32 v4, 32, v4
	v_subrev_u32_e32 v6, 28, v4
	v_lshlrev_b64 v[6:7], v6, v[43:44]
	v_sub_u32_e32 v4, 29, v4
	v_and_b32_e32 v6, 7, v6
	v_cndmask_b32_e32 v4, v8, v4, vcc
	v_cndmask_b32_e32 v2, v2, v6, vcc
	v_lshlrev_b32_e32 v6, 16, v60
	v_lshlrev_b32_e32 v2, 20, v2
	v_and_b32_e32 v6, 0x80000000, v6
	v_lshl_add_u32 v4, v4, 23, v62
	v_or3_b32 v2, v6, v4, v2
.LBB6_351:                              ;   in Loop: Header=BB6_126 Depth=2
	s_or_b64 exec, exec, s[94:95]
.LBB6_352:                              ;   in Loop: Header=BB6_126 Depth=2
	s_or_b64 exec, exec, s[92:93]
.LBB6_353:                              ;   in Loop: Header=BB6_126 Depth=2
	s_or_b64 exec, exec, s[22:23]
	v_cmp_ne_u16_e32 vcc, 0, v31
	s_and_saveexec_b64 s[22:23], vcc
	s_cbranch_execz .LBB6_359
; %bb.354:                              ;   in Loop: Header=BB6_126 Depth=2
	v_cmp_ne_u16_e32 vcc, s53, v31
	v_bfrev_b32_e32 v3, 1
	s_and_saveexec_b64 s[92:93], vcc
	s_cbranch_execz .LBB6_358
; %bb.355:                              ;   in Loop: Header=BB6_126 Depth=2
	v_and_b32_e32 v4, 0x7f, v31
	v_cmp_ne_u32_e32 vcc, s54, v4
	v_mov_b32_e32 v3, 0x7f800001
	s_and_saveexec_b64 s[94:95], vcc
	s_cbranch_execz .LBB6_357
; %bb.356:                              ;   in Loop: Header=BB6_126 Depth=2
	v_and_b32_e32 v6, 7, v31
	v_ffbh_u32_e32 v3, v6
	v_min_u32_e32 v8, 32, v3
	v_subrev_u32_e32 v3, 28, v8
	v_lshrrev_b32_e32 v7, 3, v4
	v_cmp_gt_u32_e32 vcc, 8, v4
	v_lshlrev_b64 v[3:4], v3, v[31:32]
	v_sub_u32_e32 v4, 29, v8
	v_and_b32_e32 v3, 7, v3
	v_cndmask_b32_e32 v4, v7, v4, vcc
	v_cndmask_b32_e32 v3, v6, v3, vcc
	v_lshlrev_b32_e32 v6, 16, v42
	v_lshlrev_b32_e32 v3, 20, v3
	v_and_b32_e32 v6, 0x80000000, v6
	v_lshl_add_u32 v4, v4, 23, v62
	v_or3_b32 v3, v6, v4, v3
.LBB6_357:                              ;   in Loop: Header=BB6_126 Depth=2
	s_or_b64 exec, exec, s[94:95]
.LBB6_358:                              ;   in Loop: Header=BB6_126 Depth=2
	s_or_b64 exec, exec, s[92:93]
.LBB6_359:                              ;   in Loop: Header=BB6_126 Depth=2
	s_or_b64 exec, exec, s[22:23]
	v_max_f32_e32 v3, v3, v3
	v_max_f32_e32 v2, v2, v2
	;; [unrolled: 1-line block ×3, first 2 shown]
	s_mov_b64 s[22:23], 0
.LBB6_360:                              ;   in Loop: Header=BB6_126 Depth=2
	s_and_b64 vcc, exec, s[22:23]
	s_cbranch_vccz .LBB6_374
; %bb.361:                              ;   in Loop: Header=BB6_126 Depth=2
	v_mov_b32_e32 v3, 0
	v_mov_b32_e32 v2, 0
	s_and_saveexec_b64 s[22:23], s[20:21]
	s_cbranch_execz .LBB6_367
; %bb.362:                              ;   in Loop: Header=BB6_126 Depth=2
	v_cmp_ne_u16_e32 vcc, s53, v43
	v_bfrev_b32_e32 v2, 1
	s_and_saveexec_b64 s[20:21], vcc
	s_cbranch_execz .LBB6_366
; %bb.363:                              ;   in Loop: Header=BB6_126 Depth=2
	v_and_b32_e32 v4, 0x7f, v43
	v_cmp_ne_u32_e32 vcc, s54, v4
	v_mov_b32_e32 v2, 0x7f800001
	s_and_saveexec_b64 s[92:93], vcc
	s_cbranch_execz .LBB6_365
; %bb.364:                              ;   in Loop: Header=BB6_126 Depth=2
	v_and_b32_e32 v2, 7, v43
	v_lshrrev_b32_e32 v8, 3, v4
	v_cmp_gt_u32_e32 vcc, 8, v4
	v_ffbh_u32_e32 v4, v2
	v_min_u32_e32 v4, 32, v4
	v_subrev_u32_e32 v6, 28, v4
	v_lshlrev_b64 v[6:7], v6, v[43:44]
	v_sub_u32_e32 v4, 29, v4
	v_and_b32_e32 v6, 7, v6
	v_cndmask_b32_e32 v4, v8, v4, vcc
	v_cndmask_b32_e32 v2, v2, v6, vcc
	v_lshlrev_b32_e32 v6, 16, v60
	v_lshlrev_b32_e32 v2, 20, v2
	v_and_b32_e32 v6, 0x80000000, v6
	v_lshl_add_u32 v4, v4, 23, v62
	v_or3_b32 v2, v6, v4, v2
.LBB6_365:                              ;   in Loop: Header=BB6_126 Depth=2
	s_or_b64 exec, exec, s[92:93]
.LBB6_366:                              ;   in Loop: Header=BB6_126 Depth=2
	s_or_b64 exec, exec, s[20:21]
.LBB6_367:                              ;   in Loop: Header=BB6_126 Depth=2
	s_or_b64 exec, exec, s[22:23]
	v_cmp_ne_u16_e32 vcc, 0, v31
	s_and_saveexec_b64 s[20:21], vcc
	s_cbranch_execz .LBB6_373
; %bb.368:                              ;   in Loop: Header=BB6_126 Depth=2
	v_cmp_ne_u16_e32 vcc, s53, v31
	v_bfrev_b32_e32 v3, 1
	s_and_saveexec_b64 s[22:23], vcc
	s_cbranch_execz .LBB6_372
; %bb.369:                              ;   in Loop: Header=BB6_126 Depth=2
	v_and_b32_e32 v4, 0x7f, v31
	v_cmp_ne_u32_e32 vcc, s54, v4
	v_mov_b32_e32 v3, 0x7f800001
	s_and_saveexec_b64 s[92:93], vcc
	s_cbranch_execz .LBB6_371
; %bb.370:                              ;   in Loop: Header=BB6_126 Depth=2
	v_and_b32_e32 v6, 7, v31
	v_ffbh_u32_e32 v3, v6
	v_min_u32_e32 v8, 32, v3
	v_subrev_u32_e32 v3, 28, v8
	v_lshrrev_b32_e32 v7, 3, v4
	v_cmp_gt_u32_e32 vcc, 8, v4
	v_lshlrev_b64 v[3:4], v3, v[31:32]
	v_sub_u32_e32 v4, 29, v8
	v_and_b32_e32 v3, 7, v3
	v_cndmask_b32_e32 v4, v7, v4, vcc
	v_cndmask_b32_e32 v3, v6, v3, vcc
	v_lshlrev_b32_e32 v6, 16, v42
	v_lshlrev_b32_e32 v3, 20, v3
	v_and_b32_e32 v6, 0x80000000, v6
	v_lshl_add_u32 v4, v4, 23, v62
	v_or3_b32 v3, v6, v4, v3
.LBB6_371:                              ;   in Loop: Header=BB6_126 Depth=2
	s_or_b64 exec, exec, s[92:93]
.LBB6_372:                              ;   in Loop: Header=BB6_126 Depth=2
	s_or_b64 exec, exec, s[22:23]
.LBB6_373:                              ;   in Loop: Header=BB6_126 Depth=2
	s_or_b64 exec, exec, s[20:21]
	v_max_f32_e32 v3, v3, v3
	v_max_f32_e32 v2, v2, v2
	v_min_f32_e32 v3, v2, v3
.LBB6_374:                              ;   in Loop: Header=BB6_126 Depth=2
	v_and_b32_e32 v60, 0x7f800000, v3
	v_cmp_ne_u64_e32 vcc, s[72:73], v[60:61]
                                        ; implicit-def: $vgpr43
	s_and_saveexec_b64 s[20:21], vcc
	s_xor_b64 s[22:23], exec, s[20:21]
	s_cbranch_execz .LBB6_388
; %bb.375:                              ;   in Loop: Header=BB6_126 Depth=2
	v_and_b32_e32 v60, 0x7fffffff, v3
	v_cmp_gt_u64_e32 vcc, s[74:75], v[60:61]
	v_and_b32_sdwa v2, v3, s53 dst_sel:DWORD dst_unused:UNUSED_PAD src0_sel:BYTE_3 src1_sel:DWORD
                                        ; implicit-def: $vgpr43
	s_and_saveexec_b64 s[20:21], vcc
	s_xor_b64 s[92:93], exec, s[20:21]
	s_cbranch_execz .LBB6_385
; %bb.376:                              ;   in Loop: Header=BB6_126 Depth=2
	v_mov_b32_e32 v43, 0
	v_cmp_ne_u32_e32 vcc, 0, v3
	s_and_saveexec_b64 s[94:95], vcc
	s_cbranch_execz .LBB6_384
; %bb.377:                              ;   in Loop: Header=BB6_126 Depth=2
	v_and_b32_e32 v6, 0x7fffff, v3
	v_bfe_u32 v3, v3, 23, 8
	v_cmp_gt_u32_e64 s[20:21], s64, v3
	v_sub_u32_e32 v4, 0x79, v3
	v_cmp_eq_u32_e32 vcc, 0, v3
	v_cndmask_b32_e64 v4, 0, v4, s[20:21]
	v_mov_b32_e32 v8, 0x78
	v_or_b32_e32 v7, 0x800000, v6
	v_cndmask_b32_e32 v4, v4, v8, vcc
	v_cndmask_b32_e32 v60, v7, v6, vcc
	v_add_u32_e32 v6, 20, v4
	v_lshlrev_b64 v[6:7], v6, -1
	v_add_u32_e32 v8, 19, v4
	v_lshlrev_b64 v[8:9], v8, 1
	v_lshrrev_b64 v[30:31], v4, v[60:61]
	v_bfi_b32 v7, v7, 0, 0
	v_bfi_b32 v6, v6, 0, v60
	v_cmp_eq_u64_e64 s[20:21], v[6:7], v[8:9]
	v_mov_b32_e32 v55, v31
	v_mov_b32_e32 v54, v30
	s_and_saveexec_b64 s[30:31], s[20:21]
; %bb.378:                              ;   in Loop: Header=BB6_126 Depth=2
	v_bfe_u32 v6, v30, 20, 1
	v_add_co_u32_e64 v6, s[20:21], v30, v6
	v_add_co_u32_e64 v54, s[20:21], -1, v6
; %bb.379:                              ;   in Loop: Header=BB6_126 Depth=2
	s_or_b64 exec, exec, s[30:31]
	v_add_u32_e32 v3, 0xffffff81, v3
	v_cndmask_b32_e32 v3, v3, v41, vcc
	v_lshrrev_b32_e32 v6, 23, v30
	v_add3_u32 v6, v4, v3, v6
	v_add_u32_e32 v4, 6, v6
	v_and_b32_e32 v3, 0xfffff, v54
	v_add_u32_e32 v60, v3, v30
	v_cmp_ne_u32_e32 vcc, 0, v4
                                        ; implicit-def: $vgpr30_vgpr31
                                        ; implicit-def: $vgpr3
	s_and_saveexec_b64 s[20:21], vcc
	s_xor_b64 s[20:21], exec, s[20:21]
; %bb.380:                              ;   in Loop: Header=BB6_126 Depth=2
	v_cmp_lt_u64_e32 vcc, s[76:77], v[60:61]
	v_add_u32_e32 v3, 7, v6
	v_cndmask_b32_e32 v3, v4, v3, vcc
	v_cndmask_b32_e64 v4, 0, 1, vcc
	v_lshrrev_b64 v[30:31], v4, v[60:61]
; %bb.381:                              ;   in Loop: Header=BB6_126 Depth=2
	s_andn2_saveexec_b64 s[20:21], s[20:21]
; %bb.382:                              ;   in Loop: Header=BB6_126 Depth=2
	v_mov_b32_e32 v30, v60
	v_bfe_u32 v3, v60, 23, 1
	v_mov_b32_e32 v31, v61
; %bb.383:                              ;   in Loop: Header=BB6_126 Depth=2
	s_or_b64 exec, exec, s[20:21]
	v_lshrrev_b64 v[6:7], 20, v[30:31]
	v_cmp_gt_i32_e32 vcc, 16, v3
	v_cndmask_b32_e32 v7, 0, v7, vcc
	v_cndmask_b32_e32 v6, 7, v6, vcc
	v_cmp_eq_u32_e32 vcc, 0, v3
	v_min_i32_e32 v3, 15, v3
	v_cmp_eq_u64_e64 s[20:21], 0, v[6:7]
	v_lshlrev_b32_e32 v3, 3, v3
	v_and_b32_e32 v3, 0xf8, v3
	v_and_or_b32 v3, v6, 7, v3
	s_and_b64 s[20:21], vcc, s[20:21]
	v_cndmask_b32_e64 v3, v3, 0, s[20:21]
	v_or_b32_e32 v43, v3, v2
.LBB6_384:                              ;   in Loop: Header=BB6_126 Depth=2
	s_or_b64 exec, exec, s[94:95]
                                        ; implicit-def: $vgpr2
.LBB6_385:                              ;   in Loop: Header=BB6_126 Depth=2
	s_andn2_saveexec_b64 s[20:21], s[92:93]
; %bb.386:                              ;   in Loop: Header=BB6_126 Depth=2
	v_or_b32_e32 v43, 0x7e, v2
; %bb.387:                              ;   in Loop: Header=BB6_126 Depth=2
	s_or_b64 exec, exec, s[20:21]
                                        ; implicit-def: $vgpr3
.LBB6_388:                              ;   in Loop: Header=BB6_126 Depth=2
	s_andn2_saveexec_b64 s[20:21], s[22:23]
; %bb.389:                              ;   in Loop: Header=BB6_126 Depth=2
	v_or_b32_sdwa v43, v3, s54 dst_sel:DWORD dst_unused:UNUSED_PAD src0_sel:BYTE_3 src1_sel:DWORD
; %bb.390:                              ;   in Loop: Header=BB6_126 Depth=2
	s_or_b64 exec, exec, s[20:21]
	v_lshrrev_b32_e32 v42, 16, v49
	v_lshrrev_b32_e32 v31, 16, v37
	v_cmp_ne_u16_sdwa s[20:21], v42, v61 src0_sel:BYTE_0 src1_sel:DWORD
	s_mov_b64 s[22:23], -1
	s_and_b64 vcc, exec, s[28:29]
                                        ; implicit-def: $vgpr3
	s_cbranch_vccz .LBB6_404
; %bb.391:                              ;   in Loop: Header=BB6_126 Depth=2
	v_mov_b32_e32 v3, 0
	v_mov_b32_e32 v2, 0
	s_and_saveexec_b64 s[22:23], s[20:21]
	s_cbranch_execz .LBB6_397
; %bb.392:                              ;   in Loop: Header=BB6_126 Depth=2
	v_cmp_ne_u16_sdwa s[94:95], v42, s53 src0_sel:BYTE_0 src1_sel:DWORD
	v_bfrev_b32_e32 v2, 1
	s_and_saveexec_b64 s[92:93], s[94:95]
	s_cbranch_execz .LBB6_396
; %bb.393:                              ;   in Loop: Header=BB6_126 Depth=2
	v_bfe_u32 v4, v49, 16, 7
	v_cmp_ne_u32_e32 vcc, s54, v4
	v_mov_b32_e32 v2, 0x7f800001
	s_and_saveexec_b64 s[94:95], vcc
	s_cbranch_execz .LBB6_395
; %bb.394:                              ;   in Loop: Header=BB6_126 Depth=2
	v_and_b32_e32 v2, 7, v42
	v_lshrrev_b32_e32 v8, 3, v4
	v_cmp_gt_u32_e32 vcc, 8, v4
	v_ffbh_u32_e32 v4, v2
	v_min_u32_e32 v4, 32, v4
	v_subrev_u32_e32 v6, 28, v4
	v_lshlrev_b64 v[6:7], v6, v[42:43]
	v_sub_u32_e32 v4, 29, v4
	v_and_b32_e32 v6, 7, v6
	v_cndmask_b32_e32 v4, v8, v4, vcc
	v_cndmask_b32_e32 v2, v2, v6, vcc
	v_lshlrev_b32_e32 v6, 24, v42
	v_lshlrev_b32_e32 v2, 20, v2
	v_and_b32_e32 v6, 0x80000000, v6
	v_lshl_add_u32 v4, v4, 23, v62
	v_or3_b32 v2, v6, v4, v2
.LBB6_395:                              ;   in Loop: Header=BB6_126 Depth=2
	s_or_b64 exec, exec, s[94:95]
.LBB6_396:                              ;   in Loop: Header=BB6_126 Depth=2
	s_or_b64 exec, exec, s[92:93]
.LBB6_397:                              ;   in Loop: Header=BB6_126 Depth=2
	s_or_b64 exec, exec, s[22:23]
	v_cmp_ne_u16_sdwa s[92:93], v31, v61 src0_sel:BYTE_0 src1_sel:DWORD
	s_and_saveexec_b64 s[22:23], s[92:93]
	s_cbranch_execz .LBB6_403
; %bb.398:                              ;   in Loop: Header=BB6_126 Depth=2
	v_cmp_ne_u16_sdwa s[94:95], v31, s53 src0_sel:BYTE_0 src1_sel:DWORD
	v_bfrev_b32_e32 v3, 1
	s_and_saveexec_b64 s[92:93], s[94:95]
	s_cbranch_execz .LBB6_402
; %bb.399:                              ;   in Loop: Header=BB6_126 Depth=2
	v_bfe_u32 v4, v37, 16, 7
	v_cmp_ne_u32_e32 vcc, s54, v4
	v_mov_b32_e32 v3, 0x7f800001
	s_and_saveexec_b64 s[94:95], vcc
	s_cbranch_execz .LBB6_401
; %bb.400:                              ;   in Loop: Header=BB6_126 Depth=2
	v_and_b32_e32 v6, 7, v31
	v_ffbh_u32_e32 v3, v6
	v_min_u32_e32 v8, 32, v3
	v_subrev_u32_e32 v3, 28, v8
	v_lshrrev_b32_e32 v7, 3, v4
	v_cmp_gt_u32_e32 vcc, 8, v4
	v_lshlrev_b64 v[3:4], v3, v[31:32]
	v_sub_u32_e32 v4, 29, v8
	v_and_b32_e32 v3, 7, v3
	v_cndmask_b32_e32 v4, v7, v4, vcc
	v_cndmask_b32_e32 v3, v6, v3, vcc
	v_lshlrev_b32_e32 v6, 24, v31
	v_lshlrev_b32_e32 v3, 20, v3
	v_and_b32_e32 v6, 0x80000000, v6
	v_lshl_add_u32 v4, v4, 23, v62
	v_or3_b32 v3, v6, v4, v3
.LBB6_401:                              ;   in Loop: Header=BB6_126 Depth=2
	s_or_b64 exec, exec, s[94:95]
.LBB6_402:                              ;   in Loop: Header=BB6_126 Depth=2
	s_or_b64 exec, exec, s[92:93]
.LBB6_403:                              ;   in Loop: Header=BB6_126 Depth=2
	s_or_b64 exec, exec, s[22:23]
	v_max_f32_e32 v3, v3, v3
	v_max_f32_e32 v2, v2, v2
	;; [unrolled: 1-line block ×3, first 2 shown]
	s_mov_b64 s[22:23], 0
.LBB6_404:                              ;   in Loop: Header=BB6_126 Depth=2
	s_and_b64 vcc, exec, s[22:23]
	s_cbranch_vccz .LBB6_418
; %bb.405:                              ;   in Loop: Header=BB6_126 Depth=2
	v_mov_b32_e32 v3, 0
	v_mov_b32_e32 v2, 0
	s_and_saveexec_b64 s[22:23], s[20:21]
	s_cbranch_execz .LBB6_411
; %bb.406:                              ;   in Loop: Header=BB6_126 Depth=2
	v_cmp_ne_u16_sdwa s[92:93], v42, s53 src0_sel:BYTE_0 src1_sel:DWORD
	v_bfrev_b32_e32 v2, 1
	s_and_saveexec_b64 s[20:21], s[92:93]
	s_cbranch_execz .LBB6_410
; %bb.407:                              ;   in Loop: Header=BB6_126 Depth=2
	v_bfe_u32 v4, v49, 16, 7
	v_cmp_ne_u32_e32 vcc, s54, v4
	v_mov_b32_e32 v2, 0x7f800001
	s_and_saveexec_b64 s[92:93], vcc
	s_cbranch_execz .LBB6_409
; %bb.408:                              ;   in Loop: Header=BB6_126 Depth=2
	v_and_b32_e32 v2, 7, v42
	v_lshrrev_b32_e32 v8, 3, v4
	v_cmp_gt_u32_e32 vcc, 8, v4
	v_ffbh_u32_e32 v4, v2
	v_min_u32_e32 v4, 32, v4
	v_subrev_u32_e32 v6, 28, v4
	v_lshlrev_b64 v[6:7], v6, v[42:43]
	v_sub_u32_e32 v4, 29, v4
	v_and_b32_e32 v6, 7, v6
	v_cndmask_b32_e32 v4, v8, v4, vcc
	v_cndmask_b32_e32 v2, v2, v6, vcc
	v_lshlrev_b32_e32 v6, 24, v42
	v_lshlrev_b32_e32 v2, 20, v2
	v_and_b32_e32 v6, 0x80000000, v6
	v_lshl_add_u32 v4, v4, 23, v62
	v_or3_b32 v2, v6, v4, v2
.LBB6_409:                              ;   in Loop: Header=BB6_126 Depth=2
	s_or_b64 exec, exec, s[92:93]
.LBB6_410:                              ;   in Loop: Header=BB6_126 Depth=2
	s_or_b64 exec, exec, s[20:21]
.LBB6_411:                              ;   in Loop: Header=BB6_126 Depth=2
	s_or_b64 exec, exec, s[22:23]
	v_cmp_ne_u16_sdwa s[22:23], v31, v61 src0_sel:BYTE_0 src1_sel:DWORD
	s_and_saveexec_b64 s[20:21], s[22:23]
	s_cbranch_execz .LBB6_417
; %bb.412:                              ;   in Loop: Header=BB6_126 Depth=2
	v_cmp_ne_u16_sdwa s[92:93], v31, s53 src0_sel:BYTE_0 src1_sel:DWORD
	v_bfrev_b32_e32 v3, 1
	s_and_saveexec_b64 s[22:23], s[92:93]
	s_cbranch_execz .LBB6_416
; %bb.413:                              ;   in Loop: Header=BB6_126 Depth=2
	v_bfe_u32 v4, v37, 16, 7
	v_cmp_ne_u32_e32 vcc, s54, v4
	v_mov_b32_e32 v3, 0x7f800001
	s_and_saveexec_b64 s[92:93], vcc
	s_cbranch_execz .LBB6_415
; %bb.414:                              ;   in Loop: Header=BB6_126 Depth=2
	v_and_b32_e32 v6, 7, v31
	v_ffbh_u32_e32 v3, v6
	v_min_u32_e32 v8, 32, v3
	v_subrev_u32_e32 v3, 28, v8
	v_lshrrev_b32_e32 v7, 3, v4
	v_cmp_gt_u32_e32 vcc, 8, v4
	v_lshlrev_b64 v[3:4], v3, v[31:32]
	v_sub_u32_e32 v4, 29, v8
	v_and_b32_e32 v3, 7, v3
	v_cndmask_b32_e32 v4, v7, v4, vcc
	v_cndmask_b32_e32 v3, v6, v3, vcc
	v_lshlrev_b32_e32 v6, 24, v31
	v_lshlrev_b32_e32 v3, 20, v3
	v_and_b32_e32 v6, 0x80000000, v6
	v_lshl_add_u32 v4, v4, 23, v62
	v_or3_b32 v3, v6, v4, v3
.LBB6_415:                              ;   in Loop: Header=BB6_126 Depth=2
	s_or_b64 exec, exec, s[92:93]
.LBB6_416:                              ;   in Loop: Header=BB6_126 Depth=2
	s_or_b64 exec, exec, s[22:23]
.LBB6_417:                              ;   in Loop: Header=BB6_126 Depth=2
	s_or_b64 exec, exec, s[20:21]
	v_max_f32_e32 v3, v3, v3
	v_max_f32_e32 v2, v2, v2
	v_min_f32_e32 v3, v2, v3
.LBB6_418:                              ;   in Loop: Header=BB6_126 Depth=2
	v_and_b32_e32 v60, 0x7f800000, v3
	v_cmp_ne_u64_e32 vcc, s[72:73], v[60:61]
                                        ; implicit-def: $vgpr54
	s_and_saveexec_b64 s[20:21], vcc
	s_xor_b64 s[22:23], exec, s[20:21]
	s_cbranch_execz .LBB6_432
; %bb.419:                              ;   in Loop: Header=BB6_126 Depth=2
	v_and_b32_e32 v60, 0x7fffffff, v3
	v_cmp_gt_u64_e32 vcc, s[74:75], v[60:61]
	v_and_b32_sdwa v2, v3, s53 dst_sel:DWORD dst_unused:UNUSED_PAD src0_sel:BYTE_3 src1_sel:DWORD
                                        ; implicit-def: $vgpr54
	s_and_saveexec_b64 s[20:21], vcc
	s_xor_b64 s[92:93], exec, s[20:21]
	s_cbranch_execz .LBB6_429
; %bb.420:                              ;   in Loop: Header=BB6_126 Depth=2
	v_mov_b32_e32 v54, 0
	v_cmp_ne_u32_e32 vcc, 0, v3
	s_and_saveexec_b64 s[94:95], vcc
	s_cbranch_execz .LBB6_428
; %bb.421:                              ;   in Loop: Header=BB6_126 Depth=2
	v_and_b32_e32 v6, 0x7fffff, v3
	v_bfe_u32 v3, v3, 23, 8
	v_cmp_gt_u32_e64 s[20:21], s64, v3
	v_sub_u32_e32 v4, 0x79, v3
	v_cmp_eq_u32_e32 vcc, 0, v3
	v_cndmask_b32_e64 v4, 0, v4, s[20:21]
	v_mov_b32_e32 v8, 0x78
	v_or_b32_e32 v7, 0x800000, v6
	v_cndmask_b32_e32 v4, v4, v8, vcc
	v_cndmask_b32_e32 v60, v7, v6, vcc
	v_add_u32_e32 v6, 20, v4
	v_lshlrev_b64 v[6:7], v6, -1
	v_add_u32_e32 v8, 19, v4
	v_lshlrev_b64 v[8:9], v8, 1
	v_lshrrev_b64 v[30:31], v4, v[60:61]
	v_bfi_b32 v7, v7, 0, 0
	v_bfi_b32 v6, v6, 0, v60
	v_cmp_eq_u64_e64 s[20:21], v[6:7], v[8:9]
	v_mov_b32_e32 v55, v31
	v_mov_b32_e32 v54, v30
	s_and_saveexec_b64 s[30:31], s[20:21]
; %bb.422:                              ;   in Loop: Header=BB6_126 Depth=2
	v_bfe_u32 v6, v30, 20, 1
	v_add_co_u32_e64 v6, s[20:21], v30, v6
	v_add_co_u32_e64 v54, s[20:21], -1, v6
; %bb.423:                              ;   in Loop: Header=BB6_126 Depth=2
	s_or_b64 exec, exec, s[30:31]
	v_add_u32_e32 v3, 0xffffff81, v3
	v_cndmask_b32_e32 v3, v3, v41, vcc
	v_lshrrev_b32_e32 v6, 23, v30
	v_add3_u32 v6, v4, v3, v6
	v_add_u32_e32 v4, 6, v6
	v_and_b32_e32 v3, 0xfffff, v54
	v_add_u32_e32 v60, v3, v30
	v_cmp_ne_u32_e32 vcc, 0, v4
                                        ; implicit-def: $vgpr30_vgpr31
                                        ; implicit-def: $vgpr3
	s_and_saveexec_b64 s[20:21], vcc
	s_xor_b64 s[20:21], exec, s[20:21]
; %bb.424:                              ;   in Loop: Header=BB6_126 Depth=2
	v_cmp_lt_u64_e32 vcc, s[76:77], v[60:61]
	v_add_u32_e32 v3, 7, v6
	v_cndmask_b32_e32 v3, v4, v3, vcc
	v_cndmask_b32_e64 v4, 0, 1, vcc
	v_lshrrev_b64 v[30:31], v4, v[60:61]
; %bb.425:                              ;   in Loop: Header=BB6_126 Depth=2
	s_andn2_saveexec_b64 s[20:21], s[20:21]
; %bb.426:                              ;   in Loop: Header=BB6_126 Depth=2
	v_mov_b32_e32 v30, v60
	v_bfe_u32 v3, v60, 23, 1
	v_mov_b32_e32 v31, v61
; %bb.427:                              ;   in Loop: Header=BB6_126 Depth=2
	s_or_b64 exec, exec, s[20:21]
	v_lshrrev_b64 v[6:7], 20, v[30:31]
	v_cmp_gt_i32_e32 vcc, 16, v3
	v_cndmask_b32_e32 v7, 0, v7, vcc
	v_cndmask_b32_e32 v6, 7, v6, vcc
	v_cmp_eq_u32_e32 vcc, 0, v3
	v_min_i32_e32 v3, 15, v3
	v_cmp_eq_u64_e64 s[20:21], 0, v[6:7]
	v_lshlrev_b32_e32 v3, 3, v3
	v_and_b32_e32 v3, 0xf8, v3
	v_and_or_b32 v3, v6, 7, v3
	s_and_b64 s[20:21], vcc, s[20:21]
	v_cndmask_b32_e64 v3, v3, 0, s[20:21]
	v_or_b32_e32 v54, v3, v2
.LBB6_428:                              ;   in Loop: Header=BB6_126 Depth=2
	s_or_b64 exec, exec, s[94:95]
                                        ; implicit-def: $vgpr2
.LBB6_429:                              ;   in Loop: Header=BB6_126 Depth=2
	s_andn2_saveexec_b64 s[20:21], s[92:93]
; %bb.430:                              ;   in Loop: Header=BB6_126 Depth=2
	v_or_b32_e32 v54, 0x7e, v2
; %bb.431:                              ;   in Loop: Header=BB6_126 Depth=2
	s_or_b64 exec, exec, s[20:21]
                                        ; implicit-def: $vgpr3
.LBB6_432:                              ;   in Loop: Header=BB6_126 Depth=2
	s_andn2_saveexec_b64 s[20:21], s[22:23]
; %bb.433:                              ;   in Loop: Header=BB6_126 Depth=2
	v_or_b32_sdwa v54, v3, s54 dst_sel:DWORD dst_unused:UNUSED_PAD src0_sel:BYTE_3 src1_sel:DWORD
; %bb.434:                              ;   in Loop: Header=BB6_126 Depth=2
	s_or_b64 exec, exec, s[20:21]
	v_cmp_lt_u64_e64 s[20:21], s[78:79], v[48:49]
	v_lshrrev_b32_e32 v42, 24, v49
	v_lshrrev_b32_e32 v31, 24, v37
	s_mov_b64 s[22:23], -1
	s_and_b64 vcc, exec, s[28:29]
                                        ; implicit-def: $vgpr3
	s_cbranch_vccz .LBB6_448
; %bb.435:                              ;   in Loop: Header=BB6_126 Depth=2
	v_mov_b32_e32 v3, 0
	v_mov_b32_e32 v2, 0
	s_and_saveexec_b64 s[22:23], s[20:21]
	s_cbranch_execz .LBB6_441
; %bb.436:                              ;   in Loop: Header=BB6_126 Depth=2
	v_cmp_ne_u32_e32 vcc, s53, v42
	v_bfrev_b32_e32 v2, 1
	s_and_saveexec_b64 s[92:93], vcc
	s_cbranch_execz .LBB6_440
; %bb.437:                              ;   in Loop: Header=BB6_126 Depth=2
	v_bfe_u32 v4, v49, 24, 7
	v_cmp_ne_u32_e32 vcc, s54, v4
	v_mov_b32_e32 v2, 0x7f800001
	s_and_saveexec_b64 s[94:95], vcc
	s_cbranch_execz .LBB6_439
; %bb.438:                              ;   in Loop: Header=BB6_126 Depth=2
	v_and_b32_e32 v2, 7, v42
	v_lshrrev_b32_e32 v8, 3, v4
	v_cmp_gt_u32_e32 vcc, 8, v4
	v_ffbh_u32_e32 v4, v2
	v_min_u32_e32 v4, 32, v4
	v_subrev_u32_e32 v6, 28, v4
	v_lshlrev_b64 v[6:7], v6, v[42:43]
	v_sub_u32_e32 v4, 29, v4
	v_and_b32_e32 v6, 7, v6
	v_cndmask_b32_e32 v4, v8, v4, vcc
	v_cndmask_b32_e32 v2, v2, v6, vcc
	v_lshlrev_b32_e32 v6, 24, v42
	v_lshlrev_b32_e32 v2, 20, v2
	v_and_b32_e32 v6, 0x80000000, v6
	v_lshl_add_u32 v4, v4, 23, v62
	v_or3_b32 v2, v6, v4, v2
.LBB6_439:                              ;   in Loop: Header=BB6_126 Depth=2
	s_or_b64 exec, exec, s[94:95]
.LBB6_440:                              ;   in Loop: Header=BB6_126 Depth=2
	s_or_b64 exec, exec, s[92:93]
.LBB6_441:                              ;   in Loop: Header=BB6_126 Depth=2
	s_or_b64 exec, exec, s[22:23]
	v_cmp_lt_u64_e32 vcc, s[78:79], v[36:37]
	s_and_saveexec_b64 s[22:23], vcc
	s_cbranch_execz .LBB6_447
; %bb.442:                              ;   in Loop: Header=BB6_126 Depth=2
	v_cmp_ne_u32_e32 vcc, s53, v31
	v_bfrev_b32_e32 v3, 1
	s_and_saveexec_b64 s[92:93], vcc
	s_cbranch_execz .LBB6_446
; %bb.443:                              ;   in Loop: Header=BB6_126 Depth=2
	v_bfe_u32 v4, v37, 24, 7
	v_cmp_ne_u32_e32 vcc, s54, v4
	v_mov_b32_e32 v3, 0x7f800001
	s_and_saveexec_b64 s[94:95], vcc
	s_cbranch_execz .LBB6_445
; %bb.444:                              ;   in Loop: Header=BB6_126 Depth=2
	v_and_b32_e32 v6, 7, v31
	v_ffbh_u32_e32 v3, v6
	v_min_u32_e32 v8, 32, v3
	v_subrev_u32_e32 v3, 28, v8
	v_lshrrev_b32_e32 v7, 3, v4
	v_cmp_gt_u32_e32 vcc, 8, v4
	v_lshlrev_b64 v[3:4], v3, v[31:32]
	v_sub_u32_e32 v4, 29, v8
	v_and_b32_e32 v3, 7, v3
	v_cndmask_b32_e32 v4, v7, v4, vcc
	v_cndmask_b32_e32 v3, v6, v3, vcc
	v_lshlrev_b32_e32 v6, 24, v31
	v_lshlrev_b32_e32 v3, 20, v3
	v_and_b32_e32 v6, 0x80000000, v6
	v_lshl_add_u32 v4, v4, 23, v62
	v_or3_b32 v3, v6, v4, v3
.LBB6_445:                              ;   in Loop: Header=BB6_126 Depth=2
	s_or_b64 exec, exec, s[94:95]
.LBB6_446:                              ;   in Loop: Header=BB6_126 Depth=2
	s_or_b64 exec, exec, s[92:93]
.LBB6_447:                              ;   in Loop: Header=BB6_126 Depth=2
	s_or_b64 exec, exec, s[22:23]
	v_max_f32_e32 v3, v3, v3
	v_max_f32_e32 v2, v2, v2
	v_max_f32_e32 v3, v2, v3
	s_mov_b64 s[22:23], 0
.LBB6_448:                              ;   in Loop: Header=BB6_126 Depth=2
	s_and_b64 vcc, exec, s[22:23]
	s_cbranch_vccz .LBB6_462
; %bb.449:                              ;   in Loop: Header=BB6_126 Depth=2
	v_mov_b32_e32 v3, 0
	v_mov_b32_e32 v2, 0
	s_and_saveexec_b64 s[22:23], s[20:21]
	s_cbranch_execz .LBB6_455
; %bb.450:                              ;   in Loop: Header=BB6_126 Depth=2
	v_cmp_ne_u32_e32 vcc, s53, v42
	v_bfrev_b32_e32 v2, 1
	s_and_saveexec_b64 s[20:21], vcc
	s_cbranch_execz .LBB6_454
; %bb.451:                              ;   in Loop: Header=BB6_126 Depth=2
	v_bfe_u32 v4, v49, 24, 7
	v_cmp_ne_u32_e32 vcc, s54, v4
	v_mov_b32_e32 v2, 0x7f800001
	s_and_saveexec_b64 s[92:93], vcc
	s_cbranch_execz .LBB6_453
; %bb.452:                              ;   in Loop: Header=BB6_126 Depth=2
	v_and_b32_e32 v2, 7, v42
	v_lshrrev_b32_e32 v8, 3, v4
	v_cmp_gt_u32_e32 vcc, 8, v4
	v_ffbh_u32_e32 v4, v2
	v_min_u32_e32 v4, 32, v4
	v_subrev_u32_e32 v6, 28, v4
	v_lshlrev_b64 v[6:7], v6, v[42:43]
	v_sub_u32_e32 v4, 29, v4
	v_and_b32_e32 v6, 7, v6
	v_cndmask_b32_e32 v4, v8, v4, vcc
	v_cndmask_b32_e32 v2, v2, v6, vcc
	v_lshlrev_b32_e32 v6, 24, v42
	v_lshlrev_b32_e32 v2, 20, v2
	v_and_b32_e32 v6, 0x80000000, v6
	v_lshl_add_u32 v4, v4, 23, v62
	v_or3_b32 v2, v6, v4, v2
.LBB6_453:                              ;   in Loop: Header=BB6_126 Depth=2
	s_or_b64 exec, exec, s[92:93]
.LBB6_454:                              ;   in Loop: Header=BB6_126 Depth=2
	s_or_b64 exec, exec, s[20:21]
.LBB6_455:                              ;   in Loop: Header=BB6_126 Depth=2
	s_or_b64 exec, exec, s[22:23]
	v_cmp_lt_u64_e32 vcc, s[78:79], v[36:37]
	s_and_saveexec_b64 s[20:21], vcc
	s_cbranch_execz .LBB6_461
; %bb.456:                              ;   in Loop: Header=BB6_126 Depth=2
	v_cmp_ne_u32_e32 vcc, s53, v31
	v_bfrev_b32_e32 v3, 1
	s_and_saveexec_b64 s[22:23], vcc
	s_cbranch_execz .LBB6_460
; %bb.457:                              ;   in Loop: Header=BB6_126 Depth=2
	v_bfe_u32 v4, v37, 24, 7
	v_cmp_ne_u32_e32 vcc, s54, v4
	v_mov_b32_e32 v3, 0x7f800001
	s_and_saveexec_b64 s[92:93], vcc
	s_cbranch_execz .LBB6_459
; %bb.458:                              ;   in Loop: Header=BB6_126 Depth=2
	v_and_b32_e32 v6, 7, v31
	v_ffbh_u32_e32 v3, v6
	v_min_u32_e32 v8, 32, v3
	v_subrev_u32_e32 v3, 28, v8
	v_lshrrev_b32_e32 v7, 3, v4
	v_cmp_gt_u32_e32 vcc, 8, v4
	v_lshlrev_b64 v[3:4], v3, v[31:32]
	v_sub_u32_e32 v4, 29, v8
	v_and_b32_e32 v3, 7, v3
	v_cndmask_b32_e32 v4, v7, v4, vcc
	v_cndmask_b32_e32 v3, v6, v3, vcc
	v_lshlrev_b32_e32 v6, 24, v31
	v_lshlrev_b32_e32 v3, 20, v3
	v_and_b32_e32 v6, 0x80000000, v6
	v_lshl_add_u32 v4, v4, 23, v62
	v_or3_b32 v3, v6, v4, v3
.LBB6_459:                              ;   in Loop: Header=BB6_126 Depth=2
	s_or_b64 exec, exec, s[92:93]
.LBB6_460:                              ;   in Loop: Header=BB6_126 Depth=2
	s_or_b64 exec, exec, s[22:23]
.LBB6_461:                              ;   in Loop: Header=BB6_126 Depth=2
	s_or_b64 exec, exec, s[20:21]
	v_max_f32_e32 v3, v3, v3
	v_max_f32_e32 v2, v2, v2
	v_min_f32_e32 v3, v2, v3
.LBB6_462:                              ;   in Loop: Header=BB6_126 Depth=2
	v_and_b32_e32 v60, 0x7f800000, v3
	v_cmp_ne_u64_e32 vcc, s[72:73], v[60:61]
                                        ; implicit-def: $vgpr55
	s_and_saveexec_b64 s[20:21], vcc
	s_xor_b64 s[22:23], exec, s[20:21]
	s_cbranch_execz .LBB6_476
; %bb.463:                              ;   in Loop: Header=BB6_126 Depth=2
	v_and_b32_e32 v60, 0x7fffffff, v3
	v_cmp_gt_u64_e32 vcc, s[74:75], v[60:61]
	v_and_b32_sdwa v2, v3, s53 dst_sel:DWORD dst_unused:UNUSED_PAD src0_sel:BYTE_3 src1_sel:DWORD
                                        ; implicit-def: $vgpr55
	s_and_saveexec_b64 s[20:21], vcc
	s_xor_b64 s[92:93], exec, s[20:21]
	s_cbranch_execz .LBB6_473
; %bb.464:                              ;   in Loop: Header=BB6_126 Depth=2
	v_mov_b32_e32 v55, 0
	v_cmp_ne_u32_e32 vcc, 0, v3
	s_and_saveexec_b64 s[94:95], vcc
	s_cbranch_execz .LBB6_472
; %bb.465:                              ;   in Loop: Header=BB6_126 Depth=2
	v_and_b32_e32 v6, 0x7fffff, v3
	v_bfe_u32 v3, v3, 23, 8
	v_cmp_gt_u32_e64 s[20:21], s64, v3
	v_sub_u32_e32 v4, 0x79, v3
	v_cmp_eq_u32_e32 vcc, 0, v3
	v_cndmask_b32_e64 v4, 0, v4, s[20:21]
	v_mov_b32_e32 v8, 0x78
	v_or_b32_e32 v7, 0x800000, v6
	v_cndmask_b32_e32 v4, v4, v8, vcc
	v_cndmask_b32_e32 v60, v7, v6, vcc
	v_add_u32_e32 v6, 20, v4
	v_lshlrev_b64 v[6:7], v6, -1
	v_add_u32_e32 v8, 19, v4
	v_lshlrev_b64 v[8:9], v8, 1
	v_lshrrev_b64 v[30:31], v4, v[60:61]
	v_bfi_b32 v7, v7, 0, 0
	v_bfi_b32 v6, v6, 0, v60
	v_cmp_eq_u64_e64 s[20:21], v[6:7], v[8:9]
	v_mov_b32_e32 v37, v31
	v_mov_b32_e32 v36, v30
	s_and_saveexec_b64 s[30:31], s[20:21]
; %bb.466:                              ;   in Loop: Header=BB6_126 Depth=2
	v_bfe_u32 v6, v30, 20, 1
	v_add_co_u32_e64 v6, s[20:21], v30, v6
	v_add_co_u32_e64 v36, s[20:21], -1, v6
; %bb.467:                              ;   in Loop: Header=BB6_126 Depth=2
	s_or_b64 exec, exec, s[30:31]
	v_add_u32_e32 v3, 0xffffff81, v3
	v_cndmask_b32_e32 v3, v3, v41, vcc
	v_lshrrev_b32_e32 v6, 23, v30
	v_add3_u32 v6, v4, v3, v6
	v_add_u32_e32 v4, 6, v6
	v_and_b32_e32 v3, 0xfffff, v36
	v_add_u32_e32 v60, v3, v30
	v_cmp_ne_u32_e32 vcc, 0, v4
                                        ; implicit-def: $vgpr30_vgpr31
                                        ; implicit-def: $vgpr3
	s_and_saveexec_b64 s[20:21], vcc
	s_xor_b64 s[20:21], exec, s[20:21]
; %bb.468:                              ;   in Loop: Header=BB6_126 Depth=2
	v_cmp_lt_u64_e32 vcc, s[76:77], v[60:61]
	v_add_u32_e32 v3, 7, v6
	v_cndmask_b32_e32 v3, v4, v3, vcc
	v_cndmask_b32_e64 v4, 0, 1, vcc
	v_lshrrev_b64 v[30:31], v4, v[60:61]
; %bb.469:                              ;   in Loop: Header=BB6_126 Depth=2
	s_andn2_saveexec_b64 s[20:21], s[20:21]
; %bb.470:                              ;   in Loop: Header=BB6_126 Depth=2
	v_mov_b32_e32 v30, v60
	v_bfe_u32 v3, v60, 23, 1
	v_mov_b32_e32 v31, v61
; %bb.471:                              ;   in Loop: Header=BB6_126 Depth=2
	s_or_b64 exec, exec, s[20:21]
	v_lshrrev_b64 v[6:7], 20, v[30:31]
	v_cmp_gt_i32_e32 vcc, 16, v3
	v_cndmask_b32_e32 v7, 0, v7, vcc
	v_cndmask_b32_e32 v6, 7, v6, vcc
	v_cmp_eq_u32_e32 vcc, 0, v3
	v_min_i32_e32 v3, 15, v3
	v_cmp_eq_u64_e64 s[20:21], 0, v[6:7]
	v_lshlrev_b32_e32 v3, 3, v3
	v_and_b32_e32 v3, 0xf8, v3
	v_and_or_b32 v3, v6, 7, v3
	s_and_b64 s[20:21], vcc, s[20:21]
	v_cndmask_b32_e64 v3, v3, 0, s[20:21]
	v_or_b32_e32 v55, v3, v2
.LBB6_472:                              ;   in Loop: Header=BB6_126 Depth=2
	s_or_b64 exec, exec, s[94:95]
                                        ; implicit-def: $vgpr2
.LBB6_473:                              ;   in Loop: Header=BB6_126 Depth=2
	s_andn2_saveexec_b64 s[20:21], s[92:93]
; %bb.474:                              ;   in Loop: Header=BB6_126 Depth=2
	v_or_b32_e32 v55, 0x7e, v2
; %bb.475:                              ;   in Loop: Header=BB6_126 Depth=2
	s_or_b64 exec, exec, s[20:21]
                                        ; implicit-def: $vgpr3
.LBB6_476:                              ;   in Loop: Header=BB6_126 Depth=2
	s_andn2_saveexec_b64 s[20:21], s[22:23]
; %bb.477:                              ;   in Loop: Header=BB6_126 Depth=2
	v_or_b32_sdwa v55, v3, s54 dst_sel:DWORD dst_unused:UNUSED_PAD src0_sel:BYTE_3 src1_sel:DWORD
; %bb.478:                              ;   in Loop: Header=BB6_126 Depth=2
	s_or_b64 exec, exec, s[20:21]
	v_cmp_ne_u16_sdwa s[20:21], v50, v61 src0_sel:BYTE_0 src1_sel:DWORD
	s_mov_b64 s[22:23], -1
	s_and_b64 vcc, exec, s[28:29]
                                        ; implicit-def: $vgpr3
	s_cbranch_vccz .LBB6_492
; %bb.479:                              ;   in Loop: Header=BB6_126 Depth=2
	v_mov_b32_e32 v3, 0
	v_mov_b32_e32 v2, 0
	s_and_saveexec_b64 s[22:23], s[20:21]
	s_cbranch_execz .LBB6_485
; %bb.480:                              ;   in Loop: Header=BB6_126 Depth=2
	v_cmp_ne_u16_sdwa s[94:95], v50, s53 src0_sel:BYTE_0 src1_sel:DWORD
	v_bfrev_b32_e32 v2, 1
	s_and_saveexec_b64 s[92:93], s[94:95]
	s_cbranch_execz .LBB6_484
; %bb.481:                              ;   in Loop: Header=BB6_126 Depth=2
	v_and_b32_e32 v4, 0x7f, v50
	v_cmp_ne_u32_e32 vcc, s54, v4
	v_mov_b32_e32 v2, 0x7f800001
	s_and_saveexec_b64 s[94:95], vcc
	s_cbranch_execz .LBB6_483
; %bb.482:                              ;   in Loop: Header=BB6_126 Depth=2
	v_and_b32_e32 v2, 7, v50
	v_ffbh_u32_e32 v2, v2
	v_min_u32_e32 v2, 32, v2
	v_lshrrev_b32_e32 v6, 3, v4
	v_cmp_gt_u32_e32 vcc, 8, v4
	v_subrev_u32_e32 v4, 28, v2
	v_sub_u32_e32 v2, 29, v2
	v_cndmask_b32_e32 v4, 0, v4, vcc
	v_cndmask_b32_e32 v2, v6, v2, vcc
	v_lshlrev_b64 v[6:7], v4, v[50:51]
	v_lshl_add_u32 v2, v2, 23, v62
	v_lshlrev_b32_e32 v4, 20, v6
	v_lshlrev_b32_e32 v6, 24, v50
	v_and_b32_e32 v4, 0x700000, v4
	v_and_b32_e32 v6, 0x80000000, v6
	v_or3_b32 v2, v6, v2, v4
.LBB6_483:                              ;   in Loop: Header=BB6_126 Depth=2
	s_or_b64 exec, exec, s[94:95]
.LBB6_484:                              ;   in Loop: Header=BB6_126 Depth=2
	s_or_b64 exec, exec, s[92:93]
.LBB6_485:                              ;   in Loop: Header=BB6_126 Depth=2
	s_or_b64 exec, exec, s[22:23]
	v_cmp_ne_u16_sdwa s[92:93], v38, v61 src0_sel:BYTE_0 src1_sel:DWORD
	s_and_saveexec_b64 s[22:23], s[92:93]
	s_cbranch_execz .LBB6_491
; %bb.486:                              ;   in Loop: Header=BB6_126 Depth=2
	v_cmp_ne_u16_sdwa s[94:95], v38, s53 src0_sel:BYTE_0 src1_sel:DWORD
	v_bfrev_b32_e32 v3, 1
	s_and_saveexec_b64 s[92:93], s[94:95]
	s_cbranch_execz .LBB6_490
; %bb.487:                              ;   in Loop: Header=BB6_126 Depth=2
	v_and_b32_e32 v4, 0x7f, v38
	v_cmp_ne_u32_e32 vcc, s54, v4
	v_mov_b32_e32 v3, 0x7f800001
	s_and_saveexec_b64 s[94:95], vcc
	s_cbranch_execz .LBB6_489
; %bb.488:                              ;   in Loop: Header=BB6_126 Depth=2
	v_and_b32_e32 v3, 7, v38
	v_ffbh_u32_e32 v3, v3
	v_min_u32_e32 v3, 32, v3
	v_lshrrev_b32_e32 v6, 3, v4
	v_cmp_gt_u32_e32 vcc, 8, v4
	v_subrev_u32_e32 v4, 28, v3
	v_sub_u32_e32 v3, 29, v3
	v_cndmask_b32_e32 v6, v6, v3, vcc
	v_cndmask_b32_e32 v3, 0, v4, vcc
	v_lshlrev_b64 v[3:4], v3, v[38:39]
	v_lshlrev_b32_e32 v4, 24, v38
	v_lshlrev_b32_e32 v3, 20, v3
	v_and_b32_e32 v3, 0x700000, v3
	v_and_b32_e32 v4, 0x80000000, v4
	v_lshl_add_u32 v6, v6, 23, v62
	v_or3_b32 v3, v4, v6, v3
.LBB6_489:                              ;   in Loop: Header=BB6_126 Depth=2
	s_or_b64 exec, exec, s[94:95]
.LBB6_490:                              ;   in Loop: Header=BB6_126 Depth=2
	s_or_b64 exec, exec, s[92:93]
.LBB6_491:                              ;   in Loop: Header=BB6_126 Depth=2
	s_or_b64 exec, exec, s[22:23]
	v_max_f32_e32 v3, v3, v3
	v_max_f32_e32 v2, v2, v2
	;; [unrolled: 1-line block ×3, first 2 shown]
	s_mov_b64 s[22:23], 0
.LBB6_492:                              ;   in Loop: Header=BB6_126 Depth=2
	s_and_b64 vcc, exec, s[22:23]
	s_cbranch_vccz .LBB6_506
; %bb.493:                              ;   in Loop: Header=BB6_126 Depth=2
	v_mov_b32_e32 v3, 0
	v_mov_b32_e32 v2, 0
	s_and_saveexec_b64 s[22:23], s[20:21]
	s_cbranch_execz .LBB6_499
; %bb.494:                              ;   in Loop: Header=BB6_126 Depth=2
	v_cmp_ne_u16_sdwa s[92:93], v50, s53 src0_sel:BYTE_0 src1_sel:DWORD
	v_bfrev_b32_e32 v2, 1
	s_and_saveexec_b64 s[20:21], s[92:93]
	s_cbranch_execz .LBB6_498
; %bb.495:                              ;   in Loop: Header=BB6_126 Depth=2
	v_and_b32_e32 v4, 0x7f, v50
	v_cmp_ne_u32_e32 vcc, s54, v4
	v_mov_b32_e32 v2, 0x7f800001
	s_and_saveexec_b64 s[92:93], vcc
	s_cbranch_execz .LBB6_497
; %bb.496:                              ;   in Loop: Header=BB6_126 Depth=2
	v_and_b32_e32 v2, 7, v50
	v_ffbh_u32_e32 v2, v2
	v_min_u32_e32 v2, 32, v2
	v_lshrrev_b32_e32 v6, 3, v4
	v_cmp_gt_u32_e32 vcc, 8, v4
	v_subrev_u32_e32 v4, 28, v2
	v_sub_u32_e32 v2, 29, v2
	v_cndmask_b32_e32 v4, 0, v4, vcc
	v_cndmask_b32_e32 v2, v6, v2, vcc
	v_lshlrev_b64 v[6:7], v4, v[50:51]
	v_lshl_add_u32 v2, v2, 23, v62
	v_lshlrev_b32_e32 v4, 20, v6
	v_lshlrev_b32_e32 v6, 24, v50
	v_and_b32_e32 v4, 0x700000, v4
	v_and_b32_e32 v6, 0x80000000, v6
	v_or3_b32 v2, v6, v2, v4
.LBB6_497:                              ;   in Loop: Header=BB6_126 Depth=2
	s_or_b64 exec, exec, s[92:93]
.LBB6_498:                              ;   in Loop: Header=BB6_126 Depth=2
	s_or_b64 exec, exec, s[20:21]
.LBB6_499:                              ;   in Loop: Header=BB6_126 Depth=2
	s_or_b64 exec, exec, s[22:23]
	v_cmp_ne_u16_sdwa s[22:23], v38, v61 src0_sel:BYTE_0 src1_sel:DWORD
	s_and_saveexec_b64 s[20:21], s[22:23]
	s_cbranch_execz .LBB6_505
; %bb.500:                              ;   in Loop: Header=BB6_126 Depth=2
	v_cmp_ne_u16_sdwa s[92:93], v38, s53 src0_sel:BYTE_0 src1_sel:DWORD
	v_bfrev_b32_e32 v3, 1
	s_and_saveexec_b64 s[22:23], s[92:93]
	s_cbranch_execz .LBB6_504
; %bb.501:                              ;   in Loop: Header=BB6_126 Depth=2
	v_and_b32_e32 v4, 0x7f, v38
	v_cmp_ne_u32_e32 vcc, s54, v4
	v_mov_b32_e32 v3, 0x7f800001
	s_and_saveexec_b64 s[92:93], vcc
	s_cbranch_execz .LBB6_503
; %bb.502:                              ;   in Loop: Header=BB6_126 Depth=2
	v_and_b32_e32 v3, 7, v38
	v_ffbh_u32_e32 v3, v3
	v_min_u32_e32 v3, 32, v3
	v_lshrrev_b32_e32 v6, 3, v4
	v_cmp_gt_u32_e32 vcc, 8, v4
	v_subrev_u32_e32 v4, 28, v3
	v_sub_u32_e32 v3, 29, v3
	v_cndmask_b32_e32 v6, v6, v3, vcc
	v_cndmask_b32_e32 v3, 0, v4, vcc
	v_lshlrev_b64 v[3:4], v3, v[38:39]
	v_lshlrev_b32_e32 v4, 24, v38
	v_lshlrev_b32_e32 v3, 20, v3
	v_and_b32_e32 v3, 0x700000, v3
	v_and_b32_e32 v4, 0x80000000, v4
	v_lshl_add_u32 v6, v6, 23, v62
	v_or3_b32 v3, v4, v6, v3
.LBB6_503:                              ;   in Loop: Header=BB6_126 Depth=2
	s_or_b64 exec, exec, s[92:93]
.LBB6_504:                              ;   in Loop: Header=BB6_126 Depth=2
	s_or_b64 exec, exec, s[22:23]
.LBB6_505:                              ;   in Loop: Header=BB6_126 Depth=2
	s_or_b64 exec, exec, s[20:21]
	v_max_f32_e32 v3, v3, v3
	v_max_f32_e32 v2, v2, v2
	v_min_f32_e32 v3, v2, v3
.LBB6_506:                              ;   in Loop: Header=BB6_126 Depth=2
	v_and_b32_e32 v60, 0x7f800000, v3
	v_cmp_ne_u64_e32 vcc, s[72:73], v[60:61]
                                        ; implicit-def: $vgpr47
	s_and_saveexec_b64 s[20:21], vcc
	s_xor_b64 s[22:23], exec, s[20:21]
	s_cbranch_execz .LBB6_520
; %bb.507:                              ;   in Loop: Header=BB6_126 Depth=2
	v_and_b32_e32 v60, 0x7fffffff, v3
	v_cmp_gt_u64_e32 vcc, s[74:75], v[60:61]
	v_and_b32_sdwa v2, v3, s53 dst_sel:DWORD dst_unused:UNUSED_PAD src0_sel:BYTE_3 src1_sel:DWORD
                                        ; implicit-def: $vgpr47
	s_and_saveexec_b64 s[20:21], vcc
	s_xor_b64 s[92:93], exec, s[20:21]
	s_cbranch_execz .LBB6_517
; %bb.508:                              ;   in Loop: Header=BB6_126 Depth=2
	v_mov_b32_e32 v47, 0
	v_cmp_ne_u32_e32 vcc, 0, v3
	s_and_saveexec_b64 s[94:95], vcc
	s_cbranch_execz .LBB6_516
; %bb.509:                              ;   in Loop: Header=BB6_126 Depth=2
	v_and_b32_e32 v6, 0x7fffff, v3
	v_bfe_u32 v3, v3, 23, 8
	v_cmp_gt_u32_e64 s[20:21], s64, v3
	v_sub_u32_e32 v4, 0x79, v3
	v_cmp_eq_u32_e32 vcc, 0, v3
	v_cndmask_b32_e64 v4, 0, v4, s[20:21]
	v_mov_b32_e32 v8, 0x78
	v_or_b32_e32 v7, 0x800000, v6
	v_cndmask_b32_e32 v4, v4, v8, vcc
	v_cndmask_b32_e32 v60, v7, v6, vcc
	v_add_u32_e32 v6, 20, v4
	v_lshlrev_b64 v[6:7], v6, -1
	v_add_u32_e32 v8, 19, v4
	v_lshlrev_b64 v[8:9], v8, 1
	v_lshrrev_b64 v[30:31], v4, v[60:61]
	v_bfi_b32 v7, v7, 0, 0
	v_bfi_b32 v6, v6, 0, v60
	v_cmp_eq_u64_e64 s[20:21], v[6:7], v[8:9]
	v_mov_b32_e32 v37, v31
	v_mov_b32_e32 v36, v30
	s_and_saveexec_b64 s[30:31], s[20:21]
; %bb.510:                              ;   in Loop: Header=BB6_126 Depth=2
	v_bfe_u32 v6, v30, 20, 1
	v_add_co_u32_e64 v6, s[20:21], v30, v6
	v_add_co_u32_e64 v36, s[20:21], -1, v6
; %bb.511:                              ;   in Loop: Header=BB6_126 Depth=2
	s_or_b64 exec, exec, s[30:31]
	v_add_u32_e32 v3, 0xffffff81, v3
	v_cndmask_b32_e32 v3, v3, v41, vcc
	v_lshrrev_b32_e32 v6, 23, v30
	v_add3_u32 v6, v4, v3, v6
	v_add_u32_e32 v4, 6, v6
	v_and_b32_e32 v3, 0xfffff, v36
	v_add_u32_e32 v60, v3, v30
	v_cmp_ne_u32_e32 vcc, 0, v4
                                        ; implicit-def: $vgpr30_vgpr31
                                        ; implicit-def: $vgpr3
	s_and_saveexec_b64 s[20:21], vcc
	s_xor_b64 s[20:21], exec, s[20:21]
; %bb.512:                              ;   in Loop: Header=BB6_126 Depth=2
	v_cmp_lt_u64_e32 vcc, s[76:77], v[60:61]
	v_add_u32_e32 v3, 7, v6
	v_cndmask_b32_e32 v3, v4, v3, vcc
	v_cndmask_b32_e64 v4, 0, 1, vcc
	v_lshrrev_b64 v[30:31], v4, v[60:61]
; %bb.513:                              ;   in Loop: Header=BB6_126 Depth=2
	s_andn2_saveexec_b64 s[20:21], s[20:21]
; %bb.514:                              ;   in Loop: Header=BB6_126 Depth=2
	v_mov_b32_e32 v30, v60
	v_bfe_u32 v3, v60, 23, 1
	v_mov_b32_e32 v31, v61
; %bb.515:                              ;   in Loop: Header=BB6_126 Depth=2
	s_or_b64 exec, exec, s[20:21]
	v_lshrrev_b64 v[6:7], 20, v[30:31]
	v_cmp_gt_i32_e32 vcc, 16, v3
	v_cndmask_b32_e32 v7, 0, v7, vcc
	v_cndmask_b32_e32 v6, 7, v6, vcc
	v_cmp_eq_u32_e32 vcc, 0, v3
	v_min_i32_e32 v3, 15, v3
	v_cmp_eq_u64_e64 s[20:21], 0, v[6:7]
	v_lshlrev_b32_e32 v3, 3, v3
	v_and_b32_e32 v3, 0xf8, v3
	v_and_or_b32 v3, v6, 7, v3
	s_and_b64 s[20:21], vcc, s[20:21]
	v_cndmask_b32_e64 v3, v3, 0, s[20:21]
	v_or_b32_e32 v47, v3, v2
.LBB6_516:                              ;   in Loop: Header=BB6_126 Depth=2
	s_or_b64 exec, exec, s[94:95]
                                        ; implicit-def: $vgpr2
.LBB6_517:                              ;   in Loop: Header=BB6_126 Depth=2
	s_andn2_saveexec_b64 s[20:21], s[92:93]
; %bb.518:                              ;   in Loop: Header=BB6_126 Depth=2
	v_or_b32_e32 v47, 0x7e, v2
; %bb.519:                              ;   in Loop: Header=BB6_126 Depth=2
	s_or_b64 exec, exec, s[20:21]
                                        ; implicit-def: $vgpr3
.LBB6_520:                              ;   in Loop: Header=BB6_126 Depth=2
	s_andn2_saveexec_b64 s[20:21], s[22:23]
; %bb.521:                              ;   in Loop: Header=BB6_126 Depth=2
	v_or_b32_sdwa v47, v3, s54 dst_sel:DWORD dst_unused:UNUSED_PAD src0_sel:BYTE_3 src1_sel:DWORD
; %bb.522:                              ;   in Loop: Header=BB6_126 Depth=2
	s_or_b64 exec, exec, s[20:21]
	v_lshrrev_b16_e32 v36, 8, v50
	v_lshrrev_b16_e32 v31, 8, v38
	v_cmp_ne_u16_e64 s[20:21], 0, v36
	s_mov_b64 s[22:23], -1
	s_and_b64 vcc, exec, s[28:29]
                                        ; implicit-def: $vgpr3
	s_cbranch_vccz .LBB6_536
; %bb.523:                              ;   in Loop: Header=BB6_126 Depth=2
	v_mov_b32_e32 v3, 0
	v_mov_b32_e32 v2, 0
	s_and_saveexec_b64 s[22:23], s[20:21]
	s_cbranch_execz .LBB6_529
; %bb.524:                              ;   in Loop: Header=BB6_126 Depth=2
	v_cmp_ne_u16_e32 vcc, s53, v36
	v_bfrev_b32_e32 v2, 1
	s_and_saveexec_b64 s[92:93], vcc
	s_cbranch_execz .LBB6_528
; %bb.525:                              ;   in Loop: Header=BB6_126 Depth=2
	v_and_b32_e32 v4, 0x7f, v36
	v_cmp_ne_u32_e32 vcc, s54, v4
	v_mov_b32_e32 v2, 0x7f800001
	s_and_saveexec_b64 s[94:95], vcc
	s_cbranch_execz .LBB6_527
; %bb.526:                              ;   in Loop: Header=BB6_126 Depth=2
	v_and_b32_e32 v2, 7, v36
	v_lshrrev_b32_e32 v8, 3, v4
	v_cmp_gt_u32_e32 vcc, 8, v4
	v_ffbh_u32_e32 v4, v2
	v_min_u32_e32 v4, 32, v4
	v_subrev_u32_e32 v6, 28, v4
	v_lshlrev_b64 v[6:7], v6, v[36:37]
	v_sub_u32_e32 v4, 29, v4
	v_and_b32_e32 v6, 7, v6
	v_cndmask_b32_e32 v4, v8, v4, vcc
	v_cndmask_b32_e32 v2, v2, v6, vcc
	v_lshlrev_b32_e32 v6, 16, v50
	v_lshlrev_b32_e32 v2, 20, v2
	v_and_b32_e32 v6, 0x80000000, v6
	v_lshl_add_u32 v4, v4, 23, v62
	v_or3_b32 v2, v6, v4, v2
.LBB6_527:                              ;   in Loop: Header=BB6_126 Depth=2
	s_or_b64 exec, exec, s[94:95]
.LBB6_528:                              ;   in Loop: Header=BB6_126 Depth=2
	s_or_b64 exec, exec, s[92:93]
.LBB6_529:                              ;   in Loop: Header=BB6_126 Depth=2
	s_or_b64 exec, exec, s[22:23]
	v_cmp_ne_u16_e32 vcc, 0, v31
	s_and_saveexec_b64 s[22:23], vcc
	s_cbranch_execz .LBB6_535
; %bb.530:                              ;   in Loop: Header=BB6_126 Depth=2
	v_cmp_ne_u16_e32 vcc, s53, v31
	v_bfrev_b32_e32 v3, 1
	s_and_saveexec_b64 s[92:93], vcc
	s_cbranch_execz .LBB6_534
; %bb.531:                              ;   in Loop: Header=BB6_126 Depth=2
	v_and_b32_e32 v4, 0x7f, v31
	v_cmp_ne_u32_e32 vcc, s54, v4
	v_mov_b32_e32 v3, 0x7f800001
	s_and_saveexec_b64 s[94:95], vcc
	s_cbranch_execz .LBB6_533
; %bb.532:                              ;   in Loop: Header=BB6_126 Depth=2
	v_and_b32_e32 v6, 7, v31
	v_ffbh_u32_e32 v3, v6
	v_min_u32_e32 v8, 32, v3
	v_subrev_u32_e32 v3, 28, v8
	v_lshrrev_b32_e32 v7, 3, v4
	v_cmp_gt_u32_e32 vcc, 8, v4
	v_lshlrev_b64 v[3:4], v3, v[31:32]
	v_sub_u32_e32 v4, 29, v8
	v_and_b32_e32 v3, 7, v3
	v_cndmask_b32_e32 v4, v7, v4, vcc
	v_cndmask_b32_e32 v3, v6, v3, vcc
	v_lshlrev_b32_e32 v6, 16, v38
	v_lshlrev_b32_e32 v3, 20, v3
	v_and_b32_e32 v6, 0x80000000, v6
	v_lshl_add_u32 v4, v4, 23, v62
	v_or3_b32 v3, v6, v4, v3
.LBB6_533:                              ;   in Loop: Header=BB6_126 Depth=2
	s_or_b64 exec, exec, s[94:95]
.LBB6_534:                              ;   in Loop: Header=BB6_126 Depth=2
	s_or_b64 exec, exec, s[92:93]
.LBB6_535:                              ;   in Loop: Header=BB6_126 Depth=2
	s_or_b64 exec, exec, s[22:23]
	v_max_f32_e32 v3, v3, v3
	v_max_f32_e32 v2, v2, v2
	;; [unrolled: 1-line block ×3, first 2 shown]
	s_mov_b64 s[22:23], 0
.LBB6_536:                              ;   in Loop: Header=BB6_126 Depth=2
	s_and_b64 vcc, exec, s[22:23]
	s_cbranch_vccz .LBB6_550
; %bb.537:                              ;   in Loop: Header=BB6_126 Depth=2
	v_mov_b32_e32 v3, 0
	v_mov_b32_e32 v2, 0
	s_and_saveexec_b64 s[22:23], s[20:21]
	s_cbranch_execz .LBB6_543
; %bb.538:                              ;   in Loop: Header=BB6_126 Depth=2
	v_cmp_ne_u16_e32 vcc, s53, v36
	v_bfrev_b32_e32 v2, 1
	s_and_saveexec_b64 s[20:21], vcc
	s_cbranch_execz .LBB6_542
; %bb.539:                              ;   in Loop: Header=BB6_126 Depth=2
	v_and_b32_e32 v4, 0x7f, v36
	v_cmp_ne_u32_e32 vcc, s54, v4
	v_mov_b32_e32 v2, 0x7f800001
	s_and_saveexec_b64 s[92:93], vcc
	s_cbranch_execz .LBB6_541
; %bb.540:                              ;   in Loop: Header=BB6_126 Depth=2
	v_and_b32_e32 v2, 7, v36
	v_lshrrev_b32_e32 v8, 3, v4
	v_cmp_gt_u32_e32 vcc, 8, v4
	v_ffbh_u32_e32 v4, v2
	v_min_u32_e32 v4, 32, v4
	v_subrev_u32_e32 v6, 28, v4
	v_lshlrev_b64 v[6:7], v6, v[36:37]
	v_sub_u32_e32 v4, 29, v4
	v_and_b32_e32 v6, 7, v6
	v_cndmask_b32_e32 v4, v8, v4, vcc
	v_cndmask_b32_e32 v2, v2, v6, vcc
	v_lshlrev_b32_e32 v6, 16, v50
	v_lshlrev_b32_e32 v2, 20, v2
	v_and_b32_e32 v6, 0x80000000, v6
	v_lshl_add_u32 v4, v4, 23, v62
	v_or3_b32 v2, v6, v4, v2
.LBB6_541:                              ;   in Loop: Header=BB6_126 Depth=2
	s_or_b64 exec, exec, s[92:93]
.LBB6_542:                              ;   in Loop: Header=BB6_126 Depth=2
	s_or_b64 exec, exec, s[20:21]
.LBB6_543:                              ;   in Loop: Header=BB6_126 Depth=2
	s_or_b64 exec, exec, s[22:23]
	v_cmp_ne_u16_e32 vcc, 0, v31
	s_and_saveexec_b64 s[20:21], vcc
	s_cbranch_execz .LBB6_549
; %bb.544:                              ;   in Loop: Header=BB6_126 Depth=2
	v_cmp_ne_u16_e32 vcc, s53, v31
	v_bfrev_b32_e32 v3, 1
	s_and_saveexec_b64 s[22:23], vcc
	s_cbranch_execz .LBB6_548
; %bb.545:                              ;   in Loop: Header=BB6_126 Depth=2
	v_and_b32_e32 v4, 0x7f, v31
	v_cmp_ne_u32_e32 vcc, s54, v4
	v_mov_b32_e32 v3, 0x7f800001
	s_and_saveexec_b64 s[92:93], vcc
	s_cbranch_execz .LBB6_547
; %bb.546:                              ;   in Loop: Header=BB6_126 Depth=2
	v_and_b32_e32 v6, 7, v31
	v_ffbh_u32_e32 v3, v6
	v_min_u32_e32 v8, 32, v3
	v_subrev_u32_e32 v3, 28, v8
	v_lshrrev_b32_e32 v7, 3, v4
	v_cmp_gt_u32_e32 vcc, 8, v4
	v_lshlrev_b64 v[3:4], v3, v[31:32]
	v_sub_u32_e32 v4, 29, v8
	v_and_b32_e32 v3, 7, v3
	v_cndmask_b32_e32 v4, v7, v4, vcc
	v_cndmask_b32_e32 v3, v6, v3, vcc
	v_lshlrev_b32_e32 v6, 16, v38
	v_lshlrev_b32_e32 v3, 20, v3
	v_and_b32_e32 v6, 0x80000000, v6
	v_lshl_add_u32 v4, v4, 23, v62
	v_or3_b32 v3, v6, v4, v3
.LBB6_547:                              ;   in Loop: Header=BB6_126 Depth=2
	s_or_b64 exec, exec, s[92:93]
.LBB6_548:                              ;   in Loop: Header=BB6_126 Depth=2
	s_or_b64 exec, exec, s[22:23]
.LBB6_549:                              ;   in Loop: Header=BB6_126 Depth=2
	s_or_b64 exec, exec, s[20:21]
	v_max_f32_e32 v3, v3, v3
	v_max_f32_e32 v2, v2, v2
	v_min_f32_e32 v3, v2, v3
.LBB6_550:                              ;   in Loop: Header=BB6_126 Depth=2
	v_and_b32_e32 v60, 0x7f800000, v3
	v_cmp_ne_u64_e32 vcc, s[72:73], v[60:61]
                                        ; implicit-def: $vgpr9
	s_and_saveexec_b64 s[20:21], vcc
	s_xor_b64 s[22:23], exec, s[20:21]
	s_cbranch_execz .LBB6_564
; %bb.551:                              ;   in Loop: Header=BB6_126 Depth=2
	v_and_b32_e32 v60, 0x7fffffff, v3
	v_cmp_gt_u64_e32 vcc, s[74:75], v[60:61]
	v_and_b32_sdwa v2, v3, s53 dst_sel:DWORD dst_unused:UNUSED_PAD src0_sel:BYTE_3 src1_sel:DWORD
                                        ; implicit-def: $vgpr9
	s_and_saveexec_b64 s[20:21], vcc
	s_xor_b64 s[92:93], exec, s[20:21]
	s_cbranch_execz .LBB6_561
; %bb.552:                              ;   in Loop: Header=BB6_126 Depth=2
	v_mov_b32_e32 v9, 0
	v_cmp_ne_u32_e32 vcc, 0, v3
	s_and_saveexec_b64 s[94:95], vcc
	s_cbranch_execz .LBB6_560
; %bb.553:                              ;   in Loop: Header=BB6_126 Depth=2
	v_and_b32_e32 v6, 0x7fffff, v3
	v_bfe_u32 v3, v3, 23, 8
	v_cmp_gt_u32_e64 s[20:21], s64, v3
	v_sub_u32_e32 v4, 0x79, v3
	v_cmp_eq_u32_e32 vcc, 0, v3
	v_cndmask_b32_e64 v4, 0, v4, s[20:21]
	v_mov_b32_e32 v8, 0x78
	v_or_b32_e32 v7, 0x800000, v6
	v_cndmask_b32_e32 v4, v4, v8, vcc
	v_cndmask_b32_e32 v60, v7, v6, vcc
	v_add_u32_e32 v6, 20, v4
	v_lshlrev_b64 v[6:7], v6, -1
	v_add_u32_e32 v8, 19, v4
	v_lshlrev_b64 v[8:9], v8, 1
	v_lshrrev_b64 v[30:31], v4, v[60:61]
	v_bfi_b32 v7, v7, 0, 0
	v_bfi_b32 v6, v6, 0, v60
	v_cmp_eq_u64_e64 s[20:21], v[6:7], v[8:9]
	v_mov_b32_e32 v37, v31
	v_mov_b32_e32 v36, v30
	s_and_saveexec_b64 s[30:31], s[20:21]
; %bb.554:                              ;   in Loop: Header=BB6_126 Depth=2
	v_bfe_u32 v6, v30, 20, 1
	v_add_co_u32_e64 v6, s[20:21], v30, v6
	v_add_co_u32_e64 v36, s[20:21], -1, v6
; %bb.555:                              ;   in Loop: Header=BB6_126 Depth=2
	s_or_b64 exec, exec, s[30:31]
	v_add_u32_e32 v3, 0xffffff81, v3
	v_cndmask_b32_e32 v3, v3, v41, vcc
	v_lshrrev_b32_e32 v6, 23, v30
	v_add3_u32 v6, v4, v3, v6
	v_add_u32_e32 v4, 6, v6
	v_and_b32_e32 v3, 0xfffff, v36
	v_add_u32_e32 v60, v3, v30
	v_cmp_ne_u32_e32 vcc, 0, v4
                                        ; implicit-def: $vgpr30_vgpr31
                                        ; implicit-def: $vgpr3
	s_and_saveexec_b64 s[20:21], vcc
	s_xor_b64 s[20:21], exec, s[20:21]
; %bb.556:                              ;   in Loop: Header=BB6_126 Depth=2
	v_cmp_lt_u64_e32 vcc, s[76:77], v[60:61]
	v_add_u32_e32 v3, 7, v6
	v_cndmask_b32_e32 v3, v4, v3, vcc
	v_cndmask_b32_e64 v4, 0, 1, vcc
	v_lshrrev_b64 v[30:31], v4, v[60:61]
; %bb.557:                              ;   in Loop: Header=BB6_126 Depth=2
	s_andn2_saveexec_b64 s[20:21], s[20:21]
; %bb.558:                              ;   in Loop: Header=BB6_126 Depth=2
	v_mov_b32_e32 v30, v60
	v_bfe_u32 v3, v60, 23, 1
	v_mov_b32_e32 v31, v61
; %bb.559:                              ;   in Loop: Header=BB6_126 Depth=2
	s_or_b64 exec, exec, s[20:21]
	v_lshrrev_b64 v[6:7], 20, v[30:31]
	v_cmp_gt_i32_e32 vcc, 16, v3
	v_cndmask_b32_e32 v7, 0, v7, vcc
	v_cndmask_b32_e32 v6, 7, v6, vcc
	v_cmp_eq_u32_e32 vcc, 0, v3
	v_min_i32_e32 v3, 15, v3
	v_cmp_eq_u64_e64 s[20:21], 0, v[6:7]
	v_lshlrev_b32_e32 v3, 3, v3
	v_and_b32_e32 v3, 0xf8, v3
	v_and_or_b32 v3, v6, 7, v3
	s_and_b64 s[20:21], vcc, s[20:21]
	v_cndmask_b32_e64 v3, v3, 0, s[20:21]
	v_or_b32_e32 v9, v3, v2
.LBB6_560:                              ;   in Loop: Header=BB6_126 Depth=2
	s_or_b64 exec, exec, s[94:95]
                                        ; implicit-def: $vgpr2
.LBB6_561:                              ;   in Loop: Header=BB6_126 Depth=2
	s_andn2_saveexec_b64 s[20:21], s[92:93]
; %bb.562:                              ;   in Loop: Header=BB6_126 Depth=2
	v_or_b32_e32 v9, 0x7e, v2
; %bb.563:                              ;   in Loop: Header=BB6_126 Depth=2
	s_or_b64 exec, exec, s[20:21]
                                        ; implicit-def: $vgpr3
.LBB6_564:                              ;   in Loop: Header=BB6_126 Depth=2
	s_andn2_saveexec_b64 s[20:21], s[22:23]
; %bb.565:                              ;   in Loop: Header=BB6_126 Depth=2
	v_or_b32_sdwa v9, v3, s54 dst_sel:DWORD dst_unused:UNUSED_PAD src0_sel:BYTE_3 src1_sel:DWORD
; %bb.566:                              ;   in Loop: Header=BB6_126 Depth=2
	s_or_b64 exec, exec, s[20:21]
	v_lshrrev_b32_e32 v36, 16, v50
	v_lshrrev_b32_e32 v31, 16, v38
	v_cmp_ne_u16_sdwa s[20:21], v36, v61 src0_sel:BYTE_0 src1_sel:DWORD
	s_mov_b64 s[22:23], -1
	s_and_b64 vcc, exec, s[28:29]
                                        ; implicit-def: $vgpr3
	s_cbranch_vccz .LBB6_580
; %bb.567:                              ;   in Loop: Header=BB6_126 Depth=2
	v_mov_b32_e32 v3, 0
	v_mov_b32_e32 v2, 0
	s_and_saveexec_b64 s[22:23], s[20:21]
	s_cbranch_execz .LBB6_573
; %bb.568:                              ;   in Loop: Header=BB6_126 Depth=2
	v_cmp_ne_u16_sdwa s[94:95], v36, s53 src0_sel:BYTE_0 src1_sel:DWORD
	v_bfrev_b32_e32 v2, 1
	s_and_saveexec_b64 s[92:93], s[94:95]
	s_cbranch_execz .LBB6_572
; %bb.569:                              ;   in Loop: Header=BB6_126 Depth=2
	v_bfe_u32 v4, v50, 16, 7
	v_cmp_ne_u32_e32 vcc, s54, v4
	v_mov_b32_e32 v2, 0x7f800001
	s_and_saveexec_b64 s[94:95], vcc
	s_cbranch_execz .LBB6_571
; %bb.570:                              ;   in Loop: Header=BB6_126 Depth=2
	v_and_b32_e32 v2, 7, v36
	v_lshrrev_b32_e32 v8, 3, v4
	v_cmp_gt_u32_e32 vcc, 8, v4
	v_ffbh_u32_e32 v4, v2
	v_min_u32_e32 v4, 32, v4
	v_subrev_u32_e32 v6, 28, v4
	v_lshlrev_b64 v[6:7], v6, v[36:37]
	v_sub_u32_e32 v4, 29, v4
	v_and_b32_e32 v6, 7, v6
	v_cndmask_b32_e32 v4, v8, v4, vcc
	v_cndmask_b32_e32 v2, v2, v6, vcc
	v_lshlrev_b32_e32 v6, 24, v36
	v_lshlrev_b32_e32 v2, 20, v2
	v_and_b32_e32 v6, 0x80000000, v6
	v_lshl_add_u32 v4, v4, 23, v62
	v_or3_b32 v2, v6, v4, v2
.LBB6_571:                              ;   in Loop: Header=BB6_126 Depth=2
	s_or_b64 exec, exec, s[94:95]
.LBB6_572:                              ;   in Loop: Header=BB6_126 Depth=2
	s_or_b64 exec, exec, s[92:93]
.LBB6_573:                              ;   in Loop: Header=BB6_126 Depth=2
	s_or_b64 exec, exec, s[22:23]
	v_cmp_ne_u16_sdwa s[92:93], v31, v61 src0_sel:BYTE_0 src1_sel:DWORD
	s_and_saveexec_b64 s[22:23], s[92:93]
	s_cbranch_execz .LBB6_579
; %bb.574:                              ;   in Loop: Header=BB6_126 Depth=2
	v_cmp_ne_u16_sdwa s[94:95], v31, s53 src0_sel:BYTE_0 src1_sel:DWORD
	v_bfrev_b32_e32 v3, 1
	s_and_saveexec_b64 s[92:93], s[94:95]
	s_cbranch_execz .LBB6_578
; %bb.575:                              ;   in Loop: Header=BB6_126 Depth=2
	v_bfe_u32 v4, v38, 16, 7
	v_cmp_ne_u32_e32 vcc, s54, v4
	v_mov_b32_e32 v3, 0x7f800001
	s_and_saveexec_b64 s[94:95], vcc
	s_cbranch_execz .LBB6_577
; %bb.576:                              ;   in Loop: Header=BB6_126 Depth=2
	v_and_b32_e32 v6, 7, v31
	v_ffbh_u32_e32 v3, v6
	v_min_u32_e32 v8, 32, v3
	v_subrev_u32_e32 v3, 28, v8
	v_lshrrev_b32_e32 v7, 3, v4
	v_cmp_gt_u32_e32 vcc, 8, v4
	v_lshlrev_b64 v[3:4], v3, v[31:32]
	v_sub_u32_e32 v4, 29, v8
	v_and_b32_e32 v3, 7, v3
	v_cndmask_b32_e32 v4, v7, v4, vcc
	v_cndmask_b32_e32 v3, v6, v3, vcc
	v_lshlrev_b32_e32 v6, 24, v31
	v_lshlrev_b32_e32 v3, 20, v3
	v_and_b32_e32 v6, 0x80000000, v6
	v_lshl_add_u32 v4, v4, 23, v62
	v_or3_b32 v3, v6, v4, v3
.LBB6_577:                              ;   in Loop: Header=BB6_126 Depth=2
	s_or_b64 exec, exec, s[94:95]
.LBB6_578:                              ;   in Loop: Header=BB6_126 Depth=2
	s_or_b64 exec, exec, s[92:93]
.LBB6_579:                              ;   in Loop: Header=BB6_126 Depth=2
	s_or_b64 exec, exec, s[22:23]
	v_max_f32_e32 v3, v3, v3
	v_max_f32_e32 v2, v2, v2
	;; [unrolled: 1-line block ×3, first 2 shown]
	s_mov_b64 s[22:23], 0
.LBB6_580:                              ;   in Loop: Header=BB6_126 Depth=2
	s_and_b64 vcc, exec, s[22:23]
	s_cbranch_vccz .LBB6_594
; %bb.581:                              ;   in Loop: Header=BB6_126 Depth=2
	v_mov_b32_e32 v3, 0
	v_mov_b32_e32 v2, 0
	s_and_saveexec_b64 s[22:23], s[20:21]
	s_cbranch_execz .LBB6_587
; %bb.582:                              ;   in Loop: Header=BB6_126 Depth=2
	v_cmp_ne_u16_sdwa s[92:93], v36, s53 src0_sel:BYTE_0 src1_sel:DWORD
	v_bfrev_b32_e32 v2, 1
	s_and_saveexec_b64 s[20:21], s[92:93]
	s_cbranch_execz .LBB6_586
; %bb.583:                              ;   in Loop: Header=BB6_126 Depth=2
	v_bfe_u32 v4, v50, 16, 7
	v_cmp_ne_u32_e32 vcc, s54, v4
	v_mov_b32_e32 v2, 0x7f800001
	s_and_saveexec_b64 s[92:93], vcc
	s_cbranch_execz .LBB6_585
; %bb.584:                              ;   in Loop: Header=BB6_126 Depth=2
	v_and_b32_e32 v2, 7, v36
	v_lshrrev_b32_e32 v8, 3, v4
	v_cmp_gt_u32_e32 vcc, 8, v4
	v_ffbh_u32_e32 v4, v2
	v_min_u32_e32 v4, 32, v4
	v_subrev_u32_e32 v6, 28, v4
	v_lshlrev_b64 v[6:7], v6, v[36:37]
	v_sub_u32_e32 v4, 29, v4
	v_and_b32_e32 v6, 7, v6
	v_cndmask_b32_e32 v4, v8, v4, vcc
	v_cndmask_b32_e32 v2, v2, v6, vcc
	v_lshlrev_b32_e32 v6, 24, v36
	v_lshlrev_b32_e32 v2, 20, v2
	v_and_b32_e32 v6, 0x80000000, v6
	v_lshl_add_u32 v4, v4, 23, v62
	v_or3_b32 v2, v6, v4, v2
.LBB6_585:                              ;   in Loop: Header=BB6_126 Depth=2
	s_or_b64 exec, exec, s[92:93]
.LBB6_586:                              ;   in Loop: Header=BB6_126 Depth=2
	s_or_b64 exec, exec, s[20:21]
.LBB6_587:                              ;   in Loop: Header=BB6_126 Depth=2
	s_or_b64 exec, exec, s[22:23]
	v_cmp_ne_u16_sdwa s[22:23], v31, v61 src0_sel:BYTE_0 src1_sel:DWORD
	s_and_saveexec_b64 s[20:21], s[22:23]
	s_cbranch_execz .LBB6_593
; %bb.588:                              ;   in Loop: Header=BB6_126 Depth=2
	v_cmp_ne_u16_sdwa s[92:93], v31, s53 src0_sel:BYTE_0 src1_sel:DWORD
	v_bfrev_b32_e32 v3, 1
	s_and_saveexec_b64 s[22:23], s[92:93]
	s_cbranch_execz .LBB6_592
; %bb.589:                              ;   in Loop: Header=BB6_126 Depth=2
	v_bfe_u32 v4, v38, 16, 7
	v_cmp_ne_u32_e32 vcc, s54, v4
	v_mov_b32_e32 v3, 0x7f800001
	s_and_saveexec_b64 s[92:93], vcc
	s_cbranch_execz .LBB6_591
; %bb.590:                              ;   in Loop: Header=BB6_126 Depth=2
	v_and_b32_e32 v6, 7, v31
	v_ffbh_u32_e32 v3, v6
	v_min_u32_e32 v8, 32, v3
	v_subrev_u32_e32 v3, 28, v8
	v_lshrrev_b32_e32 v7, 3, v4
	v_cmp_gt_u32_e32 vcc, 8, v4
	v_lshlrev_b64 v[3:4], v3, v[31:32]
	v_sub_u32_e32 v4, 29, v8
	v_and_b32_e32 v3, 7, v3
	v_cndmask_b32_e32 v4, v7, v4, vcc
	v_cndmask_b32_e32 v3, v6, v3, vcc
	v_lshlrev_b32_e32 v6, 24, v31
	v_lshlrev_b32_e32 v3, 20, v3
	v_and_b32_e32 v6, 0x80000000, v6
	v_lshl_add_u32 v4, v4, 23, v62
	v_or3_b32 v3, v6, v4, v3
.LBB6_591:                              ;   in Loop: Header=BB6_126 Depth=2
	s_or_b64 exec, exec, s[92:93]
.LBB6_592:                              ;   in Loop: Header=BB6_126 Depth=2
	s_or_b64 exec, exec, s[22:23]
.LBB6_593:                              ;   in Loop: Header=BB6_126 Depth=2
	s_or_b64 exec, exec, s[20:21]
	v_max_f32_e32 v3, v3, v3
	v_max_f32_e32 v2, v2, v2
	v_min_f32_e32 v3, v2, v3
.LBB6_594:                              ;   in Loop: Header=BB6_126 Depth=2
	v_and_b32_e32 v60, 0x7f800000, v3
	v_cmp_ne_u64_e32 vcc, s[72:73], v[60:61]
	buffer_store_dword v9, off, s[0:3], s33 offset:116 ; 4-byte Folded Spill
                                        ; implicit-def: $vgpr9
	s_and_saveexec_b64 s[20:21], vcc
	s_xor_b64 s[22:23], exec, s[20:21]
	s_cbranch_execz .LBB6_608
; %bb.595:                              ;   in Loop: Header=BB6_126 Depth=2
	v_and_b32_e32 v60, 0x7fffffff, v3
	v_cmp_gt_u64_e32 vcc, s[74:75], v[60:61]
	v_and_b32_sdwa v2, v3, s53 dst_sel:DWORD dst_unused:UNUSED_PAD src0_sel:BYTE_3 src1_sel:DWORD
                                        ; implicit-def: $vgpr9
	s_and_saveexec_b64 s[20:21], vcc
	s_xor_b64 s[92:93], exec, s[20:21]
	s_cbranch_execz .LBB6_605
; %bb.596:                              ;   in Loop: Header=BB6_126 Depth=2
	v_mov_b32_e32 v9, 0
	v_cmp_ne_u32_e32 vcc, 0, v3
	s_and_saveexec_b64 s[94:95], vcc
	s_cbranch_execz .LBB6_604
; %bb.597:                              ;   in Loop: Header=BB6_126 Depth=2
	v_and_b32_e32 v6, 0x7fffff, v3
	v_bfe_u32 v3, v3, 23, 8
	v_cmp_gt_u32_e64 s[20:21], s64, v3
	v_sub_u32_e32 v4, 0x79, v3
	v_cmp_eq_u32_e32 vcc, 0, v3
	v_cndmask_b32_e64 v4, 0, v4, s[20:21]
	v_mov_b32_e32 v8, 0x78
	v_or_b32_e32 v7, 0x800000, v6
	v_cndmask_b32_e32 v4, v4, v8, vcc
	v_cndmask_b32_e32 v60, v7, v6, vcc
	v_add_u32_e32 v6, 20, v4
	v_lshlrev_b64 v[6:7], v6, -1
	v_add_u32_e32 v8, 19, v4
	v_lshlrev_b64 v[8:9], v8, 1
	v_lshrrev_b64 v[30:31], v4, v[60:61]
	v_bfi_b32 v7, v7, 0, 0
	v_bfi_b32 v6, v6, 0, v60
	v_cmp_eq_u64_e64 s[20:21], v[6:7], v[8:9]
	v_mov_b32_e32 v37, v31
	v_mov_b32_e32 v36, v30
	s_and_saveexec_b64 s[30:31], s[20:21]
; %bb.598:                              ;   in Loop: Header=BB6_126 Depth=2
	v_bfe_u32 v6, v30, 20, 1
	v_add_co_u32_e64 v6, s[20:21], v30, v6
	v_add_co_u32_e64 v36, s[20:21], -1, v6
; %bb.599:                              ;   in Loop: Header=BB6_126 Depth=2
	s_or_b64 exec, exec, s[30:31]
	v_add_u32_e32 v3, 0xffffff81, v3
	v_cndmask_b32_e32 v3, v3, v41, vcc
	v_lshrrev_b32_e32 v6, 23, v30
	v_add3_u32 v6, v4, v3, v6
	v_add_u32_e32 v4, 6, v6
	v_and_b32_e32 v3, 0xfffff, v36
	v_add_u32_e32 v60, v3, v30
	v_cmp_ne_u32_e32 vcc, 0, v4
                                        ; implicit-def: $vgpr30_vgpr31
                                        ; implicit-def: $vgpr3
	s_and_saveexec_b64 s[20:21], vcc
	s_xor_b64 s[20:21], exec, s[20:21]
; %bb.600:                              ;   in Loop: Header=BB6_126 Depth=2
	v_cmp_lt_u64_e32 vcc, s[76:77], v[60:61]
	v_add_u32_e32 v3, 7, v6
	v_cndmask_b32_e32 v3, v4, v3, vcc
	v_cndmask_b32_e64 v4, 0, 1, vcc
	v_lshrrev_b64 v[30:31], v4, v[60:61]
; %bb.601:                              ;   in Loop: Header=BB6_126 Depth=2
	s_andn2_saveexec_b64 s[20:21], s[20:21]
; %bb.602:                              ;   in Loop: Header=BB6_126 Depth=2
	v_mov_b32_e32 v30, v60
	v_bfe_u32 v3, v60, 23, 1
	v_mov_b32_e32 v31, v61
; %bb.603:                              ;   in Loop: Header=BB6_126 Depth=2
	s_or_b64 exec, exec, s[20:21]
	v_lshrrev_b64 v[6:7], 20, v[30:31]
	v_cmp_gt_i32_e32 vcc, 16, v3
	v_cndmask_b32_e32 v7, 0, v7, vcc
	v_cndmask_b32_e32 v6, 7, v6, vcc
	v_cmp_eq_u32_e32 vcc, 0, v3
	v_min_i32_e32 v3, 15, v3
	v_cmp_eq_u64_e64 s[20:21], 0, v[6:7]
	v_lshlrev_b32_e32 v3, 3, v3
	v_and_b32_e32 v3, 0xf8, v3
	v_and_or_b32 v3, v6, 7, v3
	s_and_b64 s[20:21], vcc, s[20:21]
	v_cndmask_b32_e64 v3, v3, 0, s[20:21]
	v_or_b32_e32 v9, v3, v2
.LBB6_604:                              ;   in Loop: Header=BB6_126 Depth=2
	s_or_b64 exec, exec, s[94:95]
                                        ; implicit-def: $vgpr2
.LBB6_605:                              ;   in Loop: Header=BB6_126 Depth=2
	s_andn2_saveexec_b64 s[20:21], s[92:93]
; %bb.606:                              ;   in Loop: Header=BB6_126 Depth=2
	v_or_b32_e32 v9, 0x7e, v2
; %bb.607:                              ;   in Loop: Header=BB6_126 Depth=2
	s_or_b64 exec, exec, s[20:21]
                                        ; implicit-def: $vgpr3
.LBB6_608:                              ;   in Loop: Header=BB6_126 Depth=2
	s_andn2_saveexec_b64 s[20:21], s[22:23]
; %bb.609:                              ;   in Loop: Header=BB6_126 Depth=2
	v_or_b32_sdwa v9, v3, s54 dst_sel:DWORD dst_unused:UNUSED_PAD src0_sel:BYTE_3 src1_sel:DWORD
; %bb.610:                              ;   in Loop: Header=BB6_126 Depth=2
	s_or_b64 exec, exec, s[20:21]
	v_lshrrev_b32_e32 v36, 24, v50
	v_lshrrev_b32_e32 v31, 24, v38
	v_cmp_lt_u32_e64 s[20:21], s79, v50
	s_mov_b64 s[22:23], -1
	s_and_b64 vcc, exec, s[28:29]
                                        ; implicit-def: $vgpr3
	s_cbranch_vccz .LBB6_624
; %bb.611:                              ;   in Loop: Header=BB6_126 Depth=2
	v_mov_b32_e32 v3, 0
	v_mov_b32_e32 v2, 0
	s_and_saveexec_b64 s[22:23], s[20:21]
	s_cbranch_execz .LBB6_617
; %bb.612:                              ;   in Loop: Header=BB6_126 Depth=2
	v_cmp_ne_u32_e32 vcc, s53, v36
	v_bfrev_b32_e32 v2, 1
	s_and_saveexec_b64 s[92:93], vcc
	s_cbranch_execz .LBB6_616
; %bb.613:                              ;   in Loop: Header=BB6_126 Depth=2
	v_bfe_u32 v4, v50, 24, 7
	v_cmp_ne_u32_e32 vcc, s54, v4
	v_mov_b32_e32 v2, 0x7f800001
	s_and_saveexec_b64 s[94:95], vcc
	s_cbranch_execz .LBB6_615
; %bb.614:                              ;   in Loop: Header=BB6_126 Depth=2
	v_and_b32_e32 v2, 7, v36
	v_lshrrev_b32_e32 v8, 3, v4
	v_cmp_gt_u32_e32 vcc, 8, v4
	v_ffbh_u32_e32 v4, v2
	v_min_u32_e32 v4, 32, v4
	v_subrev_u32_e32 v6, 28, v4
	v_lshlrev_b64 v[6:7], v6, v[36:37]
	v_sub_u32_e32 v4, 29, v4
	v_and_b32_e32 v6, 7, v6
	v_cndmask_b32_e32 v4, v8, v4, vcc
	v_cndmask_b32_e32 v2, v2, v6, vcc
	v_lshlrev_b32_e32 v6, 24, v36
	v_lshlrev_b32_e32 v2, 20, v2
	v_and_b32_e32 v6, 0x80000000, v6
	v_lshl_add_u32 v4, v4, 23, v62
	v_or3_b32 v2, v6, v4, v2
.LBB6_615:                              ;   in Loop: Header=BB6_126 Depth=2
	s_or_b64 exec, exec, s[94:95]
.LBB6_616:                              ;   in Loop: Header=BB6_126 Depth=2
	s_or_b64 exec, exec, s[92:93]
.LBB6_617:                              ;   in Loop: Header=BB6_126 Depth=2
	s_or_b64 exec, exec, s[22:23]
	v_cmp_lt_u32_e32 vcc, s79, v38
	s_and_saveexec_b64 s[22:23], vcc
	s_cbranch_execz .LBB6_623
; %bb.618:                              ;   in Loop: Header=BB6_126 Depth=2
	v_cmp_ne_u32_e32 vcc, s53, v31
	v_bfrev_b32_e32 v3, 1
	s_and_saveexec_b64 s[92:93], vcc
	s_cbranch_execz .LBB6_622
; %bb.619:                              ;   in Loop: Header=BB6_126 Depth=2
	v_bfe_u32 v4, v38, 24, 7
	v_cmp_ne_u32_e32 vcc, s54, v4
	v_mov_b32_e32 v3, 0x7f800001
	s_and_saveexec_b64 s[94:95], vcc
	s_cbranch_execz .LBB6_621
; %bb.620:                              ;   in Loop: Header=BB6_126 Depth=2
	v_and_b32_e32 v6, 7, v31
	v_ffbh_u32_e32 v3, v6
	v_min_u32_e32 v8, 32, v3
	v_subrev_u32_e32 v3, 28, v8
	v_lshrrev_b32_e32 v7, 3, v4
	v_cmp_gt_u32_e32 vcc, 8, v4
	v_lshlrev_b64 v[3:4], v3, v[31:32]
	v_sub_u32_e32 v4, 29, v8
	v_and_b32_e32 v3, 7, v3
	v_cndmask_b32_e32 v4, v7, v4, vcc
	v_cndmask_b32_e32 v3, v6, v3, vcc
	v_lshlrev_b32_e32 v6, 24, v31
	v_lshlrev_b32_e32 v3, 20, v3
	v_and_b32_e32 v6, 0x80000000, v6
	v_lshl_add_u32 v4, v4, 23, v62
	v_or3_b32 v3, v6, v4, v3
.LBB6_621:                              ;   in Loop: Header=BB6_126 Depth=2
	s_or_b64 exec, exec, s[94:95]
.LBB6_622:                              ;   in Loop: Header=BB6_126 Depth=2
	s_or_b64 exec, exec, s[92:93]
.LBB6_623:                              ;   in Loop: Header=BB6_126 Depth=2
	s_or_b64 exec, exec, s[22:23]
	v_max_f32_e32 v3, v3, v3
	v_max_f32_e32 v2, v2, v2
	;; [unrolled: 1-line block ×3, first 2 shown]
	s_mov_b64 s[22:23], 0
.LBB6_624:                              ;   in Loop: Header=BB6_126 Depth=2
	s_and_b64 vcc, exec, s[22:23]
	s_cbranch_vccz .LBB6_638
; %bb.625:                              ;   in Loop: Header=BB6_126 Depth=2
	v_mov_b32_e32 v3, 0
	v_mov_b32_e32 v2, 0
	s_and_saveexec_b64 s[22:23], s[20:21]
	s_cbranch_execz .LBB6_631
; %bb.626:                              ;   in Loop: Header=BB6_126 Depth=2
	v_cmp_ne_u32_e32 vcc, s53, v36
	v_bfrev_b32_e32 v2, 1
	s_and_saveexec_b64 s[20:21], vcc
	s_cbranch_execz .LBB6_630
; %bb.627:                              ;   in Loop: Header=BB6_126 Depth=2
	v_bfe_u32 v4, v50, 24, 7
	v_cmp_ne_u32_e32 vcc, s54, v4
	v_mov_b32_e32 v2, 0x7f800001
	s_and_saveexec_b64 s[92:93], vcc
	s_cbranch_execz .LBB6_629
; %bb.628:                              ;   in Loop: Header=BB6_126 Depth=2
	v_and_b32_e32 v2, 7, v36
	v_lshrrev_b32_e32 v8, 3, v4
	v_cmp_gt_u32_e32 vcc, 8, v4
	v_ffbh_u32_e32 v4, v2
	v_min_u32_e32 v4, 32, v4
	v_subrev_u32_e32 v6, 28, v4
	v_lshlrev_b64 v[6:7], v6, v[36:37]
	v_sub_u32_e32 v4, 29, v4
	v_and_b32_e32 v6, 7, v6
	v_cndmask_b32_e32 v4, v8, v4, vcc
	v_cndmask_b32_e32 v2, v2, v6, vcc
	v_lshlrev_b32_e32 v6, 24, v36
	v_lshlrev_b32_e32 v2, 20, v2
	v_and_b32_e32 v6, 0x80000000, v6
	v_lshl_add_u32 v4, v4, 23, v62
	v_or3_b32 v2, v6, v4, v2
.LBB6_629:                              ;   in Loop: Header=BB6_126 Depth=2
	s_or_b64 exec, exec, s[92:93]
.LBB6_630:                              ;   in Loop: Header=BB6_126 Depth=2
	s_or_b64 exec, exec, s[20:21]
.LBB6_631:                              ;   in Loop: Header=BB6_126 Depth=2
	s_or_b64 exec, exec, s[22:23]
	v_cmp_lt_u32_e32 vcc, s79, v38
	s_and_saveexec_b64 s[20:21], vcc
	s_cbranch_execz .LBB6_637
; %bb.632:                              ;   in Loop: Header=BB6_126 Depth=2
	v_cmp_ne_u32_e32 vcc, s53, v31
	v_bfrev_b32_e32 v3, 1
	s_and_saveexec_b64 s[22:23], vcc
	s_cbranch_execz .LBB6_636
; %bb.633:                              ;   in Loop: Header=BB6_126 Depth=2
	v_bfe_u32 v4, v38, 24, 7
	v_cmp_ne_u32_e32 vcc, s54, v4
	v_mov_b32_e32 v3, 0x7f800001
	s_and_saveexec_b64 s[92:93], vcc
	s_cbranch_execz .LBB6_635
; %bb.634:                              ;   in Loop: Header=BB6_126 Depth=2
	v_and_b32_e32 v6, 7, v31
	v_ffbh_u32_e32 v3, v6
	v_min_u32_e32 v8, 32, v3
	v_subrev_u32_e32 v3, 28, v8
	v_lshrrev_b32_e32 v7, 3, v4
	v_cmp_gt_u32_e32 vcc, 8, v4
	v_lshlrev_b64 v[3:4], v3, v[31:32]
	v_sub_u32_e32 v4, 29, v8
	v_and_b32_e32 v3, 7, v3
	v_cndmask_b32_e32 v4, v7, v4, vcc
	v_cndmask_b32_e32 v3, v6, v3, vcc
	v_lshlrev_b32_e32 v6, 24, v31
	v_lshlrev_b32_e32 v3, 20, v3
	v_and_b32_e32 v6, 0x80000000, v6
	v_lshl_add_u32 v4, v4, 23, v62
	v_or3_b32 v3, v6, v4, v3
.LBB6_635:                              ;   in Loop: Header=BB6_126 Depth=2
	s_or_b64 exec, exec, s[92:93]
.LBB6_636:                              ;   in Loop: Header=BB6_126 Depth=2
	s_or_b64 exec, exec, s[22:23]
.LBB6_637:                              ;   in Loop: Header=BB6_126 Depth=2
	s_or_b64 exec, exec, s[20:21]
	v_max_f32_e32 v3, v3, v3
	v_max_f32_e32 v2, v2, v2
	v_min_f32_e32 v3, v2, v3
.LBB6_638:                              ;   in Loop: Header=BB6_126 Depth=2
	v_and_b32_e32 v60, 0x7f800000, v3
	v_cmp_ne_u64_e32 vcc, s[72:73], v[60:61]
	buffer_store_dword v9, off, s[0:3], s33 offset:120 ; 4-byte Folded Spill
                                        ; implicit-def: $vgpr2
                                        ; kill: killed $vgpr2
	s_and_saveexec_b64 s[20:21], vcc
	s_xor_b64 s[22:23], exec, s[20:21]
	s_cbranch_execz .LBB6_652
; %bb.639:                              ;   in Loop: Header=BB6_126 Depth=2
	v_and_b32_e32 v60, 0x7fffffff, v3
	v_cmp_gt_u64_e32 vcc, s[74:75], v[60:61]
	v_and_b32_sdwa v2, v3, s53 dst_sel:DWORD dst_unused:UNUSED_PAD src0_sel:BYTE_3 src1_sel:DWORD
                                        ; implicit-def: $vgpr4
                                        ; kill: killed $vgpr4
	s_and_saveexec_b64 s[20:21], vcc
	s_xor_b64 s[92:93], exec, s[20:21]
	s_cbranch_execz .LBB6_649
; %bb.640:                              ;   in Loop: Header=BB6_126 Depth=2
	v_mov_b32_e32 v4, 0
	v_cmp_ne_u32_e32 vcc, 0, v3
	buffer_store_dword v4, off, s[0:3], s33 offset:88 ; 4-byte Folded Spill
	s_and_saveexec_b64 s[94:95], vcc
	s_cbranch_execz .LBB6_648
; %bb.641:                              ;   in Loop: Header=BB6_126 Depth=2
	v_and_b32_e32 v6, 0x7fffff, v3
	v_bfe_u32 v3, v3, 23, 8
	v_cmp_gt_u32_e64 s[20:21], s64, v3
	v_sub_u32_e32 v4, 0x79, v3
	v_cmp_eq_u32_e32 vcc, 0, v3
	v_cndmask_b32_e64 v4, 0, v4, s[20:21]
	v_mov_b32_e32 v8, 0x78
	v_or_b32_e32 v7, 0x800000, v6
	v_cndmask_b32_e32 v4, v4, v8, vcc
	v_cndmask_b32_e32 v60, v7, v6, vcc
	v_add_u32_e32 v6, 20, v4
	v_lshlrev_b64 v[6:7], v6, -1
	v_add_u32_e32 v8, 19, v4
	v_lshlrev_b64 v[8:9], v8, 1
	v_lshrrev_b64 v[30:31], v4, v[60:61]
	v_bfi_b32 v7, v7, 0, 0
	v_bfi_b32 v6, v6, 0, v60
	v_cmp_eq_u64_e64 s[20:21], v[6:7], v[8:9]
	v_mov_b32_e32 v37, v31
	v_mov_b32_e32 v36, v30
	s_and_saveexec_b64 s[30:31], s[20:21]
; %bb.642:                              ;   in Loop: Header=BB6_126 Depth=2
	v_bfe_u32 v6, v30, 20, 1
	v_add_co_u32_e64 v6, s[20:21], v30, v6
	v_add_co_u32_e64 v36, s[20:21], -1, v6
; %bb.643:                              ;   in Loop: Header=BB6_126 Depth=2
	s_or_b64 exec, exec, s[30:31]
	v_add_u32_e32 v3, 0xffffff81, v3
	v_cndmask_b32_e32 v3, v3, v41, vcc
	v_lshrrev_b32_e32 v6, 23, v30
	v_add3_u32 v6, v4, v3, v6
	v_add_u32_e32 v4, 6, v6
	v_and_b32_e32 v3, 0xfffff, v36
	v_add_u32_e32 v60, v3, v30
	v_cmp_ne_u32_e32 vcc, 0, v4
                                        ; implicit-def: $vgpr30_vgpr31
                                        ; implicit-def: $vgpr3
	s_and_saveexec_b64 s[20:21], vcc
	s_xor_b64 s[20:21], exec, s[20:21]
; %bb.644:                              ;   in Loop: Header=BB6_126 Depth=2
	v_cmp_lt_u64_e32 vcc, s[76:77], v[60:61]
	v_add_u32_e32 v3, 7, v6
	v_cndmask_b32_e32 v3, v4, v3, vcc
	v_cndmask_b32_e64 v4, 0, 1, vcc
	v_lshrrev_b64 v[30:31], v4, v[60:61]
; %bb.645:                              ;   in Loop: Header=BB6_126 Depth=2
	s_andn2_saveexec_b64 s[20:21], s[20:21]
; %bb.646:                              ;   in Loop: Header=BB6_126 Depth=2
	v_mov_b32_e32 v30, v60
	v_bfe_u32 v3, v60, 23, 1
	v_mov_b32_e32 v31, v61
; %bb.647:                              ;   in Loop: Header=BB6_126 Depth=2
	s_or_b64 exec, exec, s[20:21]
	v_lshrrev_b64 v[6:7], 20, v[30:31]
	v_cmp_gt_i32_e32 vcc, 16, v3
	v_cndmask_b32_e32 v7, 0, v7, vcc
	v_cndmask_b32_e32 v6, 7, v6, vcc
	v_cmp_eq_u32_e32 vcc, 0, v3
	v_min_i32_e32 v3, 15, v3
	v_cmp_eq_u64_e64 s[20:21], 0, v[6:7]
	v_lshlrev_b32_e32 v3, 3, v3
	v_and_b32_e32 v3, 0xf8, v3
	v_and_or_b32 v3, v6, 7, v3
	s_and_b64 s[20:21], vcc, s[20:21]
	v_cndmask_b32_e64 v3, v3, 0, s[20:21]
	v_or_b32_e32 v2, v3, v2
	buffer_store_dword v2, off, s[0:3], s33 offset:88 ; 4-byte Folded Spill
.LBB6_648:                              ;   in Loop: Header=BB6_126 Depth=2
	s_or_b64 exec, exec, s[94:95]
                                        ; implicit-def: $vgpr2
.LBB6_649:                              ;   in Loop: Header=BB6_126 Depth=2
	s_andn2_saveexec_b64 s[20:21], s[92:93]
	s_cbranch_execz .LBB6_651
; %bb.650:                              ;   in Loop: Header=BB6_126 Depth=2
	v_or_b32_e32 v2, 0x7e, v2
	buffer_store_dword v2, off, s[0:3], s33 offset:88 ; 4-byte Folded Spill
.LBB6_651:                              ;   in Loop: Header=BB6_126 Depth=2
	s_or_b64 exec, exec, s[20:21]
                                        ; implicit-def: $vgpr3
.LBB6_652:                              ;   in Loop: Header=BB6_126 Depth=2
	s_andn2_saveexec_b64 s[20:21], s[22:23]
	s_cbranch_execz .LBB6_654
; %bb.653:                              ;   in Loop: Header=BB6_126 Depth=2
	v_or_b32_sdwa v2, v3, s54 dst_sel:DWORD dst_unused:UNUSED_PAD src0_sel:BYTE_3 src1_sel:DWORD
	buffer_store_dword v2, off, s[0:3], s33 offset:88 ; 4-byte Folded Spill
.LBB6_654:                              ;   in Loop: Header=BB6_126 Depth=2
	s_or_b64 exec, exec, s[20:21]
	v_mov_b32_e32 v60, v51
	v_mov_b32_e32 v36, v39
	;; [unrolled: 1-line block ×3, first 2 shown]
	v_cmp_ne_u16_sdwa s[20:21], v51, v61 src0_sel:BYTE_0 src1_sel:DWORD
	s_mov_b64 s[22:23], -1
	s_and_b64 vcc, exec, s[28:29]
                                        ; implicit-def: $vgpr3
	s_cbranch_vccz .LBB6_668
; %bb.655:                              ;   in Loop: Header=BB6_126 Depth=2
	v_mov_b32_e32 v3, 0
	v_mov_b32_e32 v2, 0
	s_and_saveexec_b64 s[22:23], s[20:21]
	s_cbranch_execz .LBB6_661
; %bb.656:                              ;   in Loop: Header=BB6_126 Depth=2
	v_cmp_ne_u16_sdwa s[94:95], v51, s53 src0_sel:BYTE_0 src1_sel:DWORD
	v_bfrev_b32_e32 v2, 1
	s_and_saveexec_b64 s[92:93], s[94:95]
	s_cbranch_execz .LBB6_660
; %bb.657:                              ;   in Loop: Header=BB6_126 Depth=2
	v_and_b32_e32 v4, 0x7f, v51
	v_cmp_ne_u32_e32 vcc, s54, v4
	v_mov_b32_e32 v2, 0x7f800001
	s_and_saveexec_b64 s[94:95], vcc
	s_cbranch_execz .LBB6_659
; %bb.658:                              ;   in Loop: Header=BB6_126 Depth=2
	v_and_b32_e32 v2, 7, v51
	v_ffbh_u32_e32 v2, v2
	v_min_u32_e32 v2, 32, v2
	v_lshrrev_b32_e32 v6, 3, v4
	v_cmp_gt_u32_e32 vcc, 8, v4
	v_subrev_u32_e32 v4, 28, v2
	v_sub_u32_e32 v2, 29, v2
	v_cndmask_b32_e32 v4, 0, v4, vcc
	v_cndmask_b32_e32 v2, v6, v2, vcc
	v_lshlrev_b64 v[6:7], v4, v[60:61]
	v_lshl_add_u32 v2, v2, 23, v62
	v_lshlrev_b32_e32 v4, 20, v6
	v_lshlrev_b32_e32 v6, 24, v60
	v_and_b32_e32 v4, 0x700000, v4
	v_and_b32_e32 v6, 0x80000000, v6
	v_or3_b32 v2, v6, v2, v4
.LBB6_659:                              ;   in Loop: Header=BB6_126 Depth=2
	s_or_b64 exec, exec, s[94:95]
.LBB6_660:                              ;   in Loop: Header=BB6_126 Depth=2
	s_or_b64 exec, exec, s[92:93]
.LBB6_661:                              ;   in Loop: Header=BB6_126 Depth=2
	s_or_b64 exec, exec, s[22:23]
	v_cmp_ne_u16_sdwa s[92:93], v39, v61 src0_sel:BYTE_0 src1_sel:DWORD
	s_and_saveexec_b64 s[22:23], s[92:93]
	s_cbranch_execz .LBB6_667
; %bb.662:                              ;   in Loop: Header=BB6_126 Depth=2
	v_cmp_ne_u16_sdwa s[94:95], v39, s53 src0_sel:BYTE_0 src1_sel:DWORD
	v_bfrev_b32_e32 v3, 1
	s_and_saveexec_b64 s[92:93], s[94:95]
	s_cbranch_execz .LBB6_666
; %bb.663:                              ;   in Loop: Header=BB6_126 Depth=2
	v_and_b32_e32 v4, 0x7f, v39
	v_cmp_ne_u32_e32 vcc, s54, v4
	v_mov_b32_e32 v3, 0x7f800001
	s_and_saveexec_b64 s[94:95], vcc
	s_cbranch_execz .LBB6_665
; %bb.664:                              ;   in Loop: Header=BB6_126 Depth=2
	v_and_b32_e32 v3, 7, v39
	v_ffbh_u32_e32 v3, v3
	v_min_u32_e32 v3, 32, v3
	v_lshrrev_b32_e32 v6, 3, v4
	v_cmp_gt_u32_e32 vcc, 8, v4
	v_subrev_u32_e32 v4, 28, v3
	v_sub_u32_e32 v3, 29, v3
	v_cndmask_b32_e32 v6, v6, v3, vcc
	v_cndmask_b32_e32 v3, 0, v4, vcc
	v_lshlrev_b64 v[3:4], v3, v[36:37]
	v_lshlrev_b32_e32 v4, 24, v36
	v_lshlrev_b32_e32 v3, 20, v3
	v_and_b32_e32 v3, 0x700000, v3
	v_and_b32_e32 v4, 0x80000000, v4
	v_lshl_add_u32 v6, v6, 23, v62
	v_or3_b32 v3, v4, v6, v3
.LBB6_665:                              ;   in Loop: Header=BB6_126 Depth=2
	s_or_b64 exec, exec, s[94:95]
.LBB6_666:                              ;   in Loop: Header=BB6_126 Depth=2
	s_or_b64 exec, exec, s[92:93]
.LBB6_667:                              ;   in Loop: Header=BB6_126 Depth=2
	s_or_b64 exec, exec, s[22:23]
	v_max_f32_e32 v3, v3, v3
	v_max_f32_e32 v2, v2, v2
	;; [unrolled: 1-line block ×3, first 2 shown]
	s_mov_b64 s[22:23], 0
.LBB6_668:                              ;   in Loop: Header=BB6_126 Depth=2
	s_and_b64 vcc, exec, s[22:23]
	s_cbranch_vccz .LBB6_682
; %bb.669:                              ;   in Loop: Header=BB6_126 Depth=2
	v_mov_b32_e32 v3, 0
	v_mov_b32_e32 v2, 0
	s_and_saveexec_b64 s[22:23], s[20:21]
	s_cbranch_execz .LBB6_675
; %bb.670:                              ;   in Loop: Header=BB6_126 Depth=2
	v_cmp_ne_u16_sdwa s[92:93], v51, s53 src0_sel:BYTE_0 src1_sel:DWORD
	v_bfrev_b32_e32 v2, 1
	s_and_saveexec_b64 s[20:21], s[92:93]
	s_cbranch_execz .LBB6_674
; %bb.671:                              ;   in Loop: Header=BB6_126 Depth=2
	v_and_b32_e32 v4, 0x7f, v51
	v_cmp_ne_u32_e32 vcc, s54, v4
	v_mov_b32_e32 v2, 0x7f800001
	s_and_saveexec_b64 s[92:93], vcc
	s_cbranch_execz .LBB6_673
; %bb.672:                              ;   in Loop: Header=BB6_126 Depth=2
	v_and_b32_e32 v2, 7, v51
	v_ffbh_u32_e32 v2, v2
	v_min_u32_e32 v2, 32, v2
	v_lshrrev_b32_e32 v6, 3, v4
	v_cmp_gt_u32_e32 vcc, 8, v4
	v_subrev_u32_e32 v4, 28, v2
	v_sub_u32_e32 v2, 29, v2
	v_cndmask_b32_e32 v4, 0, v4, vcc
	v_cndmask_b32_e32 v2, v6, v2, vcc
	v_lshlrev_b64 v[6:7], v4, v[60:61]
	v_lshl_add_u32 v2, v2, 23, v62
	v_lshlrev_b32_e32 v4, 20, v6
	v_lshlrev_b32_e32 v6, 24, v60
	v_and_b32_e32 v4, 0x700000, v4
	v_and_b32_e32 v6, 0x80000000, v6
	v_or3_b32 v2, v6, v2, v4
.LBB6_673:                              ;   in Loop: Header=BB6_126 Depth=2
	s_or_b64 exec, exec, s[92:93]
.LBB6_674:                              ;   in Loop: Header=BB6_126 Depth=2
	s_or_b64 exec, exec, s[20:21]
.LBB6_675:                              ;   in Loop: Header=BB6_126 Depth=2
	s_or_b64 exec, exec, s[22:23]
	v_cmp_ne_u16_sdwa s[22:23], v39, v61 src0_sel:BYTE_0 src1_sel:DWORD
	s_and_saveexec_b64 s[20:21], s[22:23]
	s_cbranch_execz .LBB6_681
; %bb.676:                              ;   in Loop: Header=BB6_126 Depth=2
	v_cmp_ne_u16_sdwa s[92:93], v39, s53 src0_sel:BYTE_0 src1_sel:DWORD
	v_bfrev_b32_e32 v3, 1
	s_and_saveexec_b64 s[22:23], s[92:93]
	s_cbranch_execz .LBB6_680
; %bb.677:                              ;   in Loop: Header=BB6_126 Depth=2
	v_and_b32_e32 v4, 0x7f, v39
	v_cmp_ne_u32_e32 vcc, s54, v4
	v_mov_b32_e32 v3, 0x7f800001
	s_and_saveexec_b64 s[92:93], vcc
	s_cbranch_execz .LBB6_679
; %bb.678:                              ;   in Loop: Header=BB6_126 Depth=2
	v_and_b32_e32 v3, 7, v39
	v_ffbh_u32_e32 v3, v3
	v_min_u32_e32 v3, 32, v3
	v_lshrrev_b32_e32 v6, 3, v4
	v_cmp_gt_u32_e32 vcc, 8, v4
	v_subrev_u32_e32 v4, 28, v3
	v_sub_u32_e32 v3, 29, v3
	v_cndmask_b32_e32 v6, v6, v3, vcc
	v_cndmask_b32_e32 v3, 0, v4, vcc
	v_lshlrev_b64 v[3:4], v3, v[36:37]
	v_lshlrev_b32_e32 v4, 24, v36
	v_lshlrev_b32_e32 v3, 20, v3
	v_and_b32_e32 v3, 0x700000, v3
	v_and_b32_e32 v4, 0x80000000, v4
	v_lshl_add_u32 v6, v6, 23, v62
	v_or3_b32 v3, v4, v6, v3
.LBB6_679:                              ;   in Loop: Header=BB6_126 Depth=2
	s_or_b64 exec, exec, s[92:93]
.LBB6_680:                              ;   in Loop: Header=BB6_126 Depth=2
	s_or_b64 exec, exec, s[22:23]
.LBB6_681:                              ;   in Loop: Header=BB6_126 Depth=2
	s_or_b64 exec, exec, s[20:21]
	v_max_f32_e32 v3, v3, v3
	v_max_f32_e32 v2, v2, v2
	v_min_f32_e32 v3, v2, v3
.LBB6_682:                              ;   in Loop: Header=BB6_126 Depth=2
	v_and_b32_e32 v6, 0x7f800000, v3
	v_mov_b32_e32 v7, v61
	v_cmp_ne_u64_e32 vcc, s[72:73], v[6:7]
                                        ; implicit-def: $vgpr48
	s_and_saveexec_b64 s[20:21], vcc
	s_xor_b64 s[22:23], exec, s[20:21]
	s_cbranch_execz .LBB6_696
; %bb.683:                              ;   in Loop: Header=BB6_126 Depth=2
	v_and_b32_e32 v6, 0x7fffffff, v3
	v_mov_b32_e32 v7, v61
	v_cmp_gt_u64_e32 vcc, s[74:75], v[6:7]
	v_and_b32_sdwa v2, v3, s53 dst_sel:DWORD dst_unused:UNUSED_PAD src0_sel:BYTE_3 src1_sel:DWORD
                                        ; implicit-def: $vgpr48
	s_and_saveexec_b64 s[20:21], vcc
	s_xor_b64 s[92:93], exec, s[20:21]
	s_cbranch_execz .LBB6_693
; %bb.684:                              ;   in Loop: Header=BB6_126 Depth=2
	v_mov_b32_e32 v48, 0
	v_cmp_ne_u32_e32 vcc, 0, v3
	s_and_saveexec_b64 s[94:95], vcc
	s_cbranch_execz .LBB6_692
; %bb.685:                              ;   in Loop: Header=BB6_126 Depth=2
	v_and_b32_e32 v6, 0x7fffff, v3
	v_bfe_u32 v3, v3, 23, 8
	v_cmp_gt_u32_e64 s[20:21], s64, v3
	v_sub_u32_e32 v4, 0x79, v3
	v_cmp_eq_u32_e32 vcc, 0, v3
	v_cndmask_b32_e64 v4, 0, v4, s[20:21]
	v_mov_b32_e32 v8, 0x78
	v_cndmask_b32_e32 v4, v4, v8, vcc
	v_add_u32_e32 v8, 20, v4
	v_or_b32_e32 v7, 0x800000, v6
	v_lshlrev_b64 v[8:9], v8, -1
	v_add_u32_e32 v30, 19, v4
	v_cndmask_b32_e32 v6, v7, v6, vcc
	v_lshlrev_b64 v[30:31], v30, 1
	v_mov_b32_e32 v7, v61
	v_bfi_b32 v9, v9, 0, 0
	v_bfi_b32 v8, v8, 0, v6
	v_cmp_eq_u64_e64 s[20:21], v[8:9], v[30:31]
	v_lshrrev_b64 v[30:31], v4, v[6:7]
	v_mov_b32_e32 v49, v31
	v_mov_b32_e32 v48, v30
	s_and_saveexec_b64 s[30:31], s[20:21]
; %bb.686:                              ;   in Loop: Header=BB6_126 Depth=2
	v_bfe_u32 v6, v30, 20, 1
	v_add_co_u32_e64 v6, s[20:21], v30, v6
	v_add_co_u32_e64 v48, s[20:21], -1, v6
; %bb.687:                              ;   in Loop: Header=BB6_126 Depth=2
	s_or_b64 exec, exec, s[30:31]
	v_add_u32_e32 v3, 0xffffff81, v3
	v_cndmask_b32_e32 v3, v3, v41, vcc
	v_lshrrev_b32_e32 v6, 23, v30
	v_add3_u32 v6, v4, v3, v6
	v_add_u32_e32 v4, 6, v6
	v_and_b32_e32 v3, 0xfffff, v48
	v_add_u32_e32 v30, v3, v30
	v_mov_b32_e32 v31, v61
	v_cmp_ne_u32_e32 vcc, 0, v4
                                        ; implicit-def: $vgpr3
	s_and_saveexec_b64 s[20:21], vcc
	s_xor_b64 s[20:21], exec, s[20:21]
; %bb.688:                              ;   in Loop: Header=BB6_126 Depth=2
	v_cmp_lt_u64_e32 vcc, s[76:77], v[30:31]
	v_add_u32_e32 v3, 7, v6
	v_cndmask_b32_e32 v3, v4, v3, vcc
	v_cndmask_b32_e64 v4, 0, 1, vcc
	v_lshrrev_b64 v[30:31], v4, v[30:31]
; %bb.689:                              ;   in Loop: Header=BB6_126 Depth=2
	s_andn2_saveexec_b64 s[20:21], s[20:21]
; %bb.690:                              ;   in Loop: Header=BB6_126 Depth=2
	v_bfe_u32 v3, v30, 23, 1
; %bb.691:                              ;   in Loop: Header=BB6_126 Depth=2
	s_or_b64 exec, exec, s[20:21]
	v_lshrrev_b64 v[6:7], 20, v[30:31]
	v_cmp_gt_i32_e32 vcc, 16, v3
	v_cndmask_b32_e32 v7, 0, v7, vcc
	v_cndmask_b32_e32 v6, 7, v6, vcc
	v_cmp_eq_u32_e32 vcc, 0, v3
	v_min_i32_e32 v3, 15, v3
	v_cmp_eq_u64_e64 s[20:21], 0, v[6:7]
	v_lshlrev_b32_e32 v3, 3, v3
	v_and_b32_e32 v3, 0xf8, v3
	v_and_or_b32 v3, v6, 7, v3
	s_and_b64 s[20:21], vcc, s[20:21]
	v_cndmask_b32_e64 v3, v3, 0, s[20:21]
	v_or_b32_e32 v48, v3, v2
.LBB6_692:                              ;   in Loop: Header=BB6_126 Depth=2
	s_or_b64 exec, exec, s[94:95]
                                        ; implicit-def: $vgpr2
.LBB6_693:                              ;   in Loop: Header=BB6_126 Depth=2
	s_andn2_saveexec_b64 s[20:21], s[92:93]
; %bb.694:                              ;   in Loop: Header=BB6_126 Depth=2
	v_or_b32_e32 v48, 0x7e, v2
; %bb.695:                              ;   in Loop: Header=BB6_126 Depth=2
	s_or_b64 exec, exec, s[20:21]
                                        ; implicit-def: $vgpr3
.LBB6_696:                              ;   in Loop: Header=BB6_126 Depth=2
	s_andn2_saveexec_b64 s[20:21], s[22:23]
; %bb.697:                              ;   in Loop: Header=BB6_126 Depth=2
	v_or_b32_sdwa v48, v3, s54 dst_sel:DWORD dst_unused:UNUSED_PAD src0_sel:BYTE_3 src1_sel:DWORD
; %bb.698:                              ;   in Loop: Header=BB6_126 Depth=2
	s_or_b64 exec, exec, s[20:21]
	v_lshrrev_b16_e32 v37, 8, v60
	v_lshrrev_b16_e32 v31, 8, v36
	v_cmp_ne_u16_e64 s[20:21], 0, v37
	s_mov_b64 s[22:23], -1
	s_and_b64 vcc, exec, s[28:29]
                                        ; implicit-def: $vgpr3
	s_cbranch_vccz .LBB6_712
; %bb.699:                              ;   in Loop: Header=BB6_126 Depth=2
	v_mov_b32_e32 v3, 0
	v_mov_b32_e32 v2, 0
	s_and_saveexec_b64 s[22:23], s[20:21]
	s_cbranch_execz .LBB6_705
; %bb.700:                              ;   in Loop: Header=BB6_126 Depth=2
	v_cmp_ne_u16_e32 vcc, s53, v37
	v_bfrev_b32_e32 v2, 1
	s_and_saveexec_b64 s[92:93], vcc
	s_cbranch_execz .LBB6_704
; %bb.701:                              ;   in Loop: Header=BB6_126 Depth=2
	v_and_b32_e32 v4, 0x7f, v37
	v_cmp_ne_u32_e32 vcc, s54, v4
	v_mov_b32_e32 v2, 0x7f800001
	s_and_saveexec_b64 s[94:95], vcc
	s_cbranch_execz .LBB6_703
; %bb.702:                              ;   in Loop: Header=BB6_126 Depth=2
	v_and_b32_e32 v2, 7, v37
	v_lshrrev_b32_e32 v8, 3, v4
	v_cmp_gt_u32_e32 vcc, 8, v4
	v_ffbh_u32_e32 v4, v2
	v_min_u32_e32 v4, 32, v4
	v_subrev_u32_e32 v6, 28, v4
	v_lshlrev_b64 v[6:7], v6, v[37:38]
	v_sub_u32_e32 v4, 29, v4
	v_and_b32_e32 v6, 7, v6
	v_cndmask_b32_e32 v4, v8, v4, vcc
	v_cndmask_b32_e32 v2, v2, v6, vcc
	v_lshlrev_b32_e32 v6, 16, v60
	v_lshlrev_b32_e32 v2, 20, v2
	v_and_b32_e32 v6, 0x80000000, v6
	v_lshl_add_u32 v4, v4, 23, v62
	v_or3_b32 v2, v6, v4, v2
.LBB6_703:                              ;   in Loop: Header=BB6_126 Depth=2
	s_or_b64 exec, exec, s[94:95]
.LBB6_704:                              ;   in Loop: Header=BB6_126 Depth=2
	s_or_b64 exec, exec, s[92:93]
.LBB6_705:                              ;   in Loop: Header=BB6_126 Depth=2
	s_or_b64 exec, exec, s[22:23]
	v_cmp_ne_u16_e32 vcc, 0, v31
	s_and_saveexec_b64 s[22:23], vcc
	s_cbranch_execz .LBB6_711
; %bb.706:                              ;   in Loop: Header=BB6_126 Depth=2
	v_cmp_ne_u16_e32 vcc, s53, v31
	v_bfrev_b32_e32 v3, 1
	s_and_saveexec_b64 s[92:93], vcc
	s_cbranch_execz .LBB6_710
; %bb.707:                              ;   in Loop: Header=BB6_126 Depth=2
	v_and_b32_e32 v4, 0x7f, v31
	v_cmp_ne_u32_e32 vcc, s54, v4
	v_mov_b32_e32 v3, 0x7f800001
	s_and_saveexec_b64 s[94:95], vcc
	s_cbranch_execz .LBB6_709
; %bb.708:                              ;   in Loop: Header=BB6_126 Depth=2
	v_and_b32_e32 v6, 7, v31
	v_ffbh_u32_e32 v3, v6
	v_min_u32_e32 v8, 32, v3
	v_subrev_u32_e32 v3, 28, v8
	v_lshrrev_b32_e32 v7, 3, v4
	v_cmp_gt_u32_e32 vcc, 8, v4
	v_lshlrev_b64 v[3:4], v3, v[31:32]
	v_sub_u32_e32 v4, 29, v8
	v_and_b32_e32 v3, 7, v3
	v_cndmask_b32_e32 v4, v7, v4, vcc
	v_cndmask_b32_e32 v3, v6, v3, vcc
	v_lshlrev_b32_e32 v6, 16, v36
	v_lshlrev_b32_e32 v3, 20, v3
	v_and_b32_e32 v6, 0x80000000, v6
	v_lshl_add_u32 v4, v4, 23, v62
	v_or3_b32 v3, v6, v4, v3
.LBB6_709:                              ;   in Loop: Header=BB6_126 Depth=2
	s_or_b64 exec, exec, s[94:95]
.LBB6_710:                              ;   in Loop: Header=BB6_126 Depth=2
	s_or_b64 exec, exec, s[92:93]
.LBB6_711:                              ;   in Loop: Header=BB6_126 Depth=2
	s_or_b64 exec, exec, s[22:23]
	v_max_f32_e32 v3, v3, v3
	v_max_f32_e32 v2, v2, v2
	;; [unrolled: 1-line block ×3, first 2 shown]
	s_mov_b64 s[22:23], 0
.LBB6_712:                              ;   in Loop: Header=BB6_126 Depth=2
	s_and_b64 vcc, exec, s[22:23]
	s_cbranch_vccz .LBB6_726
; %bb.713:                              ;   in Loop: Header=BB6_126 Depth=2
	v_mov_b32_e32 v3, 0
	v_mov_b32_e32 v2, 0
	s_and_saveexec_b64 s[22:23], s[20:21]
	s_cbranch_execz .LBB6_719
; %bb.714:                              ;   in Loop: Header=BB6_126 Depth=2
	v_cmp_ne_u16_e32 vcc, s53, v37
	v_bfrev_b32_e32 v2, 1
	s_and_saveexec_b64 s[20:21], vcc
	s_cbranch_execz .LBB6_718
; %bb.715:                              ;   in Loop: Header=BB6_126 Depth=2
	v_and_b32_e32 v4, 0x7f, v37
	v_cmp_ne_u32_e32 vcc, s54, v4
	v_mov_b32_e32 v2, 0x7f800001
	s_and_saveexec_b64 s[92:93], vcc
	s_cbranch_execz .LBB6_717
; %bb.716:                              ;   in Loop: Header=BB6_126 Depth=2
	v_and_b32_e32 v2, 7, v37
	v_lshrrev_b32_e32 v8, 3, v4
	v_cmp_gt_u32_e32 vcc, 8, v4
	v_ffbh_u32_e32 v4, v2
	v_min_u32_e32 v4, 32, v4
	v_subrev_u32_e32 v6, 28, v4
	v_lshlrev_b64 v[6:7], v6, v[37:38]
	v_sub_u32_e32 v4, 29, v4
	v_and_b32_e32 v6, 7, v6
	v_cndmask_b32_e32 v4, v8, v4, vcc
	v_cndmask_b32_e32 v2, v2, v6, vcc
	v_lshlrev_b32_e32 v6, 16, v60
	v_lshlrev_b32_e32 v2, 20, v2
	v_and_b32_e32 v6, 0x80000000, v6
	v_lshl_add_u32 v4, v4, 23, v62
	v_or3_b32 v2, v6, v4, v2
.LBB6_717:                              ;   in Loop: Header=BB6_126 Depth=2
	s_or_b64 exec, exec, s[92:93]
.LBB6_718:                              ;   in Loop: Header=BB6_126 Depth=2
	s_or_b64 exec, exec, s[20:21]
.LBB6_719:                              ;   in Loop: Header=BB6_126 Depth=2
	s_or_b64 exec, exec, s[22:23]
	v_cmp_ne_u16_e32 vcc, 0, v31
	s_and_saveexec_b64 s[20:21], vcc
	s_cbranch_execz .LBB6_725
; %bb.720:                              ;   in Loop: Header=BB6_126 Depth=2
	v_cmp_ne_u16_e32 vcc, s53, v31
	v_bfrev_b32_e32 v3, 1
	s_and_saveexec_b64 s[22:23], vcc
	s_cbranch_execz .LBB6_724
; %bb.721:                              ;   in Loop: Header=BB6_126 Depth=2
	v_and_b32_e32 v4, 0x7f, v31
	v_cmp_ne_u32_e32 vcc, s54, v4
	v_mov_b32_e32 v3, 0x7f800001
	s_and_saveexec_b64 s[92:93], vcc
	s_cbranch_execz .LBB6_723
; %bb.722:                              ;   in Loop: Header=BB6_126 Depth=2
	v_and_b32_e32 v6, 7, v31
	v_ffbh_u32_e32 v3, v6
	v_min_u32_e32 v8, 32, v3
	v_subrev_u32_e32 v3, 28, v8
	v_lshrrev_b32_e32 v7, 3, v4
	v_cmp_gt_u32_e32 vcc, 8, v4
	v_lshlrev_b64 v[3:4], v3, v[31:32]
	v_sub_u32_e32 v4, 29, v8
	v_and_b32_e32 v3, 7, v3
	v_cndmask_b32_e32 v4, v7, v4, vcc
	v_cndmask_b32_e32 v3, v6, v3, vcc
	v_lshlrev_b32_e32 v6, 16, v36
	v_lshlrev_b32_e32 v3, 20, v3
	v_and_b32_e32 v6, 0x80000000, v6
	v_lshl_add_u32 v4, v4, 23, v62
	v_or3_b32 v3, v6, v4, v3
.LBB6_723:                              ;   in Loop: Header=BB6_126 Depth=2
	s_or_b64 exec, exec, s[92:93]
.LBB6_724:                              ;   in Loop: Header=BB6_126 Depth=2
	s_or_b64 exec, exec, s[22:23]
.LBB6_725:                              ;   in Loop: Header=BB6_126 Depth=2
	s_or_b64 exec, exec, s[20:21]
	v_max_f32_e32 v3, v3, v3
	v_max_f32_e32 v2, v2, v2
	v_min_f32_e32 v3, v2, v3
.LBB6_726:                              ;   in Loop: Header=BB6_126 Depth=2
	v_and_b32_e32 v60, 0x7f800000, v3
	v_cmp_ne_u64_e32 vcc, s[72:73], v[60:61]
                                        ; implicit-def: $vgpr49
	s_and_saveexec_b64 s[20:21], vcc
	s_xor_b64 s[22:23], exec, s[20:21]
	s_cbranch_execz .LBB6_740
; %bb.727:                              ;   in Loop: Header=BB6_126 Depth=2
	v_and_b32_e32 v60, 0x7fffffff, v3
	v_cmp_gt_u64_e32 vcc, s[74:75], v[60:61]
	v_and_b32_sdwa v2, v3, s53 dst_sel:DWORD dst_unused:UNUSED_PAD src0_sel:BYTE_3 src1_sel:DWORD
                                        ; implicit-def: $vgpr49
	s_and_saveexec_b64 s[20:21], vcc
	s_xor_b64 s[92:93], exec, s[20:21]
	s_cbranch_execz .LBB6_737
; %bb.728:                              ;   in Loop: Header=BB6_126 Depth=2
	v_mov_b32_e32 v49, 0
	v_cmp_ne_u32_e32 vcc, 0, v3
	s_and_saveexec_b64 s[94:95], vcc
	s_cbranch_execz .LBB6_736
; %bb.729:                              ;   in Loop: Header=BB6_126 Depth=2
	v_and_b32_e32 v6, 0x7fffff, v3
	v_bfe_u32 v3, v3, 23, 8
	v_cmp_gt_u32_e64 s[20:21], s64, v3
	v_sub_u32_e32 v4, 0x79, v3
	v_cmp_eq_u32_e32 vcc, 0, v3
	v_cndmask_b32_e64 v4, 0, v4, s[20:21]
	v_mov_b32_e32 v8, 0x78
	v_or_b32_e32 v7, 0x800000, v6
	v_cndmask_b32_e32 v4, v4, v8, vcc
	v_cndmask_b32_e32 v60, v7, v6, vcc
	v_add_u32_e32 v6, 20, v4
	v_lshlrev_b64 v[6:7], v6, -1
	v_add_u32_e32 v8, 19, v4
	v_lshlrev_b64 v[8:9], v8, 1
	v_lshrrev_b64 v[30:31], v4, v[60:61]
	v_bfi_b32 v7, v7, 0, 0
	v_bfi_b32 v6, v6, 0, v60
	v_cmp_eq_u64_e64 s[20:21], v[6:7], v[8:9]
	v_mov_b32_e32 v37, v31
	v_mov_b32_e32 v36, v30
	s_and_saveexec_b64 s[30:31], s[20:21]
; %bb.730:                              ;   in Loop: Header=BB6_126 Depth=2
	v_bfe_u32 v6, v30, 20, 1
	v_add_co_u32_e64 v6, s[20:21], v30, v6
	v_add_co_u32_e64 v36, s[20:21], -1, v6
; %bb.731:                              ;   in Loop: Header=BB6_126 Depth=2
	s_or_b64 exec, exec, s[30:31]
	v_add_u32_e32 v3, 0xffffff81, v3
	v_cndmask_b32_e32 v3, v3, v41, vcc
	v_lshrrev_b32_e32 v6, 23, v30
	v_add3_u32 v6, v4, v3, v6
	v_add_u32_e32 v4, 6, v6
	v_and_b32_e32 v3, 0xfffff, v36
	v_add_u32_e32 v60, v3, v30
	v_cmp_ne_u32_e32 vcc, 0, v4
                                        ; implicit-def: $vgpr30_vgpr31
                                        ; implicit-def: $vgpr3
	s_and_saveexec_b64 s[20:21], vcc
	s_xor_b64 s[20:21], exec, s[20:21]
; %bb.732:                              ;   in Loop: Header=BB6_126 Depth=2
	v_cmp_lt_u64_e32 vcc, s[76:77], v[60:61]
	v_add_u32_e32 v3, 7, v6
	v_cndmask_b32_e32 v3, v4, v3, vcc
	v_cndmask_b32_e64 v4, 0, 1, vcc
	v_lshrrev_b64 v[30:31], v4, v[60:61]
; %bb.733:                              ;   in Loop: Header=BB6_126 Depth=2
	s_andn2_saveexec_b64 s[20:21], s[20:21]
; %bb.734:                              ;   in Loop: Header=BB6_126 Depth=2
	v_mov_b32_e32 v30, v60
	v_bfe_u32 v3, v60, 23, 1
	v_mov_b32_e32 v31, v61
; %bb.735:                              ;   in Loop: Header=BB6_126 Depth=2
	s_or_b64 exec, exec, s[20:21]
	v_lshrrev_b64 v[6:7], 20, v[30:31]
	v_cmp_gt_i32_e32 vcc, 16, v3
	v_cndmask_b32_e32 v7, 0, v7, vcc
	v_cndmask_b32_e32 v6, 7, v6, vcc
	v_cmp_eq_u32_e32 vcc, 0, v3
	v_min_i32_e32 v3, 15, v3
	v_cmp_eq_u64_e64 s[20:21], 0, v[6:7]
	v_lshlrev_b32_e32 v3, 3, v3
	v_and_b32_e32 v3, 0xf8, v3
	v_and_or_b32 v3, v6, 7, v3
	s_and_b64 s[20:21], vcc, s[20:21]
	v_cndmask_b32_e64 v3, v3, 0, s[20:21]
	v_or_b32_e32 v49, v3, v2
.LBB6_736:                              ;   in Loop: Header=BB6_126 Depth=2
	s_or_b64 exec, exec, s[94:95]
                                        ; implicit-def: $vgpr2
.LBB6_737:                              ;   in Loop: Header=BB6_126 Depth=2
	s_andn2_saveexec_b64 s[20:21], s[92:93]
; %bb.738:                              ;   in Loop: Header=BB6_126 Depth=2
	v_or_b32_e32 v49, 0x7e, v2
; %bb.739:                              ;   in Loop: Header=BB6_126 Depth=2
	s_or_b64 exec, exec, s[20:21]
                                        ; implicit-def: $vgpr3
.LBB6_740:                              ;   in Loop: Header=BB6_126 Depth=2
	s_andn2_saveexec_b64 s[20:21], s[22:23]
; %bb.741:                              ;   in Loop: Header=BB6_126 Depth=2
	v_or_b32_sdwa v49, v3, s54 dst_sel:DWORD dst_unused:UNUSED_PAD src0_sel:BYTE_3 src1_sel:DWORD
; %bb.742:                              ;   in Loop: Header=BB6_126 Depth=2
	s_or_b64 exec, exec, s[20:21]
	v_lshrrev_b32_e32 v36, 16, v51
	v_lshrrev_b32_e32 v31, 16, v39
	v_cmp_ne_u16_sdwa s[20:21], v36, v61 src0_sel:BYTE_0 src1_sel:DWORD
	s_mov_b64 s[22:23], -1
	s_and_b64 vcc, exec, s[28:29]
                                        ; implicit-def: $vgpr3
	s_cbranch_vccz .LBB6_756
; %bb.743:                              ;   in Loop: Header=BB6_126 Depth=2
	v_mov_b32_e32 v3, 0
	v_mov_b32_e32 v2, 0
	s_and_saveexec_b64 s[22:23], s[20:21]
	s_cbranch_execz .LBB6_749
; %bb.744:                              ;   in Loop: Header=BB6_126 Depth=2
	v_cmp_ne_u16_sdwa s[94:95], v36, s53 src0_sel:BYTE_0 src1_sel:DWORD
	v_bfrev_b32_e32 v2, 1
	s_and_saveexec_b64 s[92:93], s[94:95]
	s_cbranch_execz .LBB6_748
; %bb.745:                              ;   in Loop: Header=BB6_126 Depth=2
	v_bfe_u32 v4, v51, 16, 7
	v_cmp_ne_u32_e32 vcc, s54, v4
	v_mov_b32_e32 v2, 0x7f800001
	s_and_saveexec_b64 s[94:95], vcc
	s_cbranch_execz .LBB6_747
; %bb.746:                              ;   in Loop: Header=BB6_126 Depth=2
	v_and_b32_e32 v2, 7, v36
	v_lshrrev_b32_e32 v8, 3, v4
	v_cmp_gt_u32_e32 vcc, 8, v4
	v_ffbh_u32_e32 v4, v2
	v_min_u32_e32 v4, 32, v4
	v_subrev_u32_e32 v6, 28, v4
	v_lshlrev_b64 v[6:7], v6, v[36:37]
	v_sub_u32_e32 v4, 29, v4
	v_and_b32_e32 v6, 7, v6
	v_cndmask_b32_e32 v4, v8, v4, vcc
	v_cndmask_b32_e32 v2, v2, v6, vcc
	v_lshlrev_b32_e32 v6, 24, v36
	v_lshlrev_b32_e32 v2, 20, v2
	v_and_b32_e32 v6, 0x80000000, v6
	v_lshl_add_u32 v4, v4, 23, v62
	v_or3_b32 v2, v6, v4, v2
.LBB6_747:                              ;   in Loop: Header=BB6_126 Depth=2
	s_or_b64 exec, exec, s[94:95]
.LBB6_748:                              ;   in Loop: Header=BB6_126 Depth=2
	s_or_b64 exec, exec, s[92:93]
.LBB6_749:                              ;   in Loop: Header=BB6_126 Depth=2
	s_or_b64 exec, exec, s[22:23]
	v_cmp_ne_u16_sdwa s[92:93], v31, v61 src0_sel:BYTE_0 src1_sel:DWORD
	s_and_saveexec_b64 s[22:23], s[92:93]
	s_cbranch_execz .LBB6_755
; %bb.750:                              ;   in Loop: Header=BB6_126 Depth=2
	v_cmp_ne_u16_sdwa s[94:95], v31, s53 src0_sel:BYTE_0 src1_sel:DWORD
	v_bfrev_b32_e32 v3, 1
	s_and_saveexec_b64 s[92:93], s[94:95]
	s_cbranch_execz .LBB6_754
; %bb.751:                              ;   in Loop: Header=BB6_126 Depth=2
	v_bfe_u32 v4, v39, 16, 7
	v_cmp_ne_u32_e32 vcc, s54, v4
	v_mov_b32_e32 v3, 0x7f800001
	s_and_saveexec_b64 s[94:95], vcc
	s_cbranch_execz .LBB6_753
; %bb.752:                              ;   in Loop: Header=BB6_126 Depth=2
	v_and_b32_e32 v6, 7, v31
	v_ffbh_u32_e32 v3, v6
	v_min_u32_e32 v8, 32, v3
	v_subrev_u32_e32 v3, 28, v8
	v_lshrrev_b32_e32 v7, 3, v4
	v_cmp_gt_u32_e32 vcc, 8, v4
	v_lshlrev_b64 v[3:4], v3, v[31:32]
	v_sub_u32_e32 v4, 29, v8
	v_and_b32_e32 v3, 7, v3
	v_cndmask_b32_e32 v4, v7, v4, vcc
	v_cndmask_b32_e32 v3, v6, v3, vcc
	v_lshlrev_b32_e32 v6, 24, v31
	v_lshlrev_b32_e32 v3, 20, v3
	v_and_b32_e32 v6, 0x80000000, v6
	v_lshl_add_u32 v4, v4, 23, v62
	v_or3_b32 v3, v6, v4, v3
.LBB6_753:                              ;   in Loop: Header=BB6_126 Depth=2
	s_or_b64 exec, exec, s[94:95]
.LBB6_754:                              ;   in Loop: Header=BB6_126 Depth=2
	s_or_b64 exec, exec, s[92:93]
.LBB6_755:                              ;   in Loop: Header=BB6_126 Depth=2
	s_or_b64 exec, exec, s[22:23]
	v_max_f32_e32 v3, v3, v3
	v_max_f32_e32 v2, v2, v2
	;; [unrolled: 1-line block ×3, first 2 shown]
	s_mov_b64 s[22:23], 0
.LBB6_756:                              ;   in Loop: Header=BB6_126 Depth=2
	s_and_b64 vcc, exec, s[22:23]
	s_cbranch_vccz .LBB6_770
; %bb.757:                              ;   in Loop: Header=BB6_126 Depth=2
	v_mov_b32_e32 v3, 0
	v_mov_b32_e32 v2, 0
	s_and_saveexec_b64 s[22:23], s[20:21]
	s_cbranch_execz .LBB6_763
; %bb.758:                              ;   in Loop: Header=BB6_126 Depth=2
	v_cmp_ne_u16_sdwa s[92:93], v36, s53 src0_sel:BYTE_0 src1_sel:DWORD
	v_bfrev_b32_e32 v2, 1
	s_and_saveexec_b64 s[20:21], s[92:93]
	s_cbranch_execz .LBB6_762
; %bb.759:                              ;   in Loop: Header=BB6_126 Depth=2
	v_bfe_u32 v4, v51, 16, 7
	v_cmp_ne_u32_e32 vcc, s54, v4
	v_mov_b32_e32 v2, 0x7f800001
	s_and_saveexec_b64 s[92:93], vcc
	s_cbranch_execz .LBB6_761
; %bb.760:                              ;   in Loop: Header=BB6_126 Depth=2
	v_and_b32_e32 v2, 7, v36
	v_lshrrev_b32_e32 v8, 3, v4
	v_cmp_gt_u32_e32 vcc, 8, v4
	v_ffbh_u32_e32 v4, v2
	v_min_u32_e32 v4, 32, v4
	v_subrev_u32_e32 v6, 28, v4
	v_lshlrev_b64 v[6:7], v6, v[36:37]
	v_sub_u32_e32 v4, 29, v4
	v_and_b32_e32 v6, 7, v6
	v_cndmask_b32_e32 v4, v8, v4, vcc
	v_cndmask_b32_e32 v2, v2, v6, vcc
	v_lshlrev_b32_e32 v6, 24, v36
	v_lshlrev_b32_e32 v2, 20, v2
	v_and_b32_e32 v6, 0x80000000, v6
	v_lshl_add_u32 v4, v4, 23, v62
	v_or3_b32 v2, v6, v4, v2
.LBB6_761:                              ;   in Loop: Header=BB6_126 Depth=2
	s_or_b64 exec, exec, s[92:93]
.LBB6_762:                              ;   in Loop: Header=BB6_126 Depth=2
	s_or_b64 exec, exec, s[20:21]
.LBB6_763:                              ;   in Loop: Header=BB6_126 Depth=2
	s_or_b64 exec, exec, s[22:23]
	v_cmp_ne_u16_sdwa s[22:23], v31, v61 src0_sel:BYTE_0 src1_sel:DWORD
	s_and_saveexec_b64 s[20:21], s[22:23]
	s_cbranch_execz .LBB6_769
; %bb.764:                              ;   in Loop: Header=BB6_126 Depth=2
	v_cmp_ne_u16_sdwa s[92:93], v31, s53 src0_sel:BYTE_0 src1_sel:DWORD
	v_bfrev_b32_e32 v3, 1
	s_and_saveexec_b64 s[22:23], s[92:93]
	s_cbranch_execz .LBB6_768
; %bb.765:                              ;   in Loop: Header=BB6_126 Depth=2
	v_bfe_u32 v4, v39, 16, 7
	v_cmp_ne_u32_e32 vcc, s54, v4
	v_mov_b32_e32 v3, 0x7f800001
	s_and_saveexec_b64 s[92:93], vcc
	s_cbranch_execz .LBB6_767
; %bb.766:                              ;   in Loop: Header=BB6_126 Depth=2
	v_and_b32_e32 v6, 7, v31
	v_ffbh_u32_e32 v3, v6
	v_min_u32_e32 v8, 32, v3
	v_subrev_u32_e32 v3, 28, v8
	v_lshrrev_b32_e32 v7, 3, v4
	v_cmp_gt_u32_e32 vcc, 8, v4
	v_lshlrev_b64 v[3:4], v3, v[31:32]
	v_sub_u32_e32 v4, 29, v8
	v_and_b32_e32 v3, 7, v3
	v_cndmask_b32_e32 v4, v7, v4, vcc
	v_cndmask_b32_e32 v3, v6, v3, vcc
	v_lshlrev_b32_e32 v6, 24, v31
	v_lshlrev_b32_e32 v3, 20, v3
	v_and_b32_e32 v6, 0x80000000, v6
	v_lshl_add_u32 v4, v4, 23, v62
	v_or3_b32 v3, v6, v4, v3
.LBB6_767:                              ;   in Loop: Header=BB6_126 Depth=2
	s_or_b64 exec, exec, s[92:93]
.LBB6_768:                              ;   in Loop: Header=BB6_126 Depth=2
	s_or_b64 exec, exec, s[22:23]
.LBB6_769:                              ;   in Loop: Header=BB6_126 Depth=2
	s_or_b64 exec, exec, s[20:21]
	v_max_f32_e32 v3, v3, v3
	v_max_f32_e32 v2, v2, v2
	v_min_f32_e32 v3, v2, v3
.LBB6_770:                              ;   in Loop: Header=BB6_126 Depth=2
	v_and_b32_e32 v60, 0x7f800000, v3
	v_cmp_ne_u64_e32 vcc, s[72:73], v[60:61]
                                        ; implicit-def: $vgpr9
	s_and_saveexec_b64 s[20:21], vcc
	s_xor_b64 s[22:23], exec, s[20:21]
	s_cbranch_execz .LBB6_784
; %bb.771:                              ;   in Loop: Header=BB6_126 Depth=2
	v_and_b32_e32 v60, 0x7fffffff, v3
	v_cmp_gt_u64_e32 vcc, s[74:75], v[60:61]
	v_and_b32_sdwa v2, v3, s53 dst_sel:DWORD dst_unused:UNUSED_PAD src0_sel:BYTE_3 src1_sel:DWORD
                                        ; implicit-def: $vgpr9
	s_and_saveexec_b64 s[20:21], vcc
	s_xor_b64 s[92:93], exec, s[20:21]
	s_cbranch_execz .LBB6_781
; %bb.772:                              ;   in Loop: Header=BB6_126 Depth=2
	v_mov_b32_e32 v9, 0
	v_cmp_ne_u32_e32 vcc, 0, v3
	s_and_saveexec_b64 s[94:95], vcc
	s_cbranch_execz .LBB6_780
; %bb.773:                              ;   in Loop: Header=BB6_126 Depth=2
	v_and_b32_e32 v6, 0x7fffff, v3
	v_bfe_u32 v3, v3, 23, 8
	v_cmp_gt_u32_e64 s[20:21], s64, v3
	v_sub_u32_e32 v4, 0x79, v3
	v_cmp_eq_u32_e32 vcc, 0, v3
	v_cndmask_b32_e64 v4, 0, v4, s[20:21]
	v_mov_b32_e32 v8, 0x78
	v_or_b32_e32 v7, 0x800000, v6
	v_cndmask_b32_e32 v4, v4, v8, vcc
	v_cndmask_b32_e32 v60, v7, v6, vcc
	v_add_u32_e32 v6, 20, v4
	v_lshlrev_b64 v[6:7], v6, -1
	v_add_u32_e32 v8, 19, v4
	v_lshlrev_b64 v[8:9], v8, 1
	v_lshrrev_b64 v[30:31], v4, v[60:61]
	v_bfi_b32 v7, v7, 0, 0
	v_bfi_b32 v6, v6, 0, v60
	v_cmp_eq_u64_e64 s[20:21], v[6:7], v[8:9]
	v_mov_b32_e32 v37, v31
	v_mov_b32_e32 v36, v30
	s_and_saveexec_b64 s[30:31], s[20:21]
; %bb.774:                              ;   in Loop: Header=BB6_126 Depth=2
	v_bfe_u32 v6, v30, 20, 1
	v_add_co_u32_e64 v6, s[20:21], v30, v6
	v_add_co_u32_e64 v36, s[20:21], -1, v6
; %bb.775:                              ;   in Loop: Header=BB6_126 Depth=2
	s_or_b64 exec, exec, s[30:31]
	v_add_u32_e32 v3, 0xffffff81, v3
	v_cndmask_b32_e32 v3, v3, v41, vcc
	v_lshrrev_b32_e32 v6, 23, v30
	v_add3_u32 v6, v4, v3, v6
	v_add_u32_e32 v4, 6, v6
	v_and_b32_e32 v3, 0xfffff, v36
	v_add_u32_e32 v60, v3, v30
	v_cmp_ne_u32_e32 vcc, 0, v4
                                        ; implicit-def: $vgpr30_vgpr31
                                        ; implicit-def: $vgpr3
	s_and_saveexec_b64 s[20:21], vcc
	s_xor_b64 s[20:21], exec, s[20:21]
; %bb.776:                              ;   in Loop: Header=BB6_126 Depth=2
	v_cmp_lt_u64_e32 vcc, s[76:77], v[60:61]
	v_add_u32_e32 v3, 7, v6
	v_cndmask_b32_e32 v3, v4, v3, vcc
	v_cndmask_b32_e64 v4, 0, 1, vcc
	v_lshrrev_b64 v[30:31], v4, v[60:61]
; %bb.777:                              ;   in Loop: Header=BB6_126 Depth=2
	s_andn2_saveexec_b64 s[20:21], s[20:21]
; %bb.778:                              ;   in Loop: Header=BB6_126 Depth=2
	v_mov_b32_e32 v30, v60
	v_bfe_u32 v3, v60, 23, 1
	v_mov_b32_e32 v31, v61
; %bb.779:                              ;   in Loop: Header=BB6_126 Depth=2
	s_or_b64 exec, exec, s[20:21]
	v_lshrrev_b64 v[6:7], 20, v[30:31]
	v_cmp_gt_i32_e32 vcc, 16, v3
	v_cndmask_b32_e32 v7, 0, v7, vcc
	v_cndmask_b32_e32 v6, 7, v6, vcc
	v_cmp_eq_u32_e32 vcc, 0, v3
	v_min_i32_e32 v3, 15, v3
	v_cmp_eq_u64_e64 s[20:21], 0, v[6:7]
	v_lshlrev_b32_e32 v3, 3, v3
	v_and_b32_e32 v3, 0xf8, v3
	v_and_or_b32 v3, v6, 7, v3
	s_and_b64 s[20:21], vcc, s[20:21]
	v_cndmask_b32_e64 v3, v3, 0, s[20:21]
	v_or_b32_e32 v9, v3, v2
.LBB6_780:                              ;   in Loop: Header=BB6_126 Depth=2
	s_or_b64 exec, exec, s[94:95]
                                        ; implicit-def: $vgpr2
.LBB6_781:                              ;   in Loop: Header=BB6_126 Depth=2
	s_andn2_saveexec_b64 s[20:21], s[92:93]
; %bb.782:                              ;   in Loop: Header=BB6_126 Depth=2
	v_or_b32_e32 v9, 0x7e, v2
; %bb.783:                              ;   in Loop: Header=BB6_126 Depth=2
	s_or_b64 exec, exec, s[20:21]
                                        ; implicit-def: $vgpr3
.LBB6_784:                              ;   in Loop: Header=BB6_126 Depth=2
	s_andn2_saveexec_b64 s[20:21], s[22:23]
; %bb.785:                              ;   in Loop: Header=BB6_126 Depth=2
	v_or_b32_sdwa v9, v3, s54 dst_sel:DWORD dst_unused:UNUSED_PAD src0_sel:BYTE_3 src1_sel:DWORD
; %bb.786:                              ;   in Loop: Header=BB6_126 Depth=2
	s_or_b64 exec, exec, s[20:21]
	v_cmp_lt_u64_e64 s[20:21], s[78:79], v[50:51]
	v_lshrrev_b32_e32 v36, 24, v51
	v_lshrrev_b32_e32 v31, 24, v39
	s_mov_b64 s[22:23], -1
	s_and_b64 vcc, exec, s[28:29]
                                        ; implicit-def: $vgpr3
	s_cbranch_vccz .LBB6_800
; %bb.787:                              ;   in Loop: Header=BB6_126 Depth=2
	v_mov_b32_e32 v3, 0
	v_mov_b32_e32 v2, 0
	s_and_saveexec_b64 s[22:23], s[20:21]
	s_cbranch_execz .LBB6_793
; %bb.788:                              ;   in Loop: Header=BB6_126 Depth=2
	v_cmp_ne_u32_e32 vcc, s53, v36
	v_bfrev_b32_e32 v2, 1
	s_and_saveexec_b64 s[92:93], vcc
	s_cbranch_execz .LBB6_792
; %bb.789:                              ;   in Loop: Header=BB6_126 Depth=2
	v_bfe_u32 v4, v51, 24, 7
	v_cmp_ne_u32_e32 vcc, s54, v4
	v_mov_b32_e32 v2, 0x7f800001
	s_and_saveexec_b64 s[94:95], vcc
	s_cbranch_execz .LBB6_791
; %bb.790:                              ;   in Loop: Header=BB6_126 Depth=2
	v_and_b32_e32 v2, 7, v36
	v_lshrrev_b32_e32 v8, 3, v4
	v_cmp_gt_u32_e32 vcc, 8, v4
	v_ffbh_u32_e32 v4, v2
	v_min_u32_e32 v4, 32, v4
	v_subrev_u32_e32 v6, 28, v4
	v_lshlrev_b64 v[6:7], v6, v[36:37]
	v_sub_u32_e32 v4, 29, v4
	v_and_b32_e32 v6, 7, v6
	v_cndmask_b32_e32 v4, v8, v4, vcc
	v_cndmask_b32_e32 v2, v2, v6, vcc
	v_lshlrev_b32_e32 v6, 24, v36
	v_lshlrev_b32_e32 v2, 20, v2
	v_and_b32_e32 v6, 0x80000000, v6
	v_lshl_add_u32 v4, v4, 23, v62
	v_or3_b32 v2, v6, v4, v2
.LBB6_791:                              ;   in Loop: Header=BB6_126 Depth=2
	s_or_b64 exec, exec, s[94:95]
.LBB6_792:                              ;   in Loop: Header=BB6_126 Depth=2
	s_or_b64 exec, exec, s[92:93]
.LBB6_793:                              ;   in Loop: Header=BB6_126 Depth=2
	s_or_b64 exec, exec, s[22:23]
	v_cmp_lt_u64_e32 vcc, s[78:79], v[38:39]
	s_and_saveexec_b64 s[22:23], vcc
	s_cbranch_execz .LBB6_799
; %bb.794:                              ;   in Loop: Header=BB6_126 Depth=2
	v_cmp_ne_u32_e32 vcc, s53, v31
	v_bfrev_b32_e32 v3, 1
	s_and_saveexec_b64 s[92:93], vcc
	s_cbranch_execz .LBB6_798
; %bb.795:                              ;   in Loop: Header=BB6_126 Depth=2
	v_bfe_u32 v4, v39, 24, 7
	v_cmp_ne_u32_e32 vcc, s54, v4
	v_mov_b32_e32 v3, 0x7f800001
	s_and_saveexec_b64 s[94:95], vcc
	s_cbranch_execz .LBB6_797
; %bb.796:                              ;   in Loop: Header=BB6_126 Depth=2
	v_and_b32_e32 v6, 7, v31
	v_ffbh_u32_e32 v3, v6
	v_min_u32_e32 v8, 32, v3
	v_subrev_u32_e32 v3, 28, v8
	v_lshrrev_b32_e32 v7, 3, v4
	v_cmp_gt_u32_e32 vcc, 8, v4
	v_lshlrev_b64 v[3:4], v3, v[31:32]
	v_sub_u32_e32 v4, 29, v8
	v_and_b32_e32 v3, 7, v3
	v_cndmask_b32_e32 v4, v7, v4, vcc
	v_cndmask_b32_e32 v3, v6, v3, vcc
	v_lshlrev_b32_e32 v6, 24, v31
	v_lshlrev_b32_e32 v3, 20, v3
	v_and_b32_e32 v6, 0x80000000, v6
	v_lshl_add_u32 v4, v4, 23, v62
	v_or3_b32 v3, v6, v4, v3
.LBB6_797:                              ;   in Loop: Header=BB6_126 Depth=2
	s_or_b64 exec, exec, s[94:95]
.LBB6_798:                              ;   in Loop: Header=BB6_126 Depth=2
	s_or_b64 exec, exec, s[92:93]
.LBB6_799:                              ;   in Loop: Header=BB6_126 Depth=2
	s_or_b64 exec, exec, s[22:23]
	v_max_f32_e32 v3, v3, v3
	v_max_f32_e32 v2, v2, v2
	;; [unrolled: 1-line block ×3, first 2 shown]
	s_mov_b64 s[22:23], 0
.LBB6_800:                              ;   in Loop: Header=BB6_126 Depth=2
	s_and_b64 vcc, exec, s[22:23]
	s_cbranch_vccz .LBB6_814
; %bb.801:                              ;   in Loop: Header=BB6_126 Depth=2
	v_mov_b32_e32 v3, 0
	v_mov_b32_e32 v2, 0
	s_and_saveexec_b64 s[22:23], s[20:21]
	s_cbranch_execz .LBB6_807
; %bb.802:                              ;   in Loop: Header=BB6_126 Depth=2
	v_cmp_ne_u32_e32 vcc, s53, v36
	v_bfrev_b32_e32 v2, 1
	s_and_saveexec_b64 s[20:21], vcc
	s_cbranch_execz .LBB6_806
; %bb.803:                              ;   in Loop: Header=BB6_126 Depth=2
	v_bfe_u32 v4, v51, 24, 7
	v_cmp_ne_u32_e32 vcc, s54, v4
	v_mov_b32_e32 v2, 0x7f800001
	s_and_saveexec_b64 s[92:93], vcc
	s_cbranch_execz .LBB6_805
; %bb.804:                              ;   in Loop: Header=BB6_126 Depth=2
	v_and_b32_e32 v2, 7, v36
	v_lshrrev_b32_e32 v8, 3, v4
	v_cmp_gt_u32_e32 vcc, 8, v4
	v_ffbh_u32_e32 v4, v2
	v_min_u32_e32 v4, 32, v4
	v_subrev_u32_e32 v6, 28, v4
	v_lshlrev_b64 v[6:7], v6, v[36:37]
	v_sub_u32_e32 v4, 29, v4
	v_and_b32_e32 v6, 7, v6
	v_cndmask_b32_e32 v4, v8, v4, vcc
	v_cndmask_b32_e32 v2, v2, v6, vcc
	v_lshlrev_b32_e32 v6, 24, v36
	v_lshlrev_b32_e32 v2, 20, v2
	v_and_b32_e32 v6, 0x80000000, v6
	v_lshl_add_u32 v4, v4, 23, v62
	v_or3_b32 v2, v6, v4, v2
.LBB6_805:                              ;   in Loop: Header=BB6_126 Depth=2
	s_or_b64 exec, exec, s[92:93]
.LBB6_806:                              ;   in Loop: Header=BB6_126 Depth=2
	s_or_b64 exec, exec, s[20:21]
.LBB6_807:                              ;   in Loop: Header=BB6_126 Depth=2
	s_or_b64 exec, exec, s[22:23]
	v_cmp_lt_u64_e32 vcc, s[78:79], v[38:39]
	s_and_saveexec_b64 s[20:21], vcc
	s_cbranch_execz .LBB6_813
; %bb.808:                              ;   in Loop: Header=BB6_126 Depth=2
	v_cmp_ne_u32_e32 vcc, s53, v31
	v_bfrev_b32_e32 v3, 1
	s_and_saveexec_b64 s[22:23], vcc
	s_cbranch_execz .LBB6_812
; %bb.809:                              ;   in Loop: Header=BB6_126 Depth=2
	v_bfe_u32 v4, v39, 24, 7
	v_cmp_ne_u32_e32 vcc, s54, v4
	v_mov_b32_e32 v3, 0x7f800001
	s_and_saveexec_b64 s[92:93], vcc
	s_cbranch_execz .LBB6_811
; %bb.810:                              ;   in Loop: Header=BB6_126 Depth=2
	v_and_b32_e32 v6, 7, v31
	v_ffbh_u32_e32 v3, v6
	v_min_u32_e32 v8, 32, v3
	v_subrev_u32_e32 v3, 28, v8
	v_lshrrev_b32_e32 v7, 3, v4
	v_cmp_gt_u32_e32 vcc, 8, v4
	v_lshlrev_b64 v[3:4], v3, v[31:32]
	v_sub_u32_e32 v4, 29, v8
	v_and_b32_e32 v3, 7, v3
	v_cndmask_b32_e32 v4, v7, v4, vcc
	v_cndmask_b32_e32 v3, v6, v3, vcc
	v_lshlrev_b32_e32 v6, 24, v31
	v_lshlrev_b32_e32 v3, 20, v3
	v_and_b32_e32 v6, 0x80000000, v6
	v_lshl_add_u32 v4, v4, 23, v62
	v_or3_b32 v3, v6, v4, v3
.LBB6_811:                              ;   in Loop: Header=BB6_126 Depth=2
	s_or_b64 exec, exec, s[92:93]
.LBB6_812:                              ;   in Loop: Header=BB6_126 Depth=2
	s_or_b64 exec, exec, s[22:23]
.LBB6_813:                              ;   in Loop: Header=BB6_126 Depth=2
	s_or_b64 exec, exec, s[20:21]
	v_max_f32_e32 v3, v3, v3
	v_max_f32_e32 v2, v2, v2
	v_min_f32_e32 v3, v2, v3
.LBB6_814:                              ;   in Loop: Header=BB6_126 Depth=2
	v_and_b32_e32 v60, 0x7f800000, v3
	v_cmp_ne_u64_e32 vcc, s[72:73], v[60:61]
	buffer_store_dword v9, off, s[0:3], s33 offset:128 ; 4-byte Folded Spill
                                        ; implicit-def: $vgpr39
	s_and_saveexec_b64 s[20:21], vcc
	s_xor_b64 s[22:23], exec, s[20:21]
	s_cbranch_execz .LBB6_828
; %bb.815:                              ;   in Loop: Header=BB6_126 Depth=2
	v_and_b32_e32 v60, 0x7fffffff, v3
	v_cmp_gt_u64_e32 vcc, s[74:75], v[60:61]
	v_and_b32_sdwa v2, v3, s53 dst_sel:DWORD dst_unused:UNUSED_PAD src0_sel:BYTE_3 src1_sel:DWORD
                                        ; implicit-def: $vgpr39
	s_and_saveexec_b64 s[20:21], vcc
	s_xor_b64 s[92:93], exec, s[20:21]
	s_cbranch_execz .LBB6_825
; %bb.816:                              ;   in Loop: Header=BB6_126 Depth=2
	v_mov_b32_e32 v39, 0
	v_cmp_ne_u32_e32 vcc, 0, v3
	s_and_saveexec_b64 s[94:95], vcc
	s_cbranch_execz .LBB6_824
; %bb.817:                              ;   in Loop: Header=BB6_126 Depth=2
	v_and_b32_e32 v6, 0x7fffff, v3
	v_bfe_u32 v3, v3, 23, 8
	v_cmp_gt_u32_e64 s[20:21], s64, v3
	v_sub_u32_e32 v4, 0x79, v3
	v_cmp_eq_u32_e32 vcc, 0, v3
	v_cndmask_b32_e64 v4, 0, v4, s[20:21]
	v_mov_b32_e32 v8, 0x78
	v_or_b32_e32 v7, 0x800000, v6
	v_cndmask_b32_e32 v4, v4, v8, vcc
	v_cndmask_b32_e32 v60, v7, v6, vcc
	v_add_u32_e32 v6, 20, v4
	v_lshlrev_b64 v[6:7], v6, -1
	v_add_u32_e32 v8, 19, v4
	v_lshlrev_b64 v[8:9], v8, 1
	v_lshrrev_b64 v[30:31], v4, v[60:61]
	v_bfi_b32 v7, v7, 0, 0
	v_bfi_b32 v6, v6, 0, v60
	v_cmp_eq_u64_e64 s[20:21], v[6:7], v[8:9]
	v_mov_b32_e32 v37, v31
	v_mov_b32_e32 v36, v30
	s_and_saveexec_b64 s[30:31], s[20:21]
; %bb.818:                              ;   in Loop: Header=BB6_126 Depth=2
	v_bfe_u32 v6, v30, 20, 1
	v_add_co_u32_e64 v6, s[20:21], v30, v6
	v_add_co_u32_e64 v36, s[20:21], -1, v6
; %bb.819:                              ;   in Loop: Header=BB6_126 Depth=2
	s_or_b64 exec, exec, s[30:31]
	v_add_u32_e32 v3, 0xffffff81, v3
	v_cndmask_b32_e32 v3, v3, v41, vcc
	v_lshrrev_b32_e32 v6, 23, v30
	v_add3_u32 v6, v4, v3, v6
	v_add_u32_e32 v4, 6, v6
	v_and_b32_e32 v3, 0xfffff, v36
	v_add_u32_e32 v60, v3, v30
	v_cmp_ne_u32_e32 vcc, 0, v4
                                        ; implicit-def: $vgpr30_vgpr31
                                        ; implicit-def: $vgpr3
	s_and_saveexec_b64 s[20:21], vcc
	s_xor_b64 s[20:21], exec, s[20:21]
; %bb.820:                              ;   in Loop: Header=BB6_126 Depth=2
	v_cmp_lt_u64_e32 vcc, s[76:77], v[60:61]
	v_add_u32_e32 v3, 7, v6
	v_cndmask_b32_e32 v3, v4, v3, vcc
	v_cndmask_b32_e64 v4, 0, 1, vcc
	v_lshrrev_b64 v[30:31], v4, v[60:61]
; %bb.821:                              ;   in Loop: Header=BB6_126 Depth=2
	s_andn2_saveexec_b64 s[20:21], s[20:21]
; %bb.822:                              ;   in Loop: Header=BB6_126 Depth=2
	v_mov_b32_e32 v30, v60
	v_bfe_u32 v3, v60, 23, 1
	v_mov_b32_e32 v31, v61
; %bb.823:                              ;   in Loop: Header=BB6_126 Depth=2
	s_or_b64 exec, exec, s[20:21]
	v_lshrrev_b64 v[6:7], 20, v[30:31]
	v_cmp_gt_i32_e32 vcc, 16, v3
	v_cndmask_b32_e32 v7, 0, v7, vcc
	v_cndmask_b32_e32 v6, 7, v6, vcc
	v_cmp_eq_u32_e32 vcc, 0, v3
	v_min_i32_e32 v3, 15, v3
	v_cmp_eq_u64_e64 s[20:21], 0, v[6:7]
	v_lshlrev_b32_e32 v3, 3, v3
	v_and_b32_e32 v3, 0xf8, v3
	v_and_or_b32 v3, v6, 7, v3
	s_and_b64 s[20:21], vcc, s[20:21]
	v_cndmask_b32_e64 v3, v3, 0, s[20:21]
	v_or_b32_e32 v39, v3, v2
.LBB6_824:                              ;   in Loop: Header=BB6_126 Depth=2
	s_or_b64 exec, exec, s[94:95]
                                        ; implicit-def: $vgpr2
.LBB6_825:                              ;   in Loop: Header=BB6_126 Depth=2
	s_andn2_saveexec_b64 s[20:21], s[92:93]
; %bb.826:                              ;   in Loop: Header=BB6_126 Depth=2
	v_or_b32_e32 v39, 0x7e, v2
; %bb.827:                              ;   in Loop: Header=BB6_126 Depth=2
	s_or_b64 exec, exec, s[20:21]
                                        ; implicit-def: $vgpr3
.LBB6_828:                              ;   in Loop: Header=BB6_126 Depth=2
	s_andn2_saveexec_b64 s[20:21], s[22:23]
; %bb.829:                              ;   in Loop: Header=BB6_126 Depth=2
	v_or_b32_sdwa v39, v3, s54 dst_sel:DWORD dst_unused:UNUSED_PAD src0_sel:BYTE_3 src1_sel:DWORD
; %bb.830:                              ;   in Loop: Header=BB6_126 Depth=2
	s_or_b64 exec, exec, s[20:21]
	v_cndmask_b32_e64 v2, 0, 1, s[28:29]
	v_cmp_ne_u16_sdwa s[22:23], v32, v61 src0_sel:BYTE_0 src1_sel:DWORD
	v_cmp_ne_u32_e64 s[20:21], 1, v2
	s_andn2_b64 vcc, exec, s[28:29]
	s_mov_b64 s[92:93], -1
                                        ; implicit-def: $vgpr3
	s_cbranch_vccnz .LBB6_844
; %bb.831:                              ;   in Loop: Header=BB6_126 Depth=2
	v_mov_b32_e32 v3, 0
	v_mov_b32_e32 v2, 0
	s_and_saveexec_b64 s[92:93], s[22:23]
	s_cbranch_execz .LBB6_837
; %bb.832:                              ;   in Loop: Header=BB6_126 Depth=2
	v_cmp_ne_u16_sdwa vcc, v32, s53 src0_sel:BYTE_0 src1_sel:DWORD
	v_bfrev_b32_e32 v2, 1
	s_and_saveexec_b64 s[94:95], vcc
	s_cbranch_execz .LBB6_836
; %bb.833:                              ;   in Loop: Header=BB6_126 Depth=2
	v_and_b32_e32 v4, 0x7f, v32
	v_cmp_ne_u32_e32 vcc, s54, v4
	v_mov_b32_e32 v2, 0x7f800001
	s_and_saveexec_b64 s[30:31], vcc
	s_cbranch_execz .LBB6_835
; %bb.834:                              ;   in Loop: Header=BB6_126 Depth=2
	v_and_b32_e32 v2, 7, v32
	v_ffbh_u32_e32 v2, v2
	v_min_u32_e32 v2, 32, v2
	v_lshrrev_b32_e32 v6, 3, v4
	v_cmp_gt_u32_e32 vcc, 8, v4
	v_subrev_u32_e32 v4, 28, v2
	v_sub_u32_e32 v2, 29, v2
	v_cndmask_b32_e32 v4, 0, v4, vcc
	v_cndmask_b32_e32 v2, v6, v2, vcc
	v_lshlrev_b64 v[6:7], v4, v[32:33]
	v_lshl_add_u32 v2, v2, 23, v62
	v_lshlrev_b32_e32 v4, 20, v6
	v_lshlrev_b32_e32 v6, 24, v32
	v_and_b32_e32 v4, 0x700000, v4
	v_and_b32_e32 v6, 0x80000000, v6
	v_or3_b32 v2, v6, v2, v4
.LBB6_835:                              ;   in Loop: Header=BB6_126 Depth=2
	s_or_b64 exec, exec, s[30:31]
.LBB6_836:                              ;   in Loop: Header=BB6_126 Depth=2
	s_or_b64 exec, exec, s[94:95]
.LBB6_837:                              ;   in Loop: Header=BB6_126 Depth=2
	s_or_b64 exec, exec, s[92:93]
	s_waitcnt vmcnt(5)
	v_cmp_ne_u16_sdwa s[94:95], v26, v61 src0_sel:BYTE_0 src1_sel:DWORD
	s_and_saveexec_b64 s[92:93], s[94:95]
	s_cbranch_execz .LBB6_843
; %bb.838:                              ;   in Loop: Header=BB6_126 Depth=2
	v_cmp_ne_u16_sdwa vcc, v26, s53 src0_sel:BYTE_0 src1_sel:DWORD
	v_bfrev_b32_e32 v3, 1
	s_and_saveexec_b64 s[94:95], vcc
	s_cbranch_execz .LBB6_842
; %bb.839:                              ;   in Loop: Header=BB6_126 Depth=2
	v_and_b32_e32 v4, 0x7f, v26
	v_cmp_ne_u32_e32 vcc, s54, v4
	v_mov_b32_e32 v3, 0x7f800001
	s_and_saveexec_b64 s[30:31], vcc
	s_cbranch_execz .LBB6_841
; %bb.840:                              ;   in Loop: Header=BB6_126 Depth=2
	v_and_b32_e32 v3, 7, v26
	v_ffbh_u32_e32 v3, v3
	v_min_u32_e32 v3, 32, v3
	v_lshrrev_b32_e32 v6, 3, v4
	v_cmp_gt_u32_e32 vcc, 8, v4
	v_subrev_u32_e32 v4, 28, v3
	v_sub_u32_e32 v3, 29, v3
	v_cndmask_b32_e32 v6, v6, v3, vcc
	v_cndmask_b32_e32 v3, 0, v4, vcc
	v_lshlrev_b64 v[3:4], v3, v[26:27]
	v_lshlrev_b32_e32 v4, 24, v26
	v_lshlrev_b32_e32 v3, 20, v3
	v_and_b32_e32 v3, 0x700000, v3
	v_and_b32_e32 v4, 0x80000000, v4
	v_lshl_add_u32 v6, v6, 23, v62
	v_or3_b32 v3, v4, v6, v3
.LBB6_841:                              ;   in Loop: Header=BB6_126 Depth=2
	s_or_b64 exec, exec, s[30:31]
.LBB6_842:                              ;   in Loop: Header=BB6_126 Depth=2
	s_or_b64 exec, exec, s[94:95]
.LBB6_843:                              ;   in Loop: Header=BB6_126 Depth=2
	s_or_b64 exec, exec, s[92:93]
	v_max_f32_e32 v3, v3, v3
	v_max_f32_e32 v2, v2, v2
	;; [unrolled: 1-line block ×3, first 2 shown]
	s_mov_b64 s[92:93], 0
.LBB6_844:                              ;   in Loop: Header=BB6_126 Depth=2
	s_and_b64 vcc, exec, s[92:93]
	s_cbranch_vccz .LBB6_858
; %bb.845:                              ;   in Loop: Header=BB6_126 Depth=2
	v_mov_b32_e32 v3, 0
	v_mov_b32_e32 v2, 0
	s_and_saveexec_b64 s[92:93], s[22:23]
	s_cbranch_execz .LBB6_851
; %bb.846:                              ;   in Loop: Header=BB6_126 Depth=2
	v_cmp_ne_u16_sdwa s[94:95], v32, s53 src0_sel:BYTE_0 src1_sel:DWORD
	v_bfrev_b32_e32 v2, 1
	s_and_saveexec_b64 s[22:23], s[94:95]
	s_cbranch_execz .LBB6_850
; %bb.847:                              ;   in Loop: Header=BB6_126 Depth=2
	v_and_b32_e32 v4, 0x7f, v32
	v_cmp_ne_u32_e32 vcc, s54, v4
	v_mov_b32_e32 v2, 0x7f800001
	s_and_saveexec_b64 s[94:95], vcc
	s_cbranch_execz .LBB6_849
; %bb.848:                              ;   in Loop: Header=BB6_126 Depth=2
	v_and_b32_e32 v2, 7, v32
	v_ffbh_u32_e32 v2, v2
	v_min_u32_e32 v2, 32, v2
	v_lshrrev_b32_e32 v6, 3, v4
	v_cmp_gt_u32_e32 vcc, 8, v4
	v_subrev_u32_e32 v4, 28, v2
	v_sub_u32_e32 v2, 29, v2
	v_cndmask_b32_e32 v4, 0, v4, vcc
	v_cndmask_b32_e32 v2, v6, v2, vcc
	v_lshlrev_b64 v[6:7], v4, v[32:33]
	v_lshl_add_u32 v2, v2, 23, v62
	v_lshlrev_b32_e32 v4, 20, v6
	v_lshlrev_b32_e32 v6, 24, v32
	v_and_b32_e32 v4, 0x700000, v4
	v_and_b32_e32 v6, 0x80000000, v6
	v_or3_b32 v2, v6, v2, v4
.LBB6_849:                              ;   in Loop: Header=BB6_126 Depth=2
	s_or_b64 exec, exec, s[94:95]
.LBB6_850:                              ;   in Loop: Header=BB6_126 Depth=2
	s_or_b64 exec, exec, s[22:23]
.LBB6_851:                              ;   in Loop: Header=BB6_126 Depth=2
	s_or_b64 exec, exec, s[92:93]
	s_waitcnt vmcnt(5)
	v_cmp_ne_u16_sdwa s[92:93], v26, v61 src0_sel:BYTE_0 src1_sel:DWORD
	s_and_saveexec_b64 s[22:23], s[92:93]
	s_cbranch_execz .LBB6_857
; %bb.852:                              ;   in Loop: Header=BB6_126 Depth=2
	v_cmp_ne_u16_sdwa s[94:95], v26, s53 src0_sel:BYTE_0 src1_sel:DWORD
	v_bfrev_b32_e32 v3, 1
	s_and_saveexec_b64 s[92:93], s[94:95]
	s_cbranch_execz .LBB6_856
; %bb.853:                              ;   in Loop: Header=BB6_126 Depth=2
	v_and_b32_e32 v4, 0x7f, v26
	v_cmp_ne_u32_e32 vcc, s54, v4
	v_mov_b32_e32 v3, 0x7f800001
	s_and_saveexec_b64 s[94:95], vcc
	s_cbranch_execz .LBB6_855
; %bb.854:                              ;   in Loop: Header=BB6_126 Depth=2
	v_and_b32_e32 v3, 7, v26
	v_ffbh_u32_e32 v3, v3
	v_min_u32_e32 v3, 32, v3
	v_lshrrev_b32_e32 v6, 3, v4
	v_cmp_gt_u32_e32 vcc, 8, v4
	v_subrev_u32_e32 v4, 28, v3
	v_sub_u32_e32 v3, 29, v3
	v_cndmask_b32_e32 v6, v6, v3, vcc
	v_cndmask_b32_e32 v3, 0, v4, vcc
	v_lshlrev_b64 v[3:4], v3, v[26:27]
	v_lshlrev_b32_e32 v4, 24, v26
	v_lshlrev_b32_e32 v3, 20, v3
	v_and_b32_e32 v3, 0x700000, v3
	v_and_b32_e32 v4, 0x80000000, v4
	v_lshl_add_u32 v6, v6, 23, v62
	v_or3_b32 v3, v4, v6, v3
.LBB6_855:                              ;   in Loop: Header=BB6_126 Depth=2
	s_or_b64 exec, exec, s[94:95]
.LBB6_856:                              ;   in Loop: Header=BB6_126 Depth=2
	s_or_b64 exec, exec, s[92:93]
.LBB6_857:                              ;   in Loop: Header=BB6_126 Depth=2
	s_or_b64 exec, exec, s[22:23]
	v_max_f32_e32 v3, v3, v3
	v_max_f32_e32 v2, v2, v2
	v_min_f32_e32 v3, v2, v3
.LBB6_858:                              ;   in Loop: Header=BB6_126 Depth=2
	v_and_b32_e32 v60, 0x7f800000, v3
	v_cmp_ne_u64_e32 vcc, s[72:73], v[60:61]
                                        ; implicit-def: $vgpr51
	s_and_saveexec_b64 s[22:23], vcc
	s_xor_b64 s[92:93], exec, s[22:23]
	s_cbranch_execz .LBB6_872
; %bb.859:                              ;   in Loop: Header=BB6_126 Depth=2
	v_and_b32_e32 v60, 0x7fffffff, v3
	v_cmp_gt_u64_e32 vcc, s[74:75], v[60:61]
	v_and_b32_sdwa v2, v3, s53 dst_sel:DWORD dst_unused:UNUSED_PAD src0_sel:BYTE_3 src1_sel:DWORD
                                        ; implicit-def: $vgpr51
	s_and_saveexec_b64 s[22:23], vcc
	s_xor_b64 s[94:95], exec, s[22:23]
	s_cbranch_execz .LBB6_869
; %bb.860:                              ;   in Loop: Header=BB6_126 Depth=2
	v_mov_b32_e32 v51, 0
	v_cmp_ne_u32_e32 vcc, 0, v3
	s_and_saveexec_b64 s[30:31], vcc
	s_cbranch_execz .LBB6_868
; %bb.861:                              ;   in Loop: Header=BB6_126 Depth=2
	v_and_b32_e32 v6, 0x7fffff, v3
	v_bfe_u32 v3, v3, 23, 8
	v_cmp_gt_u32_e64 s[22:23], s64, v3
	v_sub_u32_e32 v4, 0x79, v3
	v_cmp_eq_u32_e32 vcc, 0, v3
	v_cndmask_b32_e64 v4, 0, v4, s[22:23]
	v_mov_b32_e32 v8, 0x78
	v_or_b32_e32 v7, 0x800000, v6
	v_cndmask_b32_e32 v4, v4, v8, vcc
	v_cndmask_b32_e32 v60, v7, v6, vcc
	v_add_u32_e32 v6, 20, v4
	v_lshlrev_b64 v[6:7], v6, -1
	v_add_u32_e32 v8, 19, v4
	v_lshlrev_b64 v[8:9], v8, 1
	v_lshrrev_b64 v[30:31], v4, v[60:61]
	v_bfi_b32 v7, v7, 0, 0
	v_bfi_b32 v6, v6, 0, v60
	v_cmp_eq_u64_e64 s[22:23], v[6:7], v[8:9]
	v_mov_b32_e32 v37, v31
	v_mov_b32_e32 v36, v30
	s_and_saveexec_b64 s[34:35], s[22:23]
; %bb.862:                              ;   in Loop: Header=BB6_126 Depth=2
	v_bfe_u32 v6, v30, 20, 1
	v_add_co_u32_e64 v6, s[22:23], v30, v6
	v_add_co_u32_e64 v36, s[22:23], -1, v6
; %bb.863:                              ;   in Loop: Header=BB6_126 Depth=2
	s_or_b64 exec, exec, s[34:35]
	v_add_u32_e32 v3, 0xffffff81, v3
	v_cndmask_b32_e32 v3, v3, v41, vcc
	v_lshrrev_b32_e32 v6, 23, v30
	v_add3_u32 v6, v4, v3, v6
	v_add_u32_e32 v4, 6, v6
	v_and_b32_e32 v3, 0xfffff, v36
	v_add_u32_e32 v60, v3, v30
	v_cmp_ne_u32_e32 vcc, 0, v4
                                        ; implicit-def: $vgpr30_vgpr31
                                        ; implicit-def: $vgpr3
	s_and_saveexec_b64 s[22:23], vcc
	s_xor_b64 s[22:23], exec, s[22:23]
; %bb.864:                              ;   in Loop: Header=BB6_126 Depth=2
	v_cmp_lt_u64_e32 vcc, s[76:77], v[60:61]
	v_add_u32_e32 v3, 7, v6
	v_cndmask_b32_e32 v3, v4, v3, vcc
	v_cndmask_b32_e64 v4, 0, 1, vcc
	v_lshrrev_b64 v[30:31], v4, v[60:61]
; %bb.865:                              ;   in Loop: Header=BB6_126 Depth=2
	s_andn2_saveexec_b64 s[22:23], s[22:23]
; %bb.866:                              ;   in Loop: Header=BB6_126 Depth=2
	v_mov_b32_e32 v30, v60
	v_bfe_u32 v3, v60, 23, 1
	v_mov_b32_e32 v31, v61
; %bb.867:                              ;   in Loop: Header=BB6_126 Depth=2
	s_or_b64 exec, exec, s[22:23]
	v_lshrrev_b64 v[6:7], 20, v[30:31]
	v_cmp_gt_i32_e32 vcc, 16, v3
	v_cndmask_b32_e32 v7, 0, v7, vcc
	v_cndmask_b32_e32 v6, 7, v6, vcc
	v_cmp_eq_u32_e32 vcc, 0, v3
	v_min_i32_e32 v3, 15, v3
	v_cmp_eq_u64_e64 s[22:23], 0, v[6:7]
	v_lshlrev_b32_e32 v3, 3, v3
	v_and_b32_e32 v3, 0xf8, v3
	v_and_or_b32 v3, v6, 7, v3
	s_and_b64 s[22:23], vcc, s[22:23]
	v_cndmask_b32_e64 v3, v3, 0, s[22:23]
	v_or_b32_e32 v51, v3, v2
.LBB6_868:                              ;   in Loop: Header=BB6_126 Depth=2
	s_or_b64 exec, exec, s[30:31]
                                        ; implicit-def: $vgpr2
.LBB6_869:                              ;   in Loop: Header=BB6_126 Depth=2
	s_andn2_saveexec_b64 s[22:23], s[94:95]
; %bb.870:                              ;   in Loop: Header=BB6_126 Depth=2
	v_or_b32_e32 v51, 0x7e, v2
; %bb.871:                              ;   in Loop: Header=BB6_126 Depth=2
	s_or_b64 exec, exec, s[22:23]
                                        ; implicit-def: $vgpr3
.LBB6_872:                              ;   in Loop: Header=BB6_126 Depth=2
	s_andn2_saveexec_b64 s[22:23], s[92:93]
; %bb.873:                              ;   in Loop: Header=BB6_126 Depth=2
	v_or_b32_sdwa v51, v3, s54 dst_sel:DWORD dst_unused:UNUSED_PAD src0_sel:BYTE_3 src1_sel:DWORD
; %bb.874:                              ;   in Loop: Header=BB6_126 Depth=2
	s_or_b64 exec, exec, s[22:23]
	v_lshrrev_b16_e32 v36, 8, v32
	s_waitcnt vmcnt(5)
	v_lshrrev_b16_e32 v31, 8, v26
	v_cmp_ne_u16_e64 s[22:23], 0, v36
	s_and_b64 vcc, exec, s[20:21]
	s_mov_b64 s[92:93], -1
                                        ; implicit-def: $vgpr3
	s_cbranch_vccnz .LBB6_888
; %bb.875:                              ;   in Loop: Header=BB6_126 Depth=2
	v_mov_b32_e32 v3, 0
	v_mov_b32_e32 v2, 0
	s_and_saveexec_b64 s[92:93], s[22:23]
	s_cbranch_execz .LBB6_881
; %bb.876:                              ;   in Loop: Header=BB6_126 Depth=2
	v_cmp_ne_u16_e32 vcc, s53, v36
	v_bfrev_b32_e32 v2, 1
	s_and_saveexec_b64 s[94:95], vcc
	s_cbranch_execz .LBB6_880
; %bb.877:                              ;   in Loop: Header=BB6_126 Depth=2
	v_and_b32_e32 v4, 0x7f, v36
	v_cmp_ne_u32_e32 vcc, s54, v4
	v_mov_b32_e32 v2, 0x7f800001
	s_and_saveexec_b64 s[30:31], vcc
	s_cbranch_execz .LBB6_879
; %bb.878:                              ;   in Loop: Header=BB6_126 Depth=2
	v_and_b32_e32 v2, 7, v36
	v_lshrrev_b32_e32 v8, 3, v4
	v_cmp_gt_u32_e32 vcc, 8, v4
	v_ffbh_u32_e32 v4, v2
	v_min_u32_e32 v4, 32, v4
	v_subrev_u32_e32 v6, 28, v4
	v_lshlrev_b64 v[6:7], v6, v[36:37]
	v_sub_u32_e32 v4, 29, v4
	v_and_b32_e32 v6, 7, v6
	v_cndmask_b32_e32 v4, v8, v4, vcc
	v_cndmask_b32_e32 v2, v2, v6, vcc
	v_lshlrev_b32_e32 v6, 16, v32
	v_lshlrev_b32_e32 v2, 20, v2
	v_and_b32_e32 v6, 0x80000000, v6
	v_lshl_add_u32 v4, v4, 23, v62
	v_or3_b32 v2, v6, v4, v2
.LBB6_879:                              ;   in Loop: Header=BB6_126 Depth=2
	s_or_b64 exec, exec, s[30:31]
.LBB6_880:                              ;   in Loop: Header=BB6_126 Depth=2
	s_or_b64 exec, exec, s[94:95]
.LBB6_881:                              ;   in Loop: Header=BB6_126 Depth=2
	s_or_b64 exec, exec, s[92:93]
	v_cmp_ne_u16_e32 vcc, 0, v31
	s_and_saveexec_b64 s[92:93], vcc
	s_cbranch_execz .LBB6_887
; %bb.882:                              ;   in Loop: Header=BB6_126 Depth=2
	v_cmp_ne_u16_e32 vcc, s53, v31
	v_bfrev_b32_e32 v3, 1
	s_and_saveexec_b64 s[94:95], vcc
	s_cbranch_execz .LBB6_886
; %bb.883:                              ;   in Loop: Header=BB6_126 Depth=2
	v_and_b32_e32 v4, 0x7f, v31
	v_cmp_ne_u32_e32 vcc, s54, v4
	v_mov_b32_e32 v3, 0x7f800001
	s_and_saveexec_b64 s[30:31], vcc
	s_cbranch_execz .LBB6_885
; %bb.884:                              ;   in Loop: Header=BB6_126 Depth=2
	v_and_b32_e32 v6, 7, v31
	v_ffbh_u32_e32 v3, v6
	v_min_u32_e32 v8, 32, v3
	v_subrev_u32_e32 v3, 28, v8
	v_lshrrev_b32_e32 v7, 3, v4
	v_cmp_gt_u32_e32 vcc, 8, v4
	v_lshlrev_b64 v[3:4], v3, v[31:32]
	v_sub_u32_e32 v4, 29, v8
	v_and_b32_e32 v3, 7, v3
	v_cndmask_b32_e32 v4, v7, v4, vcc
	v_cndmask_b32_e32 v3, v6, v3, vcc
	v_lshlrev_b32_e32 v6, 16, v26
	v_lshlrev_b32_e32 v3, 20, v3
	v_and_b32_e32 v6, 0x80000000, v6
	v_lshl_add_u32 v4, v4, 23, v62
	v_or3_b32 v3, v6, v4, v3
.LBB6_885:                              ;   in Loop: Header=BB6_126 Depth=2
	s_or_b64 exec, exec, s[30:31]
.LBB6_886:                              ;   in Loop: Header=BB6_126 Depth=2
	s_or_b64 exec, exec, s[94:95]
.LBB6_887:                              ;   in Loop: Header=BB6_126 Depth=2
	s_or_b64 exec, exec, s[92:93]
	v_max_f32_e32 v3, v3, v3
	v_max_f32_e32 v2, v2, v2
	;; [unrolled: 1-line block ×3, first 2 shown]
	s_mov_b64 s[92:93], 0
.LBB6_888:                              ;   in Loop: Header=BB6_126 Depth=2
	s_and_b64 vcc, exec, s[92:93]
	s_cbranch_vccz .LBB6_902
; %bb.889:                              ;   in Loop: Header=BB6_126 Depth=2
	v_mov_b32_e32 v3, 0
	v_mov_b32_e32 v2, 0
	s_and_saveexec_b64 s[92:93], s[22:23]
	s_cbranch_execz .LBB6_895
; %bb.890:                              ;   in Loop: Header=BB6_126 Depth=2
	v_cmp_ne_u16_e32 vcc, s53, v36
	v_bfrev_b32_e32 v2, 1
	s_and_saveexec_b64 s[22:23], vcc
	s_cbranch_execz .LBB6_894
; %bb.891:                              ;   in Loop: Header=BB6_126 Depth=2
	v_and_b32_e32 v4, 0x7f, v36
	v_cmp_ne_u32_e32 vcc, s54, v4
	v_mov_b32_e32 v2, 0x7f800001
	s_and_saveexec_b64 s[94:95], vcc
	s_cbranch_execz .LBB6_893
; %bb.892:                              ;   in Loop: Header=BB6_126 Depth=2
	v_and_b32_e32 v2, 7, v36
	v_lshrrev_b32_e32 v8, 3, v4
	v_cmp_gt_u32_e32 vcc, 8, v4
	v_ffbh_u32_e32 v4, v2
	v_min_u32_e32 v4, 32, v4
	v_subrev_u32_e32 v6, 28, v4
	v_lshlrev_b64 v[6:7], v6, v[36:37]
	v_sub_u32_e32 v4, 29, v4
	v_and_b32_e32 v6, 7, v6
	v_cndmask_b32_e32 v4, v8, v4, vcc
	v_cndmask_b32_e32 v2, v2, v6, vcc
	v_lshlrev_b32_e32 v6, 16, v32
	v_lshlrev_b32_e32 v2, 20, v2
	v_and_b32_e32 v6, 0x80000000, v6
	v_lshl_add_u32 v4, v4, 23, v62
	v_or3_b32 v2, v6, v4, v2
.LBB6_893:                              ;   in Loop: Header=BB6_126 Depth=2
	s_or_b64 exec, exec, s[94:95]
.LBB6_894:                              ;   in Loop: Header=BB6_126 Depth=2
	s_or_b64 exec, exec, s[22:23]
.LBB6_895:                              ;   in Loop: Header=BB6_126 Depth=2
	s_or_b64 exec, exec, s[92:93]
	v_cmp_ne_u16_e32 vcc, 0, v31
	s_and_saveexec_b64 s[22:23], vcc
	s_cbranch_execz .LBB6_901
; %bb.896:                              ;   in Loop: Header=BB6_126 Depth=2
	v_cmp_ne_u16_e32 vcc, s53, v31
	v_bfrev_b32_e32 v3, 1
	s_and_saveexec_b64 s[92:93], vcc
	s_cbranch_execz .LBB6_900
; %bb.897:                              ;   in Loop: Header=BB6_126 Depth=2
	v_and_b32_e32 v4, 0x7f, v31
	v_cmp_ne_u32_e32 vcc, s54, v4
	v_mov_b32_e32 v3, 0x7f800001
	s_and_saveexec_b64 s[94:95], vcc
	s_cbranch_execz .LBB6_899
; %bb.898:                              ;   in Loop: Header=BB6_126 Depth=2
	v_and_b32_e32 v6, 7, v31
	v_ffbh_u32_e32 v3, v6
	v_min_u32_e32 v8, 32, v3
	v_subrev_u32_e32 v3, 28, v8
	v_lshrrev_b32_e32 v7, 3, v4
	v_cmp_gt_u32_e32 vcc, 8, v4
	v_lshlrev_b64 v[3:4], v3, v[31:32]
	v_sub_u32_e32 v4, 29, v8
	v_and_b32_e32 v3, 7, v3
	v_cndmask_b32_e32 v4, v7, v4, vcc
	v_cndmask_b32_e32 v3, v6, v3, vcc
	v_lshlrev_b32_e32 v6, 16, v26
	v_lshlrev_b32_e32 v3, 20, v3
	v_and_b32_e32 v6, 0x80000000, v6
	v_lshl_add_u32 v4, v4, 23, v62
	v_or3_b32 v3, v6, v4, v3
.LBB6_899:                              ;   in Loop: Header=BB6_126 Depth=2
	s_or_b64 exec, exec, s[94:95]
.LBB6_900:                              ;   in Loop: Header=BB6_126 Depth=2
	s_or_b64 exec, exec, s[92:93]
.LBB6_901:                              ;   in Loop: Header=BB6_126 Depth=2
	s_or_b64 exec, exec, s[22:23]
	v_max_f32_e32 v3, v3, v3
	v_max_f32_e32 v2, v2, v2
	v_min_f32_e32 v3, v2, v3
.LBB6_902:                              ;   in Loop: Header=BB6_126 Depth=2
	v_and_b32_e32 v60, 0x7f800000, v3
	v_cmp_ne_u64_e32 vcc, s[72:73], v[60:61]
                                        ; implicit-def: $vgpr50
	s_and_saveexec_b64 s[22:23], vcc
	s_xor_b64 s[92:93], exec, s[22:23]
	s_cbranch_execz .LBB6_916
; %bb.903:                              ;   in Loop: Header=BB6_126 Depth=2
	v_and_b32_e32 v60, 0x7fffffff, v3
	v_cmp_gt_u64_e32 vcc, s[74:75], v[60:61]
	v_and_b32_sdwa v2, v3, s53 dst_sel:DWORD dst_unused:UNUSED_PAD src0_sel:BYTE_3 src1_sel:DWORD
                                        ; implicit-def: $vgpr50
	s_and_saveexec_b64 s[22:23], vcc
	s_xor_b64 s[94:95], exec, s[22:23]
	s_cbranch_execz .LBB6_913
; %bb.904:                              ;   in Loop: Header=BB6_126 Depth=2
	v_mov_b32_e32 v50, 0
	v_cmp_ne_u32_e32 vcc, 0, v3
	s_and_saveexec_b64 s[30:31], vcc
	s_cbranch_execz .LBB6_912
; %bb.905:                              ;   in Loop: Header=BB6_126 Depth=2
	v_and_b32_e32 v6, 0x7fffff, v3
	v_bfe_u32 v3, v3, 23, 8
	v_cmp_gt_u32_e64 s[22:23], s64, v3
	v_sub_u32_e32 v4, 0x79, v3
	v_cmp_eq_u32_e32 vcc, 0, v3
	v_cndmask_b32_e64 v4, 0, v4, s[22:23]
	v_mov_b32_e32 v8, 0x78
	v_or_b32_e32 v7, 0x800000, v6
	v_cndmask_b32_e32 v4, v4, v8, vcc
	v_cndmask_b32_e32 v60, v7, v6, vcc
	v_add_u32_e32 v6, 20, v4
	v_lshlrev_b64 v[6:7], v6, -1
	v_add_u32_e32 v8, 19, v4
	v_lshlrev_b64 v[8:9], v8, 1
	v_lshrrev_b64 v[30:31], v4, v[60:61]
	v_bfi_b32 v7, v7, 0, 0
	v_bfi_b32 v6, v6, 0, v60
	v_cmp_eq_u64_e64 s[22:23], v[6:7], v[8:9]
	v_mov_b32_e32 v37, v31
	v_mov_b32_e32 v36, v30
	s_and_saveexec_b64 s[34:35], s[22:23]
; %bb.906:                              ;   in Loop: Header=BB6_126 Depth=2
	v_bfe_u32 v6, v30, 20, 1
	v_add_co_u32_e64 v6, s[22:23], v30, v6
	v_add_co_u32_e64 v36, s[22:23], -1, v6
; %bb.907:                              ;   in Loop: Header=BB6_126 Depth=2
	s_or_b64 exec, exec, s[34:35]
	v_add_u32_e32 v3, 0xffffff81, v3
	v_cndmask_b32_e32 v3, v3, v41, vcc
	v_lshrrev_b32_e32 v6, 23, v30
	v_add3_u32 v6, v4, v3, v6
	v_add_u32_e32 v4, 6, v6
	v_and_b32_e32 v3, 0xfffff, v36
	v_add_u32_e32 v60, v3, v30
	v_cmp_ne_u32_e32 vcc, 0, v4
                                        ; implicit-def: $vgpr30_vgpr31
                                        ; implicit-def: $vgpr3
	s_and_saveexec_b64 s[22:23], vcc
	s_xor_b64 s[22:23], exec, s[22:23]
; %bb.908:                              ;   in Loop: Header=BB6_126 Depth=2
	v_cmp_lt_u64_e32 vcc, s[76:77], v[60:61]
	v_add_u32_e32 v3, 7, v6
	v_cndmask_b32_e32 v3, v4, v3, vcc
	v_cndmask_b32_e64 v4, 0, 1, vcc
	v_lshrrev_b64 v[30:31], v4, v[60:61]
; %bb.909:                              ;   in Loop: Header=BB6_126 Depth=2
	s_andn2_saveexec_b64 s[22:23], s[22:23]
; %bb.910:                              ;   in Loop: Header=BB6_126 Depth=2
	v_mov_b32_e32 v30, v60
	v_bfe_u32 v3, v60, 23, 1
	v_mov_b32_e32 v31, v61
; %bb.911:                              ;   in Loop: Header=BB6_126 Depth=2
	s_or_b64 exec, exec, s[22:23]
	v_lshrrev_b64 v[6:7], 20, v[30:31]
	v_cmp_gt_i32_e32 vcc, 16, v3
	v_cndmask_b32_e32 v7, 0, v7, vcc
	v_cndmask_b32_e32 v6, 7, v6, vcc
	v_cmp_eq_u32_e32 vcc, 0, v3
	v_min_i32_e32 v3, 15, v3
	v_cmp_eq_u64_e64 s[22:23], 0, v[6:7]
	v_lshlrev_b32_e32 v3, 3, v3
	v_and_b32_e32 v3, 0xf8, v3
	v_and_or_b32 v3, v6, 7, v3
	s_and_b64 s[22:23], vcc, s[22:23]
	v_cndmask_b32_e64 v3, v3, 0, s[22:23]
	v_or_b32_e32 v50, v3, v2
.LBB6_912:                              ;   in Loop: Header=BB6_126 Depth=2
	s_or_b64 exec, exec, s[30:31]
                                        ; implicit-def: $vgpr2
.LBB6_913:                              ;   in Loop: Header=BB6_126 Depth=2
	s_andn2_saveexec_b64 s[22:23], s[94:95]
; %bb.914:                              ;   in Loop: Header=BB6_126 Depth=2
	v_or_b32_e32 v50, 0x7e, v2
; %bb.915:                              ;   in Loop: Header=BB6_126 Depth=2
	s_or_b64 exec, exec, s[22:23]
                                        ; implicit-def: $vgpr3
.LBB6_916:                              ;   in Loop: Header=BB6_126 Depth=2
	s_andn2_saveexec_b64 s[22:23], s[92:93]
; %bb.917:                              ;   in Loop: Header=BB6_126 Depth=2
	v_or_b32_sdwa v50, v3, s54 dst_sel:DWORD dst_unused:UNUSED_PAD src0_sel:BYTE_3 src1_sel:DWORD
; %bb.918:                              ;   in Loop: Header=BB6_126 Depth=2
	s_or_b64 exec, exec, s[22:23]
	v_lshrrev_b32_e32 v36, 16, v32
	v_lshrrev_b32_e32 v31, 16, v26
	v_cmp_ne_u16_sdwa s[22:23], v36, v61 src0_sel:BYTE_0 src1_sel:DWORD
	s_and_b64 vcc, exec, s[20:21]
	s_mov_b64 s[92:93], -1
                                        ; implicit-def: $vgpr3
	s_cbranch_vccnz .LBB6_932
; %bb.919:                              ;   in Loop: Header=BB6_126 Depth=2
	v_mov_b32_e32 v3, 0
	v_mov_b32_e32 v2, 0
	s_and_saveexec_b64 s[92:93], s[22:23]
	s_cbranch_execz .LBB6_925
; %bb.920:                              ;   in Loop: Header=BB6_126 Depth=2
	v_cmp_ne_u16_sdwa vcc, v36, s53 src0_sel:BYTE_0 src1_sel:DWORD
	v_bfrev_b32_e32 v2, 1
	s_and_saveexec_b64 s[94:95], vcc
	s_cbranch_execz .LBB6_924
; %bb.921:                              ;   in Loop: Header=BB6_126 Depth=2
	v_bfe_u32 v4, v32, 16, 7
	v_cmp_ne_u32_e32 vcc, s54, v4
	v_mov_b32_e32 v2, 0x7f800001
	s_and_saveexec_b64 s[30:31], vcc
	s_cbranch_execz .LBB6_923
; %bb.922:                              ;   in Loop: Header=BB6_126 Depth=2
	v_and_b32_e32 v2, 7, v36
	v_lshrrev_b32_e32 v8, 3, v4
	v_cmp_gt_u32_e32 vcc, 8, v4
	v_ffbh_u32_e32 v4, v2
	v_min_u32_e32 v4, 32, v4
	v_subrev_u32_e32 v6, 28, v4
	v_lshlrev_b64 v[6:7], v6, v[36:37]
	v_sub_u32_e32 v4, 29, v4
	v_and_b32_e32 v6, 7, v6
	v_cndmask_b32_e32 v4, v8, v4, vcc
	v_cndmask_b32_e32 v2, v2, v6, vcc
	v_lshlrev_b32_e32 v6, 24, v36
	v_lshlrev_b32_e32 v2, 20, v2
	v_and_b32_e32 v6, 0x80000000, v6
	v_lshl_add_u32 v4, v4, 23, v62
	v_or3_b32 v2, v6, v4, v2
.LBB6_923:                              ;   in Loop: Header=BB6_126 Depth=2
	s_or_b64 exec, exec, s[30:31]
.LBB6_924:                              ;   in Loop: Header=BB6_126 Depth=2
	s_or_b64 exec, exec, s[94:95]
.LBB6_925:                              ;   in Loop: Header=BB6_126 Depth=2
	s_or_b64 exec, exec, s[92:93]
	v_cmp_ne_u16_sdwa s[94:95], v31, v61 src0_sel:BYTE_0 src1_sel:DWORD
	s_and_saveexec_b64 s[92:93], s[94:95]
	s_cbranch_execz .LBB6_931
; %bb.926:                              ;   in Loop: Header=BB6_126 Depth=2
	v_cmp_ne_u16_sdwa vcc, v31, s53 src0_sel:BYTE_0 src1_sel:DWORD
	v_bfrev_b32_e32 v3, 1
	s_and_saveexec_b64 s[94:95], vcc
	s_cbranch_execz .LBB6_930
; %bb.927:                              ;   in Loop: Header=BB6_126 Depth=2
	v_bfe_u32 v4, v26, 16, 7
	v_cmp_ne_u32_e32 vcc, s54, v4
	v_mov_b32_e32 v3, 0x7f800001
	s_and_saveexec_b64 s[30:31], vcc
	s_cbranch_execz .LBB6_929
; %bb.928:                              ;   in Loop: Header=BB6_126 Depth=2
	v_and_b32_e32 v6, 7, v31
	v_ffbh_u32_e32 v3, v6
	v_min_u32_e32 v8, 32, v3
	v_subrev_u32_e32 v3, 28, v8
	v_lshrrev_b32_e32 v7, 3, v4
	v_cmp_gt_u32_e32 vcc, 8, v4
	v_lshlrev_b64 v[3:4], v3, v[31:32]
	v_sub_u32_e32 v4, 29, v8
	v_and_b32_e32 v3, 7, v3
	v_cndmask_b32_e32 v4, v7, v4, vcc
	v_cndmask_b32_e32 v3, v6, v3, vcc
	v_lshlrev_b32_e32 v6, 24, v31
	v_lshlrev_b32_e32 v3, 20, v3
	v_and_b32_e32 v6, 0x80000000, v6
	v_lshl_add_u32 v4, v4, 23, v62
	v_or3_b32 v3, v6, v4, v3
.LBB6_929:                              ;   in Loop: Header=BB6_126 Depth=2
	s_or_b64 exec, exec, s[30:31]
.LBB6_930:                              ;   in Loop: Header=BB6_126 Depth=2
	s_or_b64 exec, exec, s[94:95]
.LBB6_931:                              ;   in Loop: Header=BB6_126 Depth=2
	s_or_b64 exec, exec, s[92:93]
	v_max_f32_e32 v3, v3, v3
	v_max_f32_e32 v2, v2, v2
	;; [unrolled: 1-line block ×3, first 2 shown]
	s_mov_b64 s[92:93], 0
.LBB6_932:                              ;   in Loop: Header=BB6_126 Depth=2
	s_and_b64 vcc, exec, s[92:93]
	s_cbranch_vccz .LBB6_946
; %bb.933:                              ;   in Loop: Header=BB6_126 Depth=2
	v_mov_b32_e32 v3, 0
	v_mov_b32_e32 v2, 0
	s_and_saveexec_b64 s[92:93], s[22:23]
	s_cbranch_execz .LBB6_939
; %bb.934:                              ;   in Loop: Header=BB6_126 Depth=2
	v_cmp_ne_u16_sdwa s[94:95], v36, s53 src0_sel:BYTE_0 src1_sel:DWORD
	v_bfrev_b32_e32 v2, 1
	s_and_saveexec_b64 s[22:23], s[94:95]
	s_cbranch_execz .LBB6_938
; %bb.935:                              ;   in Loop: Header=BB6_126 Depth=2
	v_bfe_u32 v4, v32, 16, 7
	v_cmp_ne_u32_e32 vcc, s54, v4
	v_mov_b32_e32 v2, 0x7f800001
	s_and_saveexec_b64 s[94:95], vcc
	s_cbranch_execz .LBB6_937
; %bb.936:                              ;   in Loop: Header=BB6_126 Depth=2
	v_and_b32_e32 v2, 7, v36
	v_lshrrev_b32_e32 v8, 3, v4
	v_cmp_gt_u32_e32 vcc, 8, v4
	v_ffbh_u32_e32 v4, v2
	v_min_u32_e32 v4, 32, v4
	v_subrev_u32_e32 v6, 28, v4
	v_lshlrev_b64 v[6:7], v6, v[36:37]
	v_sub_u32_e32 v4, 29, v4
	v_and_b32_e32 v6, 7, v6
	v_cndmask_b32_e32 v4, v8, v4, vcc
	v_cndmask_b32_e32 v2, v2, v6, vcc
	v_lshlrev_b32_e32 v6, 24, v36
	v_lshlrev_b32_e32 v2, 20, v2
	v_and_b32_e32 v6, 0x80000000, v6
	v_lshl_add_u32 v4, v4, 23, v62
	v_or3_b32 v2, v6, v4, v2
.LBB6_937:                              ;   in Loop: Header=BB6_126 Depth=2
	s_or_b64 exec, exec, s[94:95]
.LBB6_938:                              ;   in Loop: Header=BB6_126 Depth=2
	s_or_b64 exec, exec, s[22:23]
.LBB6_939:                              ;   in Loop: Header=BB6_126 Depth=2
	s_or_b64 exec, exec, s[92:93]
	v_cmp_ne_u16_sdwa s[92:93], v31, v61 src0_sel:BYTE_0 src1_sel:DWORD
	s_and_saveexec_b64 s[22:23], s[92:93]
	s_cbranch_execz .LBB6_945
; %bb.940:                              ;   in Loop: Header=BB6_126 Depth=2
	v_cmp_ne_u16_sdwa s[94:95], v31, s53 src0_sel:BYTE_0 src1_sel:DWORD
	v_bfrev_b32_e32 v3, 1
	s_and_saveexec_b64 s[92:93], s[94:95]
	s_cbranch_execz .LBB6_944
; %bb.941:                              ;   in Loop: Header=BB6_126 Depth=2
	v_bfe_u32 v4, v26, 16, 7
	v_cmp_ne_u32_e32 vcc, s54, v4
	v_mov_b32_e32 v3, 0x7f800001
	s_and_saveexec_b64 s[94:95], vcc
	s_cbranch_execz .LBB6_943
; %bb.942:                              ;   in Loop: Header=BB6_126 Depth=2
	v_and_b32_e32 v6, 7, v31
	v_ffbh_u32_e32 v3, v6
	v_min_u32_e32 v8, 32, v3
	v_subrev_u32_e32 v3, 28, v8
	v_lshrrev_b32_e32 v7, 3, v4
	v_cmp_gt_u32_e32 vcc, 8, v4
	v_lshlrev_b64 v[3:4], v3, v[31:32]
	v_sub_u32_e32 v4, 29, v8
	v_and_b32_e32 v3, 7, v3
	v_cndmask_b32_e32 v4, v7, v4, vcc
	v_cndmask_b32_e32 v3, v6, v3, vcc
	v_lshlrev_b32_e32 v6, 24, v31
	v_lshlrev_b32_e32 v3, 20, v3
	v_and_b32_e32 v6, 0x80000000, v6
	v_lshl_add_u32 v4, v4, 23, v62
	v_or3_b32 v3, v6, v4, v3
.LBB6_943:                              ;   in Loop: Header=BB6_126 Depth=2
	s_or_b64 exec, exec, s[94:95]
.LBB6_944:                              ;   in Loop: Header=BB6_126 Depth=2
	s_or_b64 exec, exec, s[92:93]
.LBB6_945:                              ;   in Loop: Header=BB6_126 Depth=2
	s_or_b64 exec, exec, s[22:23]
	v_max_f32_e32 v3, v3, v3
	v_max_f32_e32 v2, v2, v2
	v_min_f32_e32 v3, v2, v3
.LBB6_946:                              ;   in Loop: Header=BB6_126 Depth=2
	v_and_b32_e32 v60, 0x7f800000, v3
	v_cmp_ne_u64_e32 vcc, s[72:73], v[60:61]
                                        ; implicit-def: $vgpr9
	s_and_saveexec_b64 s[22:23], vcc
	s_xor_b64 s[92:93], exec, s[22:23]
	s_cbranch_execz .LBB6_960
; %bb.947:                              ;   in Loop: Header=BB6_126 Depth=2
	v_and_b32_e32 v60, 0x7fffffff, v3
	v_cmp_gt_u64_e32 vcc, s[74:75], v[60:61]
	v_and_b32_sdwa v2, v3, s53 dst_sel:DWORD dst_unused:UNUSED_PAD src0_sel:BYTE_3 src1_sel:DWORD
                                        ; implicit-def: $vgpr9
	s_and_saveexec_b64 s[22:23], vcc
	s_xor_b64 s[94:95], exec, s[22:23]
	s_cbranch_execz .LBB6_957
; %bb.948:                              ;   in Loop: Header=BB6_126 Depth=2
	v_mov_b32_e32 v9, 0
	v_cmp_ne_u32_e32 vcc, 0, v3
	s_and_saveexec_b64 s[30:31], vcc
	s_cbranch_execz .LBB6_956
; %bb.949:                              ;   in Loop: Header=BB6_126 Depth=2
	v_and_b32_e32 v6, 0x7fffff, v3
	v_bfe_u32 v3, v3, 23, 8
	v_cmp_gt_u32_e64 s[22:23], s64, v3
	v_sub_u32_e32 v4, 0x79, v3
	v_cmp_eq_u32_e32 vcc, 0, v3
	v_cndmask_b32_e64 v4, 0, v4, s[22:23]
	v_mov_b32_e32 v8, 0x78
	v_or_b32_e32 v7, 0x800000, v6
	v_cndmask_b32_e32 v4, v4, v8, vcc
	v_cndmask_b32_e32 v60, v7, v6, vcc
	v_add_u32_e32 v6, 20, v4
	v_lshlrev_b64 v[6:7], v6, -1
	v_add_u32_e32 v8, 19, v4
	v_lshlrev_b64 v[8:9], v8, 1
	v_lshrrev_b64 v[30:31], v4, v[60:61]
	v_bfi_b32 v7, v7, 0, 0
	v_bfi_b32 v6, v6, 0, v60
	v_cmp_eq_u64_e64 s[22:23], v[6:7], v[8:9]
	v_mov_b32_e32 v37, v31
	v_mov_b32_e32 v36, v30
	s_and_saveexec_b64 s[34:35], s[22:23]
; %bb.950:                              ;   in Loop: Header=BB6_126 Depth=2
	v_bfe_u32 v6, v30, 20, 1
	v_add_co_u32_e64 v6, s[22:23], v30, v6
	v_add_co_u32_e64 v36, s[22:23], -1, v6
; %bb.951:                              ;   in Loop: Header=BB6_126 Depth=2
	s_or_b64 exec, exec, s[34:35]
	v_add_u32_e32 v3, 0xffffff81, v3
	v_cndmask_b32_e32 v3, v3, v41, vcc
	v_lshrrev_b32_e32 v6, 23, v30
	v_add3_u32 v6, v4, v3, v6
	v_add_u32_e32 v4, 6, v6
	v_and_b32_e32 v3, 0xfffff, v36
	v_add_u32_e32 v60, v3, v30
	v_cmp_ne_u32_e32 vcc, 0, v4
                                        ; implicit-def: $vgpr30_vgpr31
                                        ; implicit-def: $vgpr3
	s_and_saveexec_b64 s[22:23], vcc
	s_xor_b64 s[22:23], exec, s[22:23]
; %bb.952:                              ;   in Loop: Header=BB6_126 Depth=2
	v_cmp_lt_u64_e32 vcc, s[76:77], v[60:61]
	v_add_u32_e32 v3, 7, v6
	v_cndmask_b32_e32 v3, v4, v3, vcc
	v_cndmask_b32_e64 v4, 0, 1, vcc
	v_lshrrev_b64 v[30:31], v4, v[60:61]
; %bb.953:                              ;   in Loop: Header=BB6_126 Depth=2
	s_andn2_saveexec_b64 s[22:23], s[22:23]
; %bb.954:                              ;   in Loop: Header=BB6_126 Depth=2
	v_mov_b32_e32 v30, v60
	v_bfe_u32 v3, v60, 23, 1
	v_mov_b32_e32 v31, v61
; %bb.955:                              ;   in Loop: Header=BB6_126 Depth=2
	s_or_b64 exec, exec, s[22:23]
	v_lshrrev_b64 v[6:7], 20, v[30:31]
	v_cmp_gt_i32_e32 vcc, 16, v3
	v_cndmask_b32_e32 v7, 0, v7, vcc
	v_cndmask_b32_e32 v6, 7, v6, vcc
	v_cmp_eq_u32_e32 vcc, 0, v3
	v_min_i32_e32 v3, 15, v3
	v_cmp_eq_u64_e64 s[22:23], 0, v[6:7]
	v_lshlrev_b32_e32 v3, 3, v3
	v_and_b32_e32 v3, 0xf8, v3
	v_and_or_b32 v3, v6, 7, v3
	s_and_b64 s[22:23], vcc, s[22:23]
	v_cndmask_b32_e64 v3, v3, 0, s[22:23]
	v_or_b32_e32 v9, v3, v2
.LBB6_956:                              ;   in Loop: Header=BB6_126 Depth=2
	s_or_b64 exec, exec, s[30:31]
                                        ; implicit-def: $vgpr2
.LBB6_957:                              ;   in Loop: Header=BB6_126 Depth=2
	s_andn2_saveexec_b64 s[22:23], s[94:95]
; %bb.958:                              ;   in Loop: Header=BB6_126 Depth=2
	v_or_b32_e32 v9, 0x7e, v2
; %bb.959:                              ;   in Loop: Header=BB6_126 Depth=2
	s_or_b64 exec, exec, s[22:23]
                                        ; implicit-def: $vgpr3
.LBB6_960:                              ;   in Loop: Header=BB6_126 Depth=2
	s_andn2_saveexec_b64 s[22:23], s[92:93]
; %bb.961:                              ;   in Loop: Header=BB6_126 Depth=2
	v_or_b32_sdwa v9, v3, s54 dst_sel:DWORD dst_unused:UNUSED_PAD src0_sel:BYTE_3 src1_sel:DWORD
; %bb.962:                              ;   in Loop: Header=BB6_126 Depth=2
	s_or_b64 exec, exec, s[22:23]
	v_lshrrev_b32_e32 v36, 24, v32
	v_lshrrev_b32_e32 v31, 24, v26
	v_cmp_lt_u32_e64 s[22:23], s79, v32
	s_and_b64 vcc, exec, s[20:21]
	s_mov_b64 s[92:93], -1
                                        ; implicit-def: $vgpr3
	s_cbranch_vccnz .LBB6_976
; %bb.963:                              ;   in Loop: Header=BB6_126 Depth=2
	v_mov_b32_e32 v3, 0
	v_mov_b32_e32 v2, 0
	s_and_saveexec_b64 s[92:93], s[22:23]
	s_cbranch_execz .LBB6_969
; %bb.964:                              ;   in Loop: Header=BB6_126 Depth=2
	v_cmp_ne_u32_e32 vcc, s53, v36
	v_bfrev_b32_e32 v2, 1
	s_and_saveexec_b64 s[94:95], vcc
	s_cbranch_execz .LBB6_968
; %bb.965:                              ;   in Loop: Header=BB6_126 Depth=2
	v_bfe_u32 v4, v32, 24, 7
	v_cmp_ne_u32_e32 vcc, s54, v4
	v_mov_b32_e32 v2, 0x7f800001
	s_and_saveexec_b64 s[30:31], vcc
	s_cbranch_execz .LBB6_967
; %bb.966:                              ;   in Loop: Header=BB6_126 Depth=2
	v_and_b32_e32 v2, 7, v36
	v_lshrrev_b32_e32 v8, 3, v4
	v_cmp_gt_u32_e32 vcc, 8, v4
	v_ffbh_u32_e32 v4, v2
	v_min_u32_e32 v4, 32, v4
	v_subrev_u32_e32 v6, 28, v4
	v_lshlrev_b64 v[6:7], v6, v[36:37]
	v_sub_u32_e32 v4, 29, v4
	v_and_b32_e32 v6, 7, v6
	v_cndmask_b32_e32 v4, v8, v4, vcc
	v_cndmask_b32_e32 v2, v2, v6, vcc
	v_lshlrev_b32_e32 v6, 24, v36
	v_lshlrev_b32_e32 v2, 20, v2
	v_and_b32_e32 v6, 0x80000000, v6
	v_lshl_add_u32 v4, v4, 23, v62
	v_or3_b32 v2, v6, v4, v2
.LBB6_967:                              ;   in Loop: Header=BB6_126 Depth=2
	s_or_b64 exec, exec, s[30:31]
.LBB6_968:                              ;   in Loop: Header=BB6_126 Depth=2
	s_or_b64 exec, exec, s[94:95]
.LBB6_969:                              ;   in Loop: Header=BB6_126 Depth=2
	s_or_b64 exec, exec, s[92:93]
	v_cmp_lt_u32_e32 vcc, s79, v26
	s_and_saveexec_b64 s[92:93], vcc
	s_cbranch_execz .LBB6_975
; %bb.970:                              ;   in Loop: Header=BB6_126 Depth=2
	v_cmp_ne_u32_e32 vcc, s53, v31
	v_bfrev_b32_e32 v3, 1
	s_and_saveexec_b64 s[94:95], vcc
	s_cbranch_execz .LBB6_974
; %bb.971:                              ;   in Loop: Header=BB6_126 Depth=2
	v_bfe_u32 v4, v26, 24, 7
	v_cmp_ne_u32_e32 vcc, s54, v4
	v_mov_b32_e32 v3, 0x7f800001
	s_and_saveexec_b64 s[30:31], vcc
	s_cbranch_execz .LBB6_973
; %bb.972:                              ;   in Loop: Header=BB6_126 Depth=2
	v_and_b32_e32 v6, 7, v31
	v_ffbh_u32_e32 v3, v6
	v_min_u32_e32 v8, 32, v3
	v_subrev_u32_e32 v3, 28, v8
	v_lshrrev_b32_e32 v7, 3, v4
	v_cmp_gt_u32_e32 vcc, 8, v4
	v_lshlrev_b64 v[3:4], v3, v[31:32]
	v_sub_u32_e32 v4, 29, v8
	v_and_b32_e32 v3, 7, v3
	v_cndmask_b32_e32 v4, v7, v4, vcc
	v_cndmask_b32_e32 v3, v6, v3, vcc
	v_lshlrev_b32_e32 v6, 24, v31
	v_lshlrev_b32_e32 v3, 20, v3
	v_and_b32_e32 v6, 0x80000000, v6
	v_lshl_add_u32 v4, v4, 23, v62
	v_or3_b32 v3, v6, v4, v3
.LBB6_973:                              ;   in Loop: Header=BB6_126 Depth=2
	s_or_b64 exec, exec, s[30:31]
.LBB6_974:                              ;   in Loop: Header=BB6_126 Depth=2
	s_or_b64 exec, exec, s[94:95]
.LBB6_975:                              ;   in Loop: Header=BB6_126 Depth=2
	s_or_b64 exec, exec, s[92:93]
	v_max_f32_e32 v3, v3, v3
	v_max_f32_e32 v2, v2, v2
	;; [unrolled: 1-line block ×3, first 2 shown]
	s_mov_b64 s[92:93], 0
.LBB6_976:                              ;   in Loop: Header=BB6_126 Depth=2
	s_and_b64 vcc, exec, s[92:93]
	s_cbranch_vccz .LBB6_990
; %bb.977:                              ;   in Loop: Header=BB6_126 Depth=2
	v_mov_b32_e32 v3, 0
	v_mov_b32_e32 v2, 0
	s_and_saveexec_b64 s[92:93], s[22:23]
	s_cbranch_execz .LBB6_983
; %bb.978:                              ;   in Loop: Header=BB6_126 Depth=2
	v_cmp_ne_u32_e32 vcc, s53, v36
	v_bfrev_b32_e32 v2, 1
	s_and_saveexec_b64 s[22:23], vcc
	s_cbranch_execz .LBB6_982
; %bb.979:                              ;   in Loop: Header=BB6_126 Depth=2
	v_bfe_u32 v4, v32, 24, 7
	v_cmp_ne_u32_e32 vcc, s54, v4
	v_mov_b32_e32 v2, 0x7f800001
	s_and_saveexec_b64 s[94:95], vcc
	s_cbranch_execz .LBB6_981
; %bb.980:                              ;   in Loop: Header=BB6_126 Depth=2
	v_and_b32_e32 v2, 7, v36
	v_lshrrev_b32_e32 v8, 3, v4
	v_cmp_gt_u32_e32 vcc, 8, v4
	v_ffbh_u32_e32 v4, v2
	v_min_u32_e32 v4, 32, v4
	v_subrev_u32_e32 v6, 28, v4
	v_lshlrev_b64 v[6:7], v6, v[36:37]
	v_sub_u32_e32 v4, 29, v4
	v_and_b32_e32 v6, 7, v6
	v_cndmask_b32_e32 v4, v8, v4, vcc
	v_cndmask_b32_e32 v2, v2, v6, vcc
	v_lshlrev_b32_e32 v6, 24, v36
	v_lshlrev_b32_e32 v2, 20, v2
	v_and_b32_e32 v6, 0x80000000, v6
	v_lshl_add_u32 v4, v4, 23, v62
	v_or3_b32 v2, v6, v4, v2
.LBB6_981:                              ;   in Loop: Header=BB6_126 Depth=2
	s_or_b64 exec, exec, s[94:95]
.LBB6_982:                              ;   in Loop: Header=BB6_126 Depth=2
	s_or_b64 exec, exec, s[22:23]
.LBB6_983:                              ;   in Loop: Header=BB6_126 Depth=2
	s_or_b64 exec, exec, s[92:93]
	v_cmp_lt_u32_e32 vcc, s79, v26
	s_and_saveexec_b64 s[22:23], vcc
	s_cbranch_execz .LBB6_989
; %bb.984:                              ;   in Loop: Header=BB6_126 Depth=2
	v_cmp_ne_u32_e32 vcc, s53, v31
	v_bfrev_b32_e32 v3, 1
	s_and_saveexec_b64 s[92:93], vcc
	s_cbranch_execz .LBB6_988
; %bb.985:                              ;   in Loop: Header=BB6_126 Depth=2
	v_bfe_u32 v4, v26, 24, 7
	v_cmp_ne_u32_e32 vcc, s54, v4
	v_mov_b32_e32 v3, 0x7f800001
	s_and_saveexec_b64 s[94:95], vcc
	s_cbranch_execz .LBB6_987
; %bb.986:                              ;   in Loop: Header=BB6_126 Depth=2
	v_and_b32_e32 v6, 7, v31
	v_ffbh_u32_e32 v3, v6
	v_min_u32_e32 v8, 32, v3
	v_subrev_u32_e32 v3, 28, v8
	v_lshrrev_b32_e32 v7, 3, v4
	v_cmp_gt_u32_e32 vcc, 8, v4
	v_lshlrev_b64 v[3:4], v3, v[31:32]
	v_sub_u32_e32 v4, 29, v8
	v_and_b32_e32 v3, 7, v3
	v_cndmask_b32_e32 v4, v7, v4, vcc
	v_cndmask_b32_e32 v3, v6, v3, vcc
	v_lshlrev_b32_e32 v6, 24, v31
	v_lshlrev_b32_e32 v3, 20, v3
	v_and_b32_e32 v6, 0x80000000, v6
	v_lshl_add_u32 v4, v4, 23, v62
	v_or3_b32 v3, v6, v4, v3
.LBB6_987:                              ;   in Loop: Header=BB6_126 Depth=2
	s_or_b64 exec, exec, s[94:95]
.LBB6_988:                              ;   in Loop: Header=BB6_126 Depth=2
	s_or_b64 exec, exec, s[92:93]
.LBB6_989:                              ;   in Loop: Header=BB6_126 Depth=2
	s_or_b64 exec, exec, s[22:23]
	v_max_f32_e32 v3, v3, v3
	v_max_f32_e32 v2, v2, v2
	v_min_f32_e32 v3, v2, v3
.LBB6_990:                              ;   in Loop: Header=BB6_126 Depth=2
	v_and_b32_e32 v60, 0x7f800000, v3
	v_cmp_ne_u64_e32 vcc, s[72:73], v[60:61]
	buffer_store_dword v9, off, s[0:3], s33 offset:140 ; 4-byte Folded Spill
                                        ; implicit-def: $vgpr2
                                        ; kill: killed $vgpr2
	s_and_saveexec_b64 s[22:23], vcc
	s_xor_b64 s[92:93], exec, s[22:23]
	s_cbranch_execz .LBB6_1004
; %bb.991:                              ;   in Loop: Header=BB6_126 Depth=2
	v_and_b32_e32 v60, 0x7fffffff, v3
	v_cmp_gt_u64_e32 vcc, s[74:75], v[60:61]
	v_and_b32_sdwa v2, v3, s53 dst_sel:DWORD dst_unused:UNUSED_PAD src0_sel:BYTE_3 src1_sel:DWORD
                                        ; implicit-def: $vgpr4
                                        ; kill: killed $vgpr4
	s_and_saveexec_b64 s[22:23], vcc
	s_xor_b64 s[94:95], exec, s[22:23]
	s_cbranch_execz .LBB6_1001
; %bb.992:                              ;   in Loop: Header=BB6_126 Depth=2
	v_mov_b32_e32 v4, 0
	v_cmp_ne_u32_e32 vcc, 0, v3
	buffer_store_dword v4, off, s[0:3], s33 offset:104 ; 4-byte Folded Spill
	s_and_saveexec_b64 s[30:31], vcc
	s_cbranch_execz .LBB6_1000
; %bb.993:                              ;   in Loop: Header=BB6_126 Depth=2
	v_and_b32_e32 v6, 0x7fffff, v3
	v_bfe_u32 v3, v3, 23, 8
	v_cmp_gt_u32_e64 s[22:23], s64, v3
	v_sub_u32_e32 v4, 0x79, v3
	v_cmp_eq_u32_e32 vcc, 0, v3
	v_cndmask_b32_e64 v4, 0, v4, s[22:23]
	v_mov_b32_e32 v8, 0x78
	v_or_b32_e32 v7, 0x800000, v6
	v_cndmask_b32_e32 v4, v4, v8, vcc
	v_cndmask_b32_e32 v60, v7, v6, vcc
	v_add_u32_e32 v6, 20, v4
	v_lshlrev_b64 v[6:7], v6, -1
	v_add_u32_e32 v8, 19, v4
	v_lshlrev_b64 v[8:9], v8, 1
	v_lshrrev_b64 v[30:31], v4, v[60:61]
	v_bfi_b32 v7, v7, 0, 0
	v_bfi_b32 v6, v6, 0, v60
	v_cmp_eq_u64_e64 s[22:23], v[6:7], v[8:9]
	v_mov_b32_e32 v37, v31
	v_mov_b32_e32 v36, v30
	s_and_saveexec_b64 s[34:35], s[22:23]
; %bb.994:                              ;   in Loop: Header=BB6_126 Depth=2
	v_bfe_u32 v6, v30, 20, 1
	v_add_co_u32_e64 v6, s[22:23], v30, v6
	v_add_co_u32_e64 v36, s[22:23], -1, v6
; %bb.995:                              ;   in Loop: Header=BB6_126 Depth=2
	s_or_b64 exec, exec, s[34:35]
	v_add_u32_e32 v3, 0xffffff81, v3
	v_cndmask_b32_e32 v3, v3, v41, vcc
	v_lshrrev_b32_e32 v6, 23, v30
	v_add3_u32 v6, v4, v3, v6
	v_add_u32_e32 v4, 6, v6
	v_and_b32_e32 v3, 0xfffff, v36
	v_add_u32_e32 v60, v3, v30
	v_cmp_ne_u32_e32 vcc, 0, v4
                                        ; implicit-def: $vgpr30_vgpr31
                                        ; implicit-def: $vgpr3
	s_and_saveexec_b64 s[22:23], vcc
	s_xor_b64 s[22:23], exec, s[22:23]
; %bb.996:                              ;   in Loop: Header=BB6_126 Depth=2
	v_cmp_lt_u64_e32 vcc, s[76:77], v[60:61]
	v_add_u32_e32 v3, 7, v6
	v_cndmask_b32_e32 v3, v4, v3, vcc
	v_cndmask_b32_e64 v4, 0, 1, vcc
	v_lshrrev_b64 v[30:31], v4, v[60:61]
; %bb.997:                              ;   in Loop: Header=BB6_126 Depth=2
	s_andn2_saveexec_b64 s[22:23], s[22:23]
; %bb.998:                              ;   in Loop: Header=BB6_126 Depth=2
	v_mov_b32_e32 v30, v60
	v_bfe_u32 v3, v60, 23, 1
	v_mov_b32_e32 v31, v61
; %bb.999:                              ;   in Loop: Header=BB6_126 Depth=2
	s_or_b64 exec, exec, s[22:23]
	v_lshrrev_b64 v[6:7], 20, v[30:31]
	v_cmp_gt_i32_e32 vcc, 16, v3
	v_cndmask_b32_e32 v7, 0, v7, vcc
	v_cndmask_b32_e32 v6, 7, v6, vcc
	v_cmp_eq_u32_e32 vcc, 0, v3
	v_min_i32_e32 v3, 15, v3
	v_cmp_eq_u64_e64 s[22:23], 0, v[6:7]
	v_lshlrev_b32_e32 v3, 3, v3
	v_and_b32_e32 v3, 0xf8, v3
	v_and_or_b32 v3, v6, 7, v3
	s_and_b64 s[22:23], vcc, s[22:23]
	v_cndmask_b32_e64 v3, v3, 0, s[22:23]
	v_or_b32_e32 v2, v3, v2
	buffer_store_dword v2, off, s[0:3], s33 offset:104 ; 4-byte Folded Spill
.LBB6_1000:                             ;   in Loop: Header=BB6_126 Depth=2
	s_or_b64 exec, exec, s[30:31]
                                        ; implicit-def: $vgpr2
.LBB6_1001:                             ;   in Loop: Header=BB6_126 Depth=2
	s_andn2_saveexec_b64 s[22:23], s[94:95]
	s_cbranch_execz .LBB6_1003
; %bb.1002:                             ;   in Loop: Header=BB6_126 Depth=2
	v_or_b32_e32 v2, 0x7e, v2
	buffer_store_dword v2, off, s[0:3], s33 offset:104 ; 4-byte Folded Spill
.LBB6_1003:                             ;   in Loop: Header=BB6_126 Depth=2
	s_or_b64 exec, exec, s[22:23]
                                        ; implicit-def: $vgpr3
.LBB6_1004:                             ;   in Loop: Header=BB6_126 Depth=2
	s_andn2_saveexec_b64 s[22:23], s[92:93]
	s_cbranch_execz .LBB6_1006
; %bb.1005:                             ;   in Loop: Header=BB6_126 Depth=2
	v_or_b32_sdwa v2, v3, s54 dst_sel:DWORD dst_unused:UNUSED_PAD src0_sel:BYTE_3 src1_sel:DWORD
	buffer_store_dword v2, off, s[0:3], s33 offset:104 ; 4-byte Folded Spill
.LBB6_1006:                             ;   in Loop: Header=BB6_126 Depth=2
	s_or_b64 exec, exec, s[22:23]
	v_mov_b32_e32 v60, v33
	v_mov_b32_e32 v36, v27
	v_mov_b32_e32 v37, v61
	v_cmp_ne_u16_sdwa s[22:23], v33, v61 src0_sel:BYTE_0 src1_sel:DWORD
	s_and_b64 vcc, exec, s[20:21]
	s_mov_b64 s[92:93], -1
                                        ; implicit-def: $vgpr3
	s_cbranch_vccnz .LBB6_1020
; %bb.1007:                             ;   in Loop: Header=BB6_126 Depth=2
	v_mov_b32_e32 v3, 0
	v_mov_b32_e32 v2, 0
	s_and_saveexec_b64 s[92:93], s[22:23]
	s_cbranch_execz .LBB6_1013
; %bb.1008:                             ;   in Loop: Header=BB6_126 Depth=2
	v_cmp_ne_u16_sdwa vcc, v33, s53 src0_sel:BYTE_0 src1_sel:DWORD
	v_bfrev_b32_e32 v2, 1
	s_and_saveexec_b64 s[94:95], vcc
	s_cbranch_execz .LBB6_1012
; %bb.1009:                             ;   in Loop: Header=BB6_126 Depth=2
	v_and_b32_e32 v4, 0x7f, v33
	v_cmp_ne_u32_e32 vcc, s54, v4
	v_mov_b32_e32 v2, 0x7f800001
	s_and_saveexec_b64 s[30:31], vcc
	s_cbranch_execz .LBB6_1011
; %bb.1010:                             ;   in Loop: Header=BB6_126 Depth=2
	v_and_b32_e32 v2, 7, v33
	v_ffbh_u32_e32 v2, v2
	v_min_u32_e32 v2, 32, v2
	v_lshrrev_b32_e32 v6, 3, v4
	v_cmp_gt_u32_e32 vcc, 8, v4
	v_subrev_u32_e32 v4, 28, v2
	v_sub_u32_e32 v2, 29, v2
	v_cndmask_b32_e32 v4, 0, v4, vcc
	v_cndmask_b32_e32 v2, v6, v2, vcc
	v_lshlrev_b64 v[6:7], v4, v[60:61]
	v_lshl_add_u32 v2, v2, 23, v62
	v_lshlrev_b32_e32 v4, 20, v6
	v_lshlrev_b32_e32 v6, 24, v60
	v_and_b32_e32 v4, 0x700000, v4
	v_and_b32_e32 v6, 0x80000000, v6
	v_or3_b32 v2, v6, v2, v4
.LBB6_1011:                             ;   in Loop: Header=BB6_126 Depth=2
	s_or_b64 exec, exec, s[30:31]
.LBB6_1012:                             ;   in Loop: Header=BB6_126 Depth=2
	s_or_b64 exec, exec, s[94:95]
.LBB6_1013:                             ;   in Loop: Header=BB6_126 Depth=2
	s_or_b64 exec, exec, s[92:93]
	v_cmp_ne_u16_sdwa s[94:95], v27, v61 src0_sel:BYTE_0 src1_sel:DWORD
	s_and_saveexec_b64 s[92:93], s[94:95]
	s_cbranch_execz .LBB6_1019
; %bb.1014:                             ;   in Loop: Header=BB6_126 Depth=2
	v_cmp_ne_u16_sdwa vcc, v27, s53 src0_sel:BYTE_0 src1_sel:DWORD
	v_bfrev_b32_e32 v3, 1
	s_and_saveexec_b64 s[94:95], vcc
	s_cbranch_execz .LBB6_1018
; %bb.1015:                             ;   in Loop: Header=BB6_126 Depth=2
	v_and_b32_e32 v4, 0x7f, v27
	v_cmp_ne_u32_e32 vcc, s54, v4
	v_mov_b32_e32 v3, 0x7f800001
	s_and_saveexec_b64 s[30:31], vcc
	s_cbranch_execz .LBB6_1017
; %bb.1016:                             ;   in Loop: Header=BB6_126 Depth=2
	v_and_b32_e32 v3, 7, v27
	v_ffbh_u32_e32 v3, v3
	v_min_u32_e32 v3, 32, v3
	v_lshrrev_b32_e32 v6, 3, v4
	v_cmp_gt_u32_e32 vcc, 8, v4
	v_subrev_u32_e32 v4, 28, v3
	v_sub_u32_e32 v3, 29, v3
	v_cndmask_b32_e32 v6, v6, v3, vcc
	v_cndmask_b32_e32 v3, 0, v4, vcc
	v_lshlrev_b64 v[3:4], v3, v[36:37]
	v_lshlrev_b32_e32 v4, 24, v36
	v_lshlrev_b32_e32 v3, 20, v3
	v_and_b32_e32 v3, 0x700000, v3
	v_and_b32_e32 v4, 0x80000000, v4
	v_lshl_add_u32 v6, v6, 23, v62
	v_or3_b32 v3, v4, v6, v3
.LBB6_1017:                             ;   in Loop: Header=BB6_126 Depth=2
	s_or_b64 exec, exec, s[30:31]
.LBB6_1018:                             ;   in Loop: Header=BB6_126 Depth=2
	s_or_b64 exec, exec, s[94:95]
.LBB6_1019:                             ;   in Loop: Header=BB6_126 Depth=2
	s_or_b64 exec, exec, s[92:93]
	v_max_f32_e32 v3, v3, v3
	v_max_f32_e32 v2, v2, v2
	;; [unrolled: 1-line block ×3, first 2 shown]
	s_mov_b64 s[92:93], 0
.LBB6_1020:                             ;   in Loop: Header=BB6_126 Depth=2
	s_and_b64 vcc, exec, s[92:93]
	s_cbranch_vccz .LBB6_1034
; %bb.1021:                             ;   in Loop: Header=BB6_126 Depth=2
	v_mov_b32_e32 v3, 0
	v_mov_b32_e32 v2, 0
	s_and_saveexec_b64 s[92:93], s[22:23]
	s_cbranch_execz .LBB6_1027
; %bb.1022:                             ;   in Loop: Header=BB6_126 Depth=2
	v_cmp_ne_u16_sdwa s[94:95], v33, s53 src0_sel:BYTE_0 src1_sel:DWORD
	v_bfrev_b32_e32 v2, 1
	s_and_saveexec_b64 s[22:23], s[94:95]
	s_cbranch_execz .LBB6_1026
; %bb.1023:                             ;   in Loop: Header=BB6_126 Depth=2
	v_and_b32_e32 v4, 0x7f, v33
	v_cmp_ne_u32_e32 vcc, s54, v4
	v_mov_b32_e32 v2, 0x7f800001
	s_and_saveexec_b64 s[94:95], vcc
	s_cbranch_execz .LBB6_1025
; %bb.1024:                             ;   in Loop: Header=BB6_126 Depth=2
	v_and_b32_e32 v2, 7, v33
	v_ffbh_u32_e32 v2, v2
	v_min_u32_e32 v2, 32, v2
	v_lshrrev_b32_e32 v6, 3, v4
	v_cmp_gt_u32_e32 vcc, 8, v4
	v_subrev_u32_e32 v4, 28, v2
	v_sub_u32_e32 v2, 29, v2
	v_cndmask_b32_e32 v4, 0, v4, vcc
	v_cndmask_b32_e32 v2, v6, v2, vcc
	v_lshlrev_b64 v[6:7], v4, v[60:61]
	v_lshl_add_u32 v2, v2, 23, v62
	v_lshlrev_b32_e32 v4, 20, v6
	v_lshlrev_b32_e32 v6, 24, v60
	v_and_b32_e32 v4, 0x700000, v4
	v_and_b32_e32 v6, 0x80000000, v6
	v_or3_b32 v2, v6, v2, v4
.LBB6_1025:                             ;   in Loop: Header=BB6_126 Depth=2
	s_or_b64 exec, exec, s[94:95]
.LBB6_1026:                             ;   in Loop: Header=BB6_126 Depth=2
	s_or_b64 exec, exec, s[22:23]
.LBB6_1027:                             ;   in Loop: Header=BB6_126 Depth=2
	s_or_b64 exec, exec, s[92:93]
	v_cmp_ne_u16_sdwa s[92:93], v27, v61 src0_sel:BYTE_0 src1_sel:DWORD
	s_and_saveexec_b64 s[22:23], s[92:93]
	s_cbranch_execz .LBB6_1033
; %bb.1028:                             ;   in Loop: Header=BB6_126 Depth=2
	v_cmp_ne_u16_sdwa s[94:95], v27, s53 src0_sel:BYTE_0 src1_sel:DWORD
	v_bfrev_b32_e32 v3, 1
	s_and_saveexec_b64 s[92:93], s[94:95]
	s_cbranch_execz .LBB6_1032
; %bb.1029:                             ;   in Loop: Header=BB6_126 Depth=2
	v_and_b32_e32 v4, 0x7f, v27
	v_cmp_ne_u32_e32 vcc, s54, v4
	v_mov_b32_e32 v3, 0x7f800001
	s_and_saveexec_b64 s[94:95], vcc
	s_cbranch_execz .LBB6_1031
; %bb.1030:                             ;   in Loop: Header=BB6_126 Depth=2
	v_and_b32_e32 v3, 7, v27
	v_ffbh_u32_e32 v3, v3
	v_min_u32_e32 v3, 32, v3
	v_lshrrev_b32_e32 v6, 3, v4
	v_cmp_gt_u32_e32 vcc, 8, v4
	v_subrev_u32_e32 v4, 28, v3
	v_sub_u32_e32 v3, 29, v3
	v_cndmask_b32_e32 v6, v6, v3, vcc
	v_cndmask_b32_e32 v3, 0, v4, vcc
	v_lshlrev_b64 v[3:4], v3, v[36:37]
	v_lshlrev_b32_e32 v4, 24, v36
	v_lshlrev_b32_e32 v3, 20, v3
	v_and_b32_e32 v3, 0x700000, v3
	v_and_b32_e32 v4, 0x80000000, v4
	v_lshl_add_u32 v6, v6, 23, v62
	v_or3_b32 v3, v4, v6, v3
.LBB6_1031:                             ;   in Loop: Header=BB6_126 Depth=2
	s_or_b64 exec, exec, s[94:95]
.LBB6_1032:                             ;   in Loop: Header=BB6_126 Depth=2
	s_or_b64 exec, exec, s[92:93]
.LBB6_1033:                             ;   in Loop: Header=BB6_126 Depth=2
	s_or_b64 exec, exec, s[22:23]
	v_max_f32_e32 v3, v3, v3
	v_max_f32_e32 v2, v2, v2
	v_min_f32_e32 v3, v2, v3
.LBB6_1034:                             ;   in Loop: Header=BB6_126 Depth=2
	v_and_b32_e32 v6, 0x7f800000, v3
	v_mov_b32_e32 v7, v61
	v_cmp_ne_u64_e32 vcc, s[72:73], v[6:7]
                                        ; implicit-def: $vgpr38
	s_and_saveexec_b64 s[22:23], vcc
	s_xor_b64 s[92:93], exec, s[22:23]
	s_cbranch_execz .LBB6_1048
; %bb.1035:                             ;   in Loop: Header=BB6_126 Depth=2
	v_and_b32_e32 v6, 0x7fffffff, v3
	v_mov_b32_e32 v7, v61
	v_cmp_gt_u64_e32 vcc, s[74:75], v[6:7]
	v_and_b32_sdwa v2, v3, s53 dst_sel:DWORD dst_unused:UNUSED_PAD src0_sel:BYTE_3 src1_sel:DWORD
                                        ; implicit-def: $vgpr38
	s_and_saveexec_b64 s[22:23], vcc
	s_xor_b64 s[94:95], exec, s[22:23]
	s_cbranch_execz .LBB6_1045
; %bb.1036:                             ;   in Loop: Header=BB6_126 Depth=2
	v_mov_b32_e32 v38, 0
	v_cmp_ne_u32_e32 vcc, 0, v3
	s_and_saveexec_b64 s[30:31], vcc
	s_cbranch_execz .LBB6_1044
; %bb.1037:                             ;   in Loop: Header=BB6_126 Depth=2
	v_and_b32_e32 v6, 0x7fffff, v3
	v_bfe_u32 v3, v3, 23, 8
	v_cmp_gt_u32_e64 s[22:23], s64, v3
	v_sub_u32_e32 v4, 0x79, v3
	v_cmp_eq_u32_e32 vcc, 0, v3
	v_cndmask_b32_e64 v4, 0, v4, s[22:23]
	v_mov_b32_e32 v8, 0x78
	v_cndmask_b32_e32 v4, v4, v8, vcc
	v_add_u32_e32 v8, 20, v4
	v_or_b32_e32 v7, 0x800000, v6
	v_lshlrev_b64 v[8:9], v8, -1
	v_add_u32_e32 v30, 19, v4
	v_cndmask_b32_e32 v6, v7, v6, vcc
	v_lshlrev_b64 v[30:31], v30, 1
	v_mov_b32_e32 v7, v61
	v_bfi_b32 v9, v9, 0, 0
	v_bfi_b32 v8, v8, 0, v6
	v_cmp_eq_u64_e64 s[22:23], v[8:9], v[30:31]
	v_lshrrev_b64 v[30:31], v4, v[6:7]
	v_mov_b32_e32 v38, v31
	v_mov_b32_e32 v37, v30
	s_and_saveexec_b64 s[34:35], s[22:23]
; %bb.1038:                             ;   in Loop: Header=BB6_126 Depth=2
	v_bfe_u32 v6, v30, 20, 1
	v_add_co_u32_e64 v6, s[22:23], v30, v6
	v_add_co_u32_e64 v37, s[22:23], -1, v6
; %bb.1039:                             ;   in Loop: Header=BB6_126 Depth=2
	s_or_b64 exec, exec, s[34:35]
	v_add_u32_e32 v3, 0xffffff81, v3
	v_cndmask_b32_e32 v3, v3, v41, vcc
	v_lshrrev_b32_e32 v6, 23, v30
	v_add3_u32 v6, v4, v3, v6
	v_add_u32_e32 v4, 6, v6
	v_and_b32_e32 v3, 0xfffff, v37
	v_add_u32_e32 v30, v3, v30
	v_mov_b32_e32 v31, v61
	v_cmp_ne_u32_e32 vcc, 0, v4
                                        ; implicit-def: $vgpr3
	s_and_saveexec_b64 s[22:23], vcc
	s_xor_b64 s[22:23], exec, s[22:23]
; %bb.1040:                             ;   in Loop: Header=BB6_126 Depth=2
	v_cmp_lt_u64_e32 vcc, s[76:77], v[30:31]
	v_add_u32_e32 v3, 7, v6
	v_cndmask_b32_e32 v3, v4, v3, vcc
	v_cndmask_b32_e64 v4, 0, 1, vcc
	v_lshrrev_b64 v[30:31], v4, v[30:31]
; %bb.1041:                             ;   in Loop: Header=BB6_126 Depth=2
	s_andn2_saveexec_b64 s[22:23], s[22:23]
; %bb.1042:                             ;   in Loop: Header=BB6_126 Depth=2
	v_bfe_u32 v3, v30, 23, 1
; %bb.1043:                             ;   in Loop: Header=BB6_126 Depth=2
	s_or_b64 exec, exec, s[22:23]
	v_lshrrev_b64 v[6:7], 20, v[30:31]
	v_cmp_gt_i32_e32 vcc, 16, v3
	v_cndmask_b32_e32 v7, 0, v7, vcc
	v_cndmask_b32_e32 v6, 7, v6, vcc
	v_cmp_eq_u32_e32 vcc, 0, v3
	v_min_i32_e32 v3, 15, v3
	v_cmp_eq_u64_e64 s[22:23], 0, v[6:7]
	v_lshlrev_b32_e32 v3, 3, v3
	v_and_b32_e32 v3, 0xf8, v3
	v_and_or_b32 v3, v6, 7, v3
	s_and_b64 s[22:23], vcc, s[22:23]
	v_cndmask_b32_e64 v3, v3, 0, s[22:23]
	v_or_b32_e32 v38, v3, v2
.LBB6_1044:                             ;   in Loop: Header=BB6_126 Depth=2
	s_or_b64 exec, exec, s[30:31]
                                        ; implicit-def: $vgpr2
.LBB6_1045:                             ;   in Loop: Header=BB6_126 Depth=2
	s_andn2_saveexec_b64 s[22:23], s[94:95]
; %bb.1046:                             ;   in Loop: Header=BB6_126 Depth=2
	v_or_b32_e32 v38, 0x7e, v2
; %bb.1047:                             ;   in Loop: Header=BB6_126 Depth=2
	s_or_b64 exec, exec, s[22:23]
                                        ; implicit-def: $vgpr3
.LBB6_1048:                             ;   in Loop: Header=BB6_126 Depth=2
	s_andn2_saveexec_b64 s[22:23], s[92:93]
; %bb.1049:                             ;   in Loop: Header=BB6_126 Depth=2
	v_or_b32_sdwa v38, v3, s54 dst_sel:DWORD dst_unused:UNUSED_PAD src0_sel:BYTE_3 src1_sel:DWORD
; %bb.1050:                             ;   in Loop: Header=BB6_126 Depth=2
	s_or_b64 exec, exec, s[22:23]
	v_lshrrev_b16_e32 v37, 8, v60
	v_lshrrev_b16_e32 v31, 8, v36
	v_cmp_ne_u16_e64 s[22:23], 0, v37
	s_and_b64 vcc, exec, s[20:21]
	s_mov_b64 s[92:93], -1
                                        ; implicit-def: $vgpr3
	s_cbranch_vccnz .LBB6_1064
; %bb.1051:                             ;   in Loop: Header=BB6_126 Depth=2
	v_mov_b32_e32 v3, 0
	v_mov_b32_e32 v2, 0
	s_and_saveexec_b64 s[92:93], s[22:23]
	s_cbranch_execz .LBB6_1057
; %bb.1052:                             ;   in Loop: Header=BB6_126 Depth=2
	v_cmp_ne_u16_e32 vcc, s53, v37
	v_bfrev_b32_e32 v2, 1
	s_and_saveexec_b64 s[94:95], vcc
	s_cbranch_execz .LBB6_1056
; %bb.1053:                             ;   in Loop: Header=BB6_126 Depth=2
	v_and_b32_e32 v4, 0x7f, v37
	v_cmp_ne_u32_e32 vcc, s54, v4
	v_mov_b32_e32 v2, 0x7f800001
	s_and_saveexec_b64 s[30:31], vcc
	s_cbranch_execz .LBB6_1055
; %bb.1054:                             ;   in Loop: Header=BB6_126 Depth=2
	v_and_b32_e32 v2, 7, v37
	v_lshrrev_b32_e32 v8, 3, v4
	v_cmp_gt_u32_e32 vcc, 8, v4
	v_ffbh_u32_e32 v4, v2
	v_min_u32_e32 v4, 32, v4
	v_subrev_u32_e32 v6, 28, v4
	v_lshlrev_b64 v[6:7], v6, v[37:38]
	v_sub_u32_e32 v4, 29, v4
	v_and_b32_e32 v6, 7, v6
	v_cndmask_b32_e32 v4, v8, v4, vcc
	v_cndmask_b32_e32 v2, v2, v6, vcc
	v_lshlrev_b32_e32 v6, 16, v60
	v_lshlrev_b32_e32 v2, 20, v2
	v_and_b32_e32 v6, 0x80000000, v6
	v_lshl_add_u32 v4, v4, 23, v62
	v_or3_b32 v2, v6, v4, v2
.LBB6_1055:                             ;   in Loop: Header=BB6_126 Depth=2
	s_or_b64 exec, exec, s[30:31]
.LBB6_1056:                             ;   in Loop: Header=BB6_126 Depth=2
	s_or_b64 exec, exec, s[94:95]
.LBB6_1057:                             ;   in Loop: Header=BB6_126 Depth=2
	s_or_b64 exec, exec, s[92:93]
	v_cmp_ne_u16_e32 vcc, 0, v31
	s_and_saveexec_b64 s[92:93], vcc
	s_cbranch_execz .LBB6_1063
; %bb.1058:                             ;   in Loop: Header=BB6_126 Depth=2
	v_cmp_ne_u16_e32 vcc, s53, v31
	v_bfrev_b32_e32 v3, 1
	s_and_saveexec_b64 s[94:95], vcc
	s_cbranch_execz .LBB6_1062
; %bb.1059:                             ;   in Loop: Header=BB6_126 Depth=2
	v_and_b32_e32 v4, 0x7f, v31
	v_cmp_ne_u32_e32 vcc, s54, v4
	v_mov_b32_e32 v3, 0x7f800001
	s_and_saveexec_b64 s[30:31], vcc
	s_cbranch_execz .LBB6_1061
; %bb.1060:                             ;   in Loop: Header=BB6_126 Depth=2
	v_and_b32_e32 v6, 7, v31
	v_ffbh_u32_e32 v3, v6
	v_min_u32_e32 v8, 32, v3
	v_subrev_u32_e32 v3, 28, v8
	v_lshrrev_b32_e32 v7, 3, v4
	v_cmp_gt_u32_e32 vcc, 8, v4
	v_lshlrev_b64 v[3:4], v3, v[31:32]
	v_sub_u32_e32 v4, 29, v8
	v_and_b32_e32 v3, 7, v3
	v_cndmask_b32_e32 v4, v7, v4, vcc
	v_cndmask_b32_e32 v3, v6, v3, vcc
	v_lshlrev_b32_e32 v6, 16, v36
	v_lshlrev_b32_e32 v3, 20, v3
	v_and_b32_e32 v6, 0x80000000, v6
	v_lshl_add_u32 v4, v4, 23, v62
	v_or3_b32 v3, v6, v4, v3
.LBB6_1061:                             ;   in Loop: Header=BB6_126 Depth=2
	s_or_b64 exec, exec, s[30:31]
.LBB6_1062:                             ;   in Loop: Header=BB6_126 Depth=2
	s_or_b64 exec, exec, s[94:95]
.LBB6_1063:                             ;   in Loop: Header=BB6_126 Depth=2
	s_or_b64 exec, exec, s[92:93]
	v_max_f32_e32 v3, v3, v3
	v_max_f32_e32 v2, v2, v2
	;; [unrolled: 1-line block ×3, first 2 shown]
	s_mov_b64 s[92:93], 0
.LBB6_1064:                             ;   in Loop: Header=BB6_126 Depth=2
	s_and_b64 vcc, exec, s[92:93]
	s_cbranch_vccz .LBB6_1078
; %bb.1065:                             ;   in Loop: Header=BB6_126 Depth=2
	v_mov_b32_e32 v3, 0
	v_mov_b32_e32 v2, 0
	s_and_saveexec_b64 s[92:93], s[22:23]
	s_cbranch_execz .LBB6_1071
; %bb.1066:                             ;   in Loop: Header=BB6_126 Depth=2
	v_cmp_ne_u16_e32 vcc, s53, v37
	v_bfrev_b32_e32 v2, 1
	s_and_saveexec_b64 s[22:23], vcc
	s_cbranch_execz .LBB6_1070
; %bb.1067:                             ;   in Loop: Header=BB6_126 Depth=2
	v_and_b32_e32 v4, 0x7f, v37
	v_cmp_ne_u32_e32 vcc, s54, v4
	v_mov_b32_e32 v2, 0x7f800001
	s_and_saveexec_b64 s[94:95], vcc
	s_cbranch_execz .LBB6_1069
; %bb.1068:                             ;   in Loop: Header=BB6_126 Depth=2
	v_and_b32_e32 v2, 7, v37
	v_lshrrev_b32_e32 v8, 3, v4
	v_cmp_gt_u32_e32 vcc, 8, v4
	v_ffbh_u32_e32 v4, v2
	v_min_u32_e32 v4, 32, v4
	v_subrev_u32_e32 v6, 28, v4
	v_lshlrev_b64 v[6:7], v6, v[37:38]
	v_sub_u32_e32 v4, 29, v4
	v_and_b32_e32 v6, 7, v6
	v_cndmask_b32_e32 v4, v8, v4, vcc
	v_cndmask_b32_e32 v2, v2, v6, vcc
	v_lshlrev_b32_e32 v6, 16, v60
	v_lshlrev_b32_e32 v2, 20, v2
	v_and_b32_e32 v6, 0x80000000, v6
	v_lshl_add_u32 v4, v4, 23, v62
	v_or3_b32 v2, v6, v4, v2
.LBB6_1069:                             ;   in Loop: Header=BB6_126 Depth=2
	s_or_b64 exec, exec, s[94:95]
.LBB6_1070:                             ;   in Loop: Header=BB6_126 Depth=2
	s_or_b64 exec, exec, s[22:23]
.LBB6_1071:                             ;   in Loop: Header=BB6_126 Depth=2
	s_or_b64 exec, exec, s[92:93]
	v_cmp_ne_u16_e32 vcc, 0, v31
	s_and_saveexec_b64 s[22:23], vcc
	s_cbranch_execz .LBB6_1077
; %bb.1072:                             ;   in Loop: Header=BB6_126 Depth=2
	v_cmp_ne_u16_e32 vcc, s53, v31
	v_bfrev_b32_e32 v3, 1
	s_and_saveexec_b64 s[92:93], vcc
	s_cbranch_execz .LBB6_1076
; %bb.1073:                             ;   in Loop: Header=BB6_126 Depth=2
	v_and_b32_e32 v4, 0x7f, v31
	v_cmp_ne_u32_e32 vcc, s54, v4
	v_mov_b32_e32 v3, 0x7f800001
	s_and_saveexec_b64 s[94:95], vcc
	s_cbranch_execz .LBB6_1075
; %bb.1074:                             ;   in Loop: Header=BB6_126 Depth=2
	v_and_b32_e32 v6, 7, v31
	v_ffbh_u32_e32 v3, v6
	v_min_u32_e32 v8, 32, v3
	v_subrev_u32_e32 v3, 28, v8
	v_lshrrev_b32_e32 v7, 3, v4
	v_cmp_gt_u32_e32 vcc, 8, v4
	v_lshlrev_b64 v[3:4], v3, v[31:32]
	v_sub_u32_e32 v4, 29, v8
	v_and_b32_e32 v3, 7, v3
	v_cndmask_b32_e32 v4, v7, v4, vcc
	v_cndmask_b32_e32 v3, v6, v3, vcc
	v_lshlrev_b32_e32 v6, 16, v36
	v_lshlrev_b32_e32 v3, 20, v3
	v_and_b32_e32 v6, 0x80000000, v6
	v_lshl_add_u32 v4, v4, 23, v62
	v_or3_b32 v3, v6, v4, v3
.LBB6_1075:                             ;   in Loop: Header=BB6_126 Depth=2
	s_or_b64 exec, exec, s[94:95]
.LBB6_1076:                             ;   in Loop: Header=BB6_126 Depth=2
	s_or_b64 exec, exec, s[92:93]
.LBB6_1077:                             ;   in Loop: Header=BB6_126 Depth=2
	s_or_b64 exec, exec, s[22:23]
	v_max_f32_e32 v3, v3, v3
	v_max_f32_e32 v2, v2, v2
	v_min_f32_e32 v3, v2, v3
.LBB6_1078:                             ;   in Loop: Header=BB6_126 Depth=2
	v_and_b32_e32 v60, 0x7f800000, v3
	v_cmp_ne_u64_e32 vcc, s[72:73], v[60:61]
                                        ; implicit-def: $vgpr9
	s_and_saveexec_b64 s[22:23], vcc
	s_xor_b64 s[92:93], exec, s[22:23]
	s_cbranch_execz .LBB6_1092
; %bb.1079:                             ;   in Loop: Header=BB6_126 Depth=2
	v_and_b32_e32 v60, 0x7fffffff, v3
	v_cmp_gt_u64_e32 vcc, s[74:75], v[60:61]
	v_and_b32_sdwa v2, v3, s53 dst_sel:DWORD dst_unused:UNUSED_PAD src0_sel:BYTE_3 src1_sel:DWORD
                                        ; implicit-def: $vgpr9
	s_and_saveexec_b64 s[22:23], vcc
	s_xor_b64 s[94:95], exec, s[22:23]
	s_cbranch_execz .LBB6_1089
; %bb.1080:                             ;   in Loop: Header=BB6_126 Depth=2
	v_mov_b32_e32 v9, 0
	v_cmp_ne_u32_e32 vcc, 0, v3
	s_and_saveexec_b64 s[30:31], vcc
	s_cbranch_execz .LBB6_1088
; %bb.1081:                             ;   in Loop: Header=BB6_126 Depth=2
	v_and_b32_e32 v6, 0x7fffff, v3
	v_bfe_u32 v3, v3, 23, 8
	v_cmp_gt_u32_e64 s[22:23], s64, v3
	v_sub_u32_e32 v4, 0x79, v3
	v_cmp_eq_u32_e32 vcc, 0, v3
	v_cndmask_b32_e64 v4, 0, v4, s[22:23]
	v_mov_b32_e32 v8, 0x78
	v_or_b32_e32 v7, 0x800000, v6
	v_cndmask_b32_e32 v4, v4, v8, vcc
	v_cndmask_b32_e32 v60, v7, v6, vcc
	v_add_u32_e32 v6, 20, v4
	v_lshlrev_b64 v[6:7], v6, -1
	v_add_u32_e32 v8, 19, v4
	v_lshlrev_b64 v[8:9], v8, 1
	v_lshrrev_b64 v[30:31], v4, v[60:61]
	v_bfi_b32 v7, v7, 0, 0
	v_bfi_b32 v6, v6, 0, v60
	v_cmp_eq_u64_e64 s[22:23], v[6:7], v[8:9]
	v_mov_b32_e32 v37, v31
	v_mov_b32_e32 v36, v30
	s_and_saveexec_b64 s[34:35], s[22:23]
; %bb.1082:                             ;   in Loop: Header=BB6_126 Depth=2
	v_bfe_u32 v6, v30, 20, 1
	v_add_co_u32_e64 v6, s[22:23], v30, v6
	v_add_co_u32_e64 v36, s[22:23], -1, v6
; %bb.1083:                             ;   in Loop: Header=BB6_126 Depth=2
	s_or_b64 exec, exec, s[34:35]
	v_add_u32_e32 v3, 0xffffff81, v3
	v_cndmask_b32_e32 v3, v3, v41, vcc
	v_lshrrev_b32_e32 v6, 23, v30
	v_add3_u32 v6, v4, v3, v6
	v_add_u32_e32 v4, 6, v6
	v_and_b32_e32 v3, 0xfffff, v36
	v_add_u32_e32 v60, v3, v30
	v_cmp_ne_u32_e32 vcc, 0, v4
                                        ; implicit-def: $vgpr30_vgpr31
                                        ; implicit-def: $vgpr3
	s_and_saveexec_b64 s[22:23], vcc
	s_xor_b64 s[22:23], exec, s[22:23]
; %bb.1084:                             ;   in Loop: Header=BB6_126 Depth=2
	v_cmp_lt_u64_e32 vcc, s[76:77], v[60:61]
	v_add_u32_e32 v3, 7, v6
	v_cndmask_b32_e32 v3, v4, v3, vcc
	v_cndmask_b32_e64 v4, 0, 1, vcc
	v_lshrrev_b64 v[30:31], v4, v[60:61]
; %bb.1085:                             ;   in Loop: Header=BB6_126 Depth=2
	s_andn2_saveexec_b64 s[22:23], s[22:23]
; %bb.1086:                             ;   in Loop: Header=BB6_126 Depth=2
	v_mov_b32_e32 v30, v60
	v_bfe_u32 v3, v60, 23, 1
	v_mov_b32_e32 v31, v61
; %bb.1087:                             ;   in Loop: Header=BB6_126 Depth=2
	s_or_b64 exec, exec, s[22:23]
	v_lshrrev_b64 v[6:7], 20, v[30:31]
	v_cmp_gt_i32_e32 vcc, 16, v3
	v_cndmask_b32_e32 v7, 0, v7, vcc
	v_cndmask_b32_e32 v6, 7, v6, vcc
	v_cmp_eq_u32_e32 vcc, 0, v3
	v_min_i32_e32 v3, 15, v3
	v_cmp_eq_u64_e64 s[22:23], 0, v[6:7]
	v_lshlrev_b32_e32 v3, 3, v3
	v_and_b32_e32 v3, 0xf8, v3
	v_and_or_b32 v3, v6, 7, v3
	s_and_b64 s[22:23], vcc, s[22:23]
	v_cndmask_b32_e64 v3, v3, 0, s[22:23]
	v_or_b32_e32 v9, v3, v2
.LBB6_1088:                             ;   in Loop: Header=BB6_126 Depth=2
	s_or_b64 exec, exec, s[30:31]
                                        ; implicit-def: $vgpr2
.LBB6_1089:                             ;   in Loop: Header=BB6_126 Depth=2
	s_andn2_saveexec_b64 s[22:23], s[94:95]
; %bb.1090:                             ;   in Loop: Header=BB6_126 Depth=2
	v_or_b32_e32 v9, 0x7e, v2
; %bb.1091:                             ;   in Loop: Header=BB6_126 Depth=2
	s_or_b64 exec, exec, s[22:23]
                                        ; implicit-def: $vgpr3
.LBB6_1092:                             ;   in Loop: Header=BB6_126 Depth=2
	s_andn2_saveexec_b64 s[22:23], s[92:93]
; %bb.1093:                             ;   in Loop: Header=BB6_126 Depth=2
	v_or_b32_sdwa v9, v3, s54 dst_sel:DWORD dst_unused:UNUSED_PAD src0_sel:BYTE_3 src1_sel:DWORD
; %bb.1094:                             ;   in Loop: Header=BB6_126 Depth=2
	s_or_b64 exec, exec, s[22:23]
	v_lshrrev_b32_e32 v36, 16, v33
	v_lshrrev_b32_e32 v31, 16, v27
	v_cmp_ne_u16_sdwa s[22:23], v36, v61 src0_sel:BYTE_0 src1_sel:DWORD
	s_and_b64 vcc, exec, s[20:21]
	s_mov_b64 s[92:93], -1
                                        ; implicit-def: $vgpr3
	s_cbranch_vccnz .LBB6_1108
; %bb.1095:                             ;   in Loop: Header=BB6_126 Depth=2
	v_mov_b32_e32 v3, 0
	v_mov_b32_e32 v2, 0
	s_and_saveexec_b64 s[92:93], s[22:23]
	s_cbranch_execz .LBB6_1101
; %bb.1096:                             ;   in Loop: Header=BB6_126 Depth=2
	v_cmp_ne_u16_sdwa vcc, v36, s53 src0_sel:BYTE_0 src1_sel:DWORD
	v_bfrev_b32_e32 v2, 1
	s_and_saveexec_b64 s[94:95], vcc
	s_cbranch_execz .LBB6_1100
; %bb.1097:                             ;   in Loop: Header=BB6_126 Depth=2
	v_bfe_u32 v4, v33, 16, 7
	v_cmp_ne_u32_e32 vcc, s54, v4
	v_mov_b32_e32 v2, 0x7f800001
	s_and_saveexec_b64 s[30:31], vcc
	s_cbranch_execz .LBB6_1099
; %bb.1098:                             ;   in Loop: Header=BB6_126 Depth=2
	v_and_b32_e32 v2, 7, v36
	v_lshrrev_b32_e32 v8, 3, v4
	v_cmp_gt_u32_e32 vcc, 8, v4
	v_ffbh_u32_e32 v4, v2
	v_min_u32_e32 v4, 32, v4
	v_subrev_u32_e32 v6, 28, v4
	v_lshlrev_b64 v[6:7], v6, v[36:37]
	v_sub_u32_e32 v4, 29, v4
	v_and_b32_e32 v6, 7, v6
	v_cndmask_b32_e32 v4, v8, v4, vcc
	v_cndmask_b32_e32 v2, v2, v6, vcc
	v_lshlrev_b32_e32 v6, 24, v36
	v_lshlrev_b32_e32 v2, 20, v2
	v_and_b32_e32 v6, 0x80000000, v6
	v_lshl_add_u32 v4, v4, 23, v62
	v_or3_b32 v2, v6, v4, v2
.LBB6_1099:                             ;   in Loop: Header=BB6_126 Depth=2
	s_or_b64 exec, exec, s[30:31]
.LBB6_1100:                             ;   in Loop: Header=BB6_126 Depth=2
	s_or_b64 exec, exec, s[94:95]
.LBB6_1101:                             ;   in Loop: Header=BB6_126 Depth=2
	s_or_b64 exec, exec, s[92:93]
	v_cmp_ne_u16_sdwa s[94:95], v31, v61 src0_sel:BYTE_0 src1_sel:DWORD
	s_and_saveexec_b64 s[92:93], s[94:95]
	s_cbranch_execz .LBB6_1107
; %bb.1102:                             ;   in Loop: Header=BB6_126 Depth=2
	v_cmp_ne_u16_sdwa vcc, v31, s53 src0_sel:BYTE_0 src1_sel:DWORD
	v_bfrev_b32_e32 v3, 1
	s_and_saveexec_b64 s[94:95], vcc
	s_cbranch_execz .LBB6_1106
; %bb.1103:                             ;   in Loop: Header=BB6_126 Depth=2
	v_bfe_u32 v4, v27, 16, 7
	v_cmp_ne_u32_e32 vcc, s54, v4
	v_mov_b32_e32 v3, 0x7f800001
	s_and_saveexec_b64 s[30:31], vcc
	s_cbranch_execz .LBB6_1105
; %bb.1104:                             ;   in Loop: Header=BB6_126 Depth=2
	v_and_b32_e32 v6, 7, v31
	v_ffbh_u32_e32 v3, v6
	v_min_u32_e32 v8, 32, v3
	v_subrev_u32_e32 v3, 28, v8
	v_lshrrev_b32_e32 v7, 3, v4
	v_cmp_gt_u32_e32 vcc, 8, v4
	v_lshlrev_b64 v[3:4], v3, v[31:32]
	v_sub_u32_e32 v4, 29, v8
	v_and_b32_e32 v3, 7, v3
	v_cndmask_b32_e32 v4, v7, v4, vcc
	v_cndmask_b32_e32 v3, v6, v3, vcc
	v_lshlrev_b32_e32 v6, 24, v31
	v_lshlrev_b32_e32 v3, 20, v3
	v_and_b32_e32 v6, 0x80000000, v6
	v_lshl_add_u32 v4, v4, 23, v62
	v_or3_b32 v3, v6, v4, v3
.LBB6_1105:                             ;   in Loop: Header=BB6_126 Depth=2
	s_or_b64 exec, exec, s[30:31]
.LBB6_1106:                             ;   in Loop: Header=BB6_126 Depth=2
	s_or_b64 exec, exec, s[94:95]
.LBB6_1107:                             ;   in Loop: Header=BB6_126 Depth=2
	s_or_b64 exec, exec, s[92:93]
	v_max_f32_e32 v3, v3, v3
	v_max_f32_e32 v2, v2, v2
	;; [unrolled: 1-line block ×3, first 2 shown]
	s_mov_b64 s[92:93], 0
.LBB6_1108:                             ;   in Loop: Header=BB6_126 Depth=2
	s_and_b64 vcc, exec, s[92:93]
	s_cbranch_vccz .LBB6_1122
; %bb.1109:                             ;   in Loop: Header=BB6_126 Depth=2
	v_mov_b32_e32 v3, 0
	v_mov_b32_e32 v2, 0
	s_and_saveexec_b64 s[92:93], s[22:23]
	s_cbranch_execz .LBB6_1115
; %bb.1110:                             ;   in Loop: Header=BB6_126 Depth=2
	v_cmp_ne_u16_sdwa s[94:95], v36, s53 src0_sel:BYTE_0 src1_sel:DWORD
	v_bfrev_b32_e32 v2, 1
	s_and_saveexec_b64 s[22:23], s[94:95]
	s_cbranch_execz .LBB6_1114
; %bb.1111:                             ;   in Loop: Header=BB6_126 Depth=2
	v_bfe_u32 v4, v33, 16, 7
	v_cmp_ne_u32_e32 vcc, s54, v4
	v_mov_b32_e32 v2, 0x7f800001
	s_and_saveexec_b64 s[94:95], vcc
	s_cbranch_execz .LBB6_1113
; %bb.1112:                             ;   in Loop: Header=BB6_126 Depth=2
	v_and_b32_e32 v2, 7, v36
	v_lshrrev_b32_e32 v8, 3, v4
	v_cmp_gt_u32_e32 vcc, 8, v4
	v_ffbh_u32_e32 v4, v2
	v_min_u32_e32 v4, 32, v4
	v_subrev_u32_e32 v6, 28, v4
	v_lshlrev_b64 v[6:7], v6, v[36:37]
	v_sub_u32_e32 v4, 29, v4
	v_and_b32_e32 v6, 7, v6
	v_cndmask_b32_e32 v4, v8, v4, vcc
	v_cndmask_b32_e32 v2, v2, v6, vcc
	v_lshlrev_b32_e32 v6, 24, v36
	v_lshlrev_b32_e32 v2, 20, v2
	v_and_b32_e32 v6, 0x80000000, v6
	v_lshl_add_u32 v4, v4, 23, v62
	v_or3_b32 v2, v6, v4, v2
.LBB6_1113:                             ;   in Loop: Header=BB6_126 Depth=2
	s_or_b64 exec, exec, s[94:95]
.LBB6_1114:                             ;   in Loop: Header=BB6_126 Depth=2
	s_or_b64 exec, exec, s[22:23]
.LBB6_1115:                             ;   in Loop: Header=BB6_126 Depth=2
	s_or_b64 exec, exec, s[92:93]
	v_cmp_ne_u16_sdwa s[92:93], v31, v61 src0_sel:BYTE_0 src1_sel:DWORD
	s_and_saveexec_b64 s[22:23], s[92:93]
	s_cbranch_execz .LBB6_1121
; %bb.1116:                             ;   in Loop: Header=BB6_126 Depth=2
	v_cmp_ne_u16_sdwa s[94:95], v31, s53 src0_sel:BYTE_0 src1_sel:DWORD
	v_bfrev_b32_e32 v3, 1
	s_and_saveexec_b64 s[92:93], s[94:95]
	s_cbranch_execz .LBB6_1120
; %bb.1117:                             ;   in Loop: Header=BB6_126 Depth=2
	v_bfe_u32 v4, v27, 16, 7
	v_cmp_ne_u32_e32 vcc, s54, v4
	v_mov_b32_e32 v3, 0x7f800001
	s_and_saveexec_b64 s[94:95], vcc
	s_cbranch_execz .LBB6_1119
; %bb.1118:                             ;   in Loop: Header=BB6_126 Depth=2
	v_and_b32_e32 v6, 7, v31
	v_ffbh_u32_e32 v3, v6
	v_min_u32_e32 v8, 32, v3
	v_subrev_u32_e32 v3, 28, v8
	v_lshrrev_b32_e32 v7, 3, v4
	v_cmp_gt_u32_e32 vcc, 8, v4
	v_lshlrev_b64 v[3:4], v3, v[31:32]
	v_sub_u32_e32 v4, 29, v8
	v_and_b32_e32 v3, 7, v3
	v_cndmask_b32_e32 v4, v7, v4, vcc
	v_cndmask_b32_e32 v3, v6, v3, vcc
	v_lshlrev_b32_e32 v6, 24, v31
	v_lshlrev_b32_e32 v3, 20, v3
	v_and_b32_e32 v6, 0x80000000, v6
	v_lshl_add_u32 v4, v4, 23, v62
	v_or3_b32 v3, v6, v4, v3
.LBB6_1119:                             ;   in Loop: Header=BB6_126 Depth=2
	s_or_b64 exec, exec, s[94:95]
.LBB6_1120:                             ;   in Loop: Header=BB6_126 Depth=2
	s_or_b64 exec, exec, s[92:93]
.LBB6_1121:                             ;   in Loop: Header=BB6_126 Depth=2
	s_or_b64 exec, exec, s[22:23]
	v_max_f32_e32 v3, v3, v3
	v_max_f32_e32 v2, v2, v2
	v_min_f32_e32 v3, v2, v3
.LBB6_1122:                             ;   in Loop: Header=BB6_126 Depth=2
	v_and_b32_e32 v60, 0x7f800000, v3
	v_cmp_ne_u64_e32 vcc, s[72:73], v[60:61]
	buffer_store_dword v9, off, s[0:3], s33 offset:148 ; 4-byte Folded Spill
                                        ; implicit-def: $vgpr9
	s_and_saveexec_b64 s[22:23], vcc
	s_xor_b64 s[92:93], exec, s[22:23]
	s_cbranch_execz .LBB6_1136
; %bb.1123:                             ;   in Loop: Header=BB6_126 Depth=2
	v_and_b32_e32 v60, 0x7fffffff, v3
	v_cmp_gt_u64_e32 vcc, s[74:75], v[60:61]
	v_and_b32_sdwa v2, v3, s53 dst_sel:DWORD dst_unused:UNUSED_PAD src0_sel:BYTE_3 src1_sel:DWORD
                                        ; implicit-def: $vgpr9
	s_and_saveexec_b64 s[22:23], vcc
	s_xor_b64 s[94:95], exec, s[22:23]
	s_cbranch_execz .LBB6_1133
; %bb.1124:                             ;   in Loop: Header=BB6_126 Depth=2
	v_mov_b32_e32 v9, 0
	v_cmp_ne_u32_e32 vcc, 0, v3
	s_and_saveexec_b64 s[30:31], vcc
	s_cbranch_execz .LBB6_1132
; %bb.1125:                             ;   in Loop: Header=BB6_126 Depth=2
	v_and_b32_e32 v6, 0x7fffff, v3
	v_bfe_u32 v3, v3, 23, 8
	v_cmp_gt_u32_e64 s[22:23], s64, v3
	v_sub_u32_e32 v4, 0x79, v3
	v_cmp_eq_u32_e32 vcc, 0, v3
	v_cndmask_b32_e64 v4, 0, v4, s[22:23]
	v_mov_b32_e32 v8, 0x78
	v_or_b32_e32 v7, 0x800000, v6
	v_cndmask_b32_e32 v4, v4, v8, vcc
	v_cndmask_b32_e32 v60, v7, v6, vcc
	v_add_u32_e32 v6, 20, v4
	v_lshlrev_b64 v[6:7], v6, -1
	v_add_u32_e32 v8, 19, v4
	v_lshlrev_b64 v[8:9], v8, 1
	v_lshrrev_b64 v[30:31], v4, v[60:61]
	v_bfi_b32 v7, v7, 0, 0
	v_bfi_b32 v6, v6, 0, v60
	v_cmp_eq_u64_e64 s[22:23], v[6:7], v[8:9]
	v_mov_b32_e32 v37, v31
	v_mov_b32_e32 v36, v30
	s_and_saveexec_b64 s[34:35], s[22:23]
; %bb.1126:                             ;   in Loop: Header=BB6_126 Depth=2
	v_bfe_u32 v6, v30, 20, 1
	v_add_co_u32_e64 v6, s[22:23], v30, v6
	v_add_co_u32_e64 v36, s[22:23], -1, v6
; %bb.1127:                             ;   in Loop: Header=BB6_126 Depth=2
	s_or_b64 exec, exec, s[34:35]
	v_add_u32_e32 v3, 0xffffff81, v3
	v_cndmask_b32_e32 v3, v3, v41, vcc
	v_lshrrev_b32_e32 v6, 23, v30
	v_add3_u32 v6, v4, v3, v6
	v_add_u32_e32 v4, 6, v6
	v_and_b32_e32 v3, 0xfffff, v36
	v_add_u32_e32 v60, v3, v30
	v_cmp_ne_u32_e32 vcc, 0, v4
                                        ; implicit-def: $vgpr30_vgpr31
                                        ; implicit-def: $vgpr3
	s_and_saveexec_b64 s[22:23], vcc
	s_xor_b64 s[22:23], exec, s[22:23]
; %bb.1128:                             ;   in Loop: Header=BB6_126 Depth=2
	v_cmp_lt_u64_e32 vcc, s[76:77], v[60:61]
	v_add_u32_e32 v3, 7, v6
	v_cndmask_b32_e32 v3, v4, v3, vcc
	v_cndmask_b32_e64 v4, 0, 1, vcc
	v_lshrrev_b64 v[30:31], v4, v[60:61]
; %bb.1129:                             ;   in Loop: Header=BB6_126 Depth=2
	s_andn2_saveexec_b64 s[22:23], s[22:23]
; %bb.1130:                             ;   in Loop: Header=BB6_126 Depth=2
	v_mov_b32_e32 v30, v60
	v_bfe_u32 v3, v60, 23, 1
	v_mov_b32_e32 v31, v61
; %bb.1131:                             ;   in Loop: Header=BB6_126 Depth=2
	s_or_b64 exec, exec, s[22:23]
	v_lshrrev_b64 v[6:7], 20, v[30:31]
	v_cmp_gt_i32_e32 vcc, 16, v3
	v_cndmask_b32_e32 v7, 0, v7, vcc
	v_cndmask_b32_e32 v6, 7, v6, vcc
	v_cmp_eq_u32_e32 vcc, 0, v3
	v_min_i32_e32 v3, 15, v3
	v_cmp_eq_u64_e64 s[22:23], 0, v[6:7]
	v_lshlrev_b32_e32 v3, 3, v3
	v_and_b32_e32 v3, 0xf8, v3
	v_and_or_b32 v3, v6, 7, v3
	s_and_b64 s[22:23], vcc, s[22:23]
	v_cndmask_b32_e64 v3, v3, 0, s[22:23]
	v_or_b32_e32 v9, v3, v2
.LBB6_1132:                             ;   in Loop: Header=BB6_126 Depth=2
	s_or_b64 exec, exec, s[30:31]
                                        ; implicit-def: $vgpr2
.LBB6_1133:                             ;   in Loop: Header=BB6_126 Depth=2
	s_andn2_saveexec_b64 s[22:23], s[94:95]
; %bb.1134:                             ;   in Loop: Header=BB6_126 Depth=2
	v_or_b32_e32 v9, 0x7e, v2
; %bb.1135:                             ;   in Loop: Header=BB6_126 Depth=2
	s_or_b64 exec, exec, s[22:23]
                                        ; implicit-def: $vgpr3
.LBB6_1136:                             ;   in Loop: Header=BB6_126 Depth=2
	s_andn2_saveexec_b64 s[22:23], s[92:93]
; %bb.1137:                             ;   in Loop: Header=BB6_126 Depth=2
	v_or_b32_sdwa v9, v3, s54 dst_sel:DWORD dst_unused:UNUSED_PAD src0_sel:BYTE_3 src1_sel:DWORD
; %bb.1138:                             ;   in Loop: Header=BB6_126 Depth=2
	s_or_b64 exec, exec, s[22:23]
	v_cmp_lt_u64_e64 s[22:23], s[78:79], v[32:33]
	v_lshrrev_b32_e32 v36, 24, v33
	v_lshrrev_b32_e32 v31, 24, v27
	s_and_b64 vcc, exec, s[20:21]
	s_mov_b64 s[92:93], -1
                                        ; implicit-def: $vgpr3
	s_cbranch_vccnz .LBB6_1152
; %bb.1139:                             ;   in Loop: Header=BB6_126 Depth=2
	v_mov_b32_e32 v3, 0
	v_mov_b32_e32 v2, 0
	s_and_saveexec_b64 s[92:93], s[22:23]
	s_cbranch_execz .LBB6_1145
; %bb.1140:                             ;   in Loop: Header=BB6_126 Depth=2
	v_cmp_ne_u32_e32 vcc, s53, v36
	v_bfrev_b32_e32 v2, 1
	s_and_saveexec_b64 s[94:95], vcc
	s_cbranch_execz .LBB6_1144
; %bb.1141:                             ;   in Loop: Header=BB6_126 Depth=2
	v_bfe_u32 v4, v33, 24, 7
	v_cmp_ne_u32_e32 vcc, s54, v4
	v_mov_b32_e32 v2, 0x7f800001
	s_and_saveexec_b64 s[30:31], vcc
	s_cbranch_execz .LBB6_1143
; %bb.1142:                             ;   in Loop: Header=BB6_126 Depth=2
	v_and_b32_e32 v2, 7, v36
	v_lshrrev_b32_e32 v8, 3, v4
	v_cmp_gt_u32_e32 vcc, 8, v4
	v_ffbh_u32_e32 v4, v2
	v_min_u32_e32 v4, 32, v4
	v_subrev_u32_e32 v6, 28, v4
	v_lshlrev_b64 v[6:7], v6, v[36:37]
	v_sub_u32_e32 v4, 29, v4
	v_and_b32_e32 v6, 7, v6
	v_cndmask_b32_e32 v4, v8, v4, vcc
	v_cndmask_b32_e32 v2, v2, v6, vcc
	v_lshlrev_b32_e32 v6, 24, v36
	v_lshlrev_b32_e32 v2, 20, v2
	v_and_b32_e32 v6, 0x80000000, v6
	v_lshl_add_u32 v4, v4, 23, v62
	v_or3_b32 v2, v6, v4, v2
.LBB6_1143:                             ;   in Loop: Header=BB6_126 Depth=2
	s_or_b64 exec, exec, s[30:31]
.LBB6_1144:                             ;   in Loop: Header=BB6_126 Depth=2
	s_or_b64 exec, exec, s[94:95]
.LBB6_1145:                             ;   in Loop: Header=BB6_126 Depth=2
	s_or_b64 exec, exec, s[92:93]
	v_cmp_lt_u64_e32 vcc, s[78:79], v[26:27]
	s_and_saveexec_b64 s[92:93], vcc
	s_cbranch_execz .LBB6_1151
; %bb.1146:                             ;   in Loop: Header=BB6_126 Depth=2
	v_cmp_ne_u32_e32 vcc, s53, v31
	v_bfrev_b32_e32 v3, 1
	s_and_saveexec_b64 s[94:95], vcc
	s_cbranch_execz .LBB6_1150
; %bb.1147:                             ;   in Loop: Header=BB6_126 Depth=2
	v_bfe_u32 v4, v27, 24, 7
	v_cmp_ne_u32_e32 vcc, s54, v4
	v_mov_b32_e32 v3, 0x7f800001
	s_and_saveexec_b64 s[30:31], vcc
	s_cbranch_execz .LBB6_1149
; %bb.1148:                             ;   in Loop: Header=BB6_126 Depth=2
	v_and_b32_e32 v6, 7, v31
	v_ffbh_u32_e32 v3, v6
	v_min_u32_e32 v8, 32, v3
	v_subrev_u32_e32 v3, 28, v8
	v_lshrrev_b32_e32 v7, 3, v4
	v_cmp_gt_u32_e32 vcc, 8, v4
	v_lshlrev_b64 v[3:4], v3, v[31:32]
	v_sub_u32_e32 v4, 29, v8
	v_and_b32_e32 v3, 7, v3
	v_cndmask_b32_e32 v4, v7, v4, vcc
	v_cndmask_b32_e32 v3, v6, v3, vcc
	v_lshlrev_b32_e32 v6, 24, v31
	v_lshlrev_b32_e32 v3, 20, v3
	v_and_b32_e32 v6, 0x80000000, v6
	v_lshl_add_u32 v4, v4, 23, v62
	v_or3_b32 v3, v6, v4, v3
.LBB6_1149:                             ;   in Loop: Header=BB6_126 Depth=2
	s_or_b64 exec, exec, s[30:31]
.LBB6_1150:                             ;   in Loop: Header=BB6_126 Depth=2
	s_or_b64 exec, exec, s[94:95]
.LBB6_1151:                             ;   in Loop: Header=BB6_126 Depth=2
	s_or_b64 exec, exec, s[92:93]
	v_max_f32_e32 v3, v3, v3
	v_max_f32_e32 v2, v2, v2
	;; [unrolled: 1-line block ×3, first 2 shown]
	s_mov_b64 s[92:93], 0
.LBB6_1152:                             ;   in Loop: Header=BB6_126 Depth=2
	s_and_b64 vcc, exec, s[92:93]
	s_cbranch_vccz .LBB6_1166
; %bb.1153:                             ;   in Loop: Header=BB6_126 Depth=2
	v_mov_b32_e32 v3, 0
	v_mov_b32_e32 v2, 0
	s_and_saveexec_b64 s[92:93], s[22:23]
	s_cbranch_execz .LBB6_1159
; %bb.1154:                             ;   in Loop: Header=BB6_126 Depth=2
	v_cmp_ne_u32_e32 vcc, s53, v36
	v_bfrev_b32_e32 v2, 1
	s_and_saveexec_b64 s[22:23], vcc
	s_cbranch_execz .LBB6_1158
; %bb.1155:                             ;   in Loop: Header=BB6_126 Depth=2
	v_bfe_u32 v4, v33, 24, 7
	v_cmp_ne_u32_e32 vcc, s54, v4
	v_mov_b32_e32 v2, 0x7f800001
	s_and_saveexec_b64 s[94:95], vcc
	s_cbranch_execz .LBB6_1157
; %bb.1156:                             ;   in Loop: Header=BB6_126 Depth=2
	v_and_b32_e32 v2, 7, v36
	v_lshrrev_b32_e32 v8, 3, v4
	v_cmp_gt_u32_e32 vcc, 8, v4
	v_ffbh_u32_e32 v4, v2
	v_min_u32_e32 v4, 32, v4
	v_subrev_u32_e32 v6, 28, v4
	v_lshlrev_b64 v[6:7], v6, v[36:37]
	v_sub_u32_e32 v4, 29, v4
	v_and_b32_e32 v6, 7, v6
	v_cndmask_b32_e32 v4, v8, v4, vcc
	v_cndmask_b32_e32 v2, v2, v6, vcc
	v_lshlrev_b32_e32 v6, 24, v36
	v_lshlrev_b32_e32 v2, 20, v2
	v_and_b32_e32 v6, 0x80000000, v6
	v_lshl_add_u32 v4, v4, 23, v62
	v_or3_b32 v2, v6, v4, v2
.LBB6_1157:                             ;   in Loop: Header=BB6_126 Depth=2
	s_or_b64 exec, exec, s[94:95]
.LBB6_1158:                             ;   in Loop: Header=BB6_126 Depth=2
	s_or_b64 exec, exec, s[22:23]
.LBB6_1159:                             ;   in Loop: Header=BB6_126 Depth=2
	s_or_b64 exec, exec, s[92:93]
	v_cmp_lt_u64_e32 vcc, s[78:79], v[26:27]
	s_and_saveexec_b64 s[22:23], vcc
	s_cbranch_execz .LBB6_1165
; %bb.1160:                             ;   in Loop: Header=BB6_126 Depth=2
	v_cmp_ne_u32_e32 vcc, s53, v31
	v_bfrev_b32_e32 v3, 1
	s_and_saveexec_b64 s[92:93], vcc
	s_cbranch_execz .LBB6_1164
; %bb.1161:                             ;   in Loop: Header=BB6_126 Depth=2
	v_bfe_u32 v4, v27, 24, 7
	v_cmp_ne_u32_e32 vcc, s54, v4
	v_mov_b32_e32 v3, 0x7f800001
	s_and_saveexec_b64 s[94:95], vcc
	s_cbranch_execz .LBB6_1163
; %bb.1162:                             ;   in Loop: Header=BB6_126 Depth=2
	v_and_b32_e32 v6, 7, v31
	v_ffbh_u32_e32 v3, v6
	v_min_u32_e32 v8, 32, v3
	v_subrev_u32_e32 v3, 28, v8
	v_lshrrev_b32_e32 v7, 3, v4
	v_cmp_gt_u32_e32 vcc, 8, v4
	v_lshlrev_b64 v[3:4], v3, v[31:32]
	v_sub_u32_e32 v4, 29, v8
	v_and_b32_e32 v3, 7, v3
	v_cndmask_b32_e32 v4, v7, v4, vcc
	v_cndmask_b32_e32 v3, v6, v3, vcc
	v_lshlrev_b32_e32 v6, 24, v31
	v_lshlrev_b32_e32 v3, 20, v3
	v_and_b32_e32 v6, 0x80000000, v6
	v_lshl_add_u32 v4, v4, 23, v62
	v_or3_b32 v3, v6, v4, v3
.LBB6_1163:                             ;   in Loop: Header=BB6_126 Depth=2
	s_or_b64 exec, exec, s[94:95]
.LBB6_1164:                             ;   in Loop: Header=BB6_126 Depth=2
	s_or_b64 exec, exec, s[92:93]
.LBB6_1165:                             ;   in Loop: Header=BB6_126 Depth=2
	s_or_b64 exec, exec, s[22:23]
	v_max_f32_e32 v3, v3, v3
	v_max_f32_e32 v2, v2, v2
	v_min_f32_e32 v3, v2, v3
.LBB6_1166:                             ;   in Loop: Header=BB6_126 Depth=2
	v_and_b32_e32 v60, 0x7f800000, v3
	v_cmp_ne_u64_e32 vcc, s[72:73], v[60:61]
	buffer_store_dword v9, off, s[0:3], s33 offset:152 ; 4-byte Folded Spill
                                        ; implicit-def: $vgpr8
	s_and_saveexec_b64 s[22:23], vcc
	s_xor_b64 s[92:93], exec, s[22:23]
	s_cbranch_execz .LBB6_1180
; %bb.1167:                             ;   in Loop: Header=BB6_126 Depth=2
	v_and_b32_e32 v60, 0x7fffffff, v3
	v_cmp_gt_u64_e32 vcc, s[74:75], v[60:61]
	v_and_b32_sdwa v2, v3, s53 dst_sel:DWORD dst_unused:UNUSED_PAD src0_sel:BYTE_3 src1_sel:DWORD
                                        ; implicit-def: $vgpr8
	s_and_saveexec_b64 s[22:23], vcc
	s_xor_b64 s[94:95], exec, s[22:23]
	s_cbranch_execz .LBB6_1177
; %bb.1168:                             ;   in Loop: Header=BB6_126 Depth=2
	v_mov_b32_e32 v8, 0
	v_cmp_ne_u32_e32 vcc, 0, v3
	s_and_saveexec_b64 s[30:31], vcc
	s_cbranch_execz .LBB6_1176
; %bb.1169:                             ;   in Loop: Header=BB6_126 Depth=2
	v_and_b32_e32 v6, 0x7fffff, v3
	v_bfe_u32 v3, v3, 23, 8
	v_cmp_gt_u32_e64 s[22:23], s64, v3
	v_sub_u32_e32 v4, 0x79, v3
	v_cmp_eq_u32_e32 vcc, 0, v3
	v_cndmask_b32_e64 v4, 0, v4, s[22:23]
	v_mov_b32_e32 v8, 0x78
	v_or_b32_e32 v7, 0x800000, v6
	v_cndmask_b32_e32 v4, v4, v8, vcc
	v_cndmask_b32_e32 v60, v7, v6, vcc
	v_add_u32_e32 v6, 20, v4
	v_lshlrev_b64 v[6:7], v6, -1
	v_add_u32_e32 v8, 19, v4
	v_lshlrev_b64 v[8:9], v8, 1
	v_lshrrev_b64 v[26:27], v4, v[60:61]
	v_bfi_b32 v7, v7, 0, 0
	v_bfi_b32 v6, v6, 0, v60
	v_cmp_eq_u64_e64 s[22:23], v[6:7], v[8:9]
	v_mov_b32_e32 v31, v27
	v_mov_b32_e32 v30, v26
	s_and_saveexec_b64 s[34:35], s[22:23]
; %bb.1170:                             ;   in Loop: Header=BB6_126 Depth=2
	v_bfe_u32 v6, v26, 20, 1
	v_add_co_u32_e64 v6, s[22:23], v26, v6
	v_add_co_u32_e64 v30, s[22:23], -1, v6
; %bb.1171:                             ;   in Loop: Header=BB6_126 Depth=2
	s_or_b64 exec, exec, s[34:35]
	v_add_u32_e32 v3, 0xffffff81, v3
	v_cndmask_b32_e32 v3, v3, v41, vcc
	v_lshrrev_b32_e32 v6, 23, v26
	v_add3_u32 v6, v4, v3, v6
	v_add_u32_e32 v4, 6, v6
	v_and_b32_e32 v3, 0xfffff, v30
	v_add_u32_e32 v60, v3, v26
	v_cmp_ne_u32_e32 vcc, 0, v4
                                        ; implicit-def: $vgpr26_vgpr27
                                        ; implicit-def: $vgpr3
	s_and_saveexec_b64 s[22:23], vcc
	s_xor_b64 s[22:23], exec, s[22:23]
; %bb.1172:                             ;   in Loop: Header=BB6_126 Depth=2
	v_cmp_lt_u64_e32 vcc, s[76:77], v[60:61]
	v_add_u32_e32 v3, 7, v6
	v_cndmask_b32_e32 v3, v4, v3, vcc
	v_cndmask_b32_e64 v4, 0, 1, vcc
	v_lshrrev_b64 v[26:27], v4, v[60:61]
; %bb.1173:                             ;   in Loop: Header=BB6_126 Depth=2
	s_andn2_saveexec_b64 s[22:23], s[22:23]
; %bb.1174:                             ;   in Loop: Header=BB6_126 Depth=2
	v_mov_b32_e32 v26, v60
	v_bfe_u32 v3, v60, 23, 1
	v_mov_b32_e32 v27, v61
; %bb.1175:                             ;   in Loop: Header=BB6_126 Depth=2
	s_or_b64 exec, exec, s[22:23]
	v_lshrrev_b64 v[6:7], 20, v[26:27]
	v_cmp_gt_i32_e32 vcc, 16, v3
	v_cndmask_b32_e32 v7, 0, v7, vcc
	v_cndmask_b32_e32 v6, 7, v6, vcc
	v_cmp_eq_u32_e32 vcc, 0, v3
	v_min_i32_e32 v3, 15, v3
	v_cmp_eq_u64_e64 s[22:23], 0, v[6:7]
	v_lshlrev_b32_e32 v3, 3, v3
	v_and_b32_e32 v3, 0xf8, v3
	v_and_or_b32 v3, v6, 7, v3
	s_and_b64 s[22:23], vcc, s[22:23]
	v_cndmask_b32_e64 v3, v3, 0, s[22:23]
	v_or_b32_e32 v8, v3, v2
.LBB6_1176:                             ;   in Loop: Header=BB6_126 Depth=2
	s_or_b64 exec, exec, s[30:31]
                                        ; implicit-def: $vgpr2
.LBB6_1177:                             ;   in Loop: Header=BB6_126 Depth=2
	s_andn2_saveexec_b64 s[22:23], s[94:95]
; %bb.1178:                             ;   in Loop: Header=BB6_126 Depth=2
	v_or_b32_e32 v8, 0x7e, v2
; %bb.1179:                             ;   in Loop: Header=BB6_126 Depth=2
	s_or_b64 exec, exec, s[22:23]
                                        ; implicit-def: $vgpr3
.LBB6_1180:                             ;   in Loop: Header=BB6_126 Depth=2
	s_andn2_saveexec_b64 s[22:23], s[92:93]
; %bb.1181:                             ;   in Loop: Header=BB6_126 Depth=2
	v_or_b32_sdwa v8, v3, s54 dst_sel:DWORD dst_unused:UNUSED_PAD src0_sel:BYTE_3 src1_sel:DWORD
; %bb.1182:                             ;   in Loop: Header=BB6_126 Depth=2
	s_or_b64 exec, exec, s[22:23]
	v_cmp_ne_u16_sdwa s[22:23], v34, v61 src0_sel:BYTE_0 src1_sel:DWORD
	s_and_b64 vcc, exec, s[20:21]
	s_mov_b64 s[92:93], -1
                                        ; implicit-def: $vgpr3
	s_cbranch_vccnz .LBB6_1196
; %bb.1183:                             ;   in Loop: Header=BB6_126 Depth=2
	v_mov_b32_e32 v3, 0
	v_mov_b32_e32 v2, 0
	s_and_saveexec_b64 s[92:93], s[22:23]
	s_cbranch_execz .LBB6_1189
; %bb.1184:                             ;   in Loop: Header=BB6_126 Depth=2
	v_cmp_ne_u16_sdwa vcc, v34, s53 src0_sel:BYTE_0 src1_sel:DWORD
	v_bfrev_b32_e32 v2, 1
	s_and_saveexec_b64 s[94:95], vcc
	s_cbranch_execz .LBB6_1188
; %bb.1185:                             ;   in Loop: Header=BB6_126 Depth=2
	v_and_b32_e32 v4, 0x7f, v34
	v_cmp_ne_u32_e32 vcc, s54, v4
	v_mov_b32_e32 v2, 0x7f800001
	s_and_saveexec_b64 s[30:31], vcc
	s_cbranch_execz .LBB6_1187
; %bb.1186:                             ;   in Loop: Header=BB6_126 Depth=2
	v_and_b32_e32 v2, 7, v34
	v_ffbh_u32_e32 v2, v2
	v_min_u32_e32 v2, 32, v2
	v_lshrrev_b32_e32 v6, 3, v4
	v_cmp_gt_u32_e32 vcc, 8, v4
	v_subrev_u32_e32 v4, 28, v2
	v_sub_u32_e32 v2, 29, v2
	v_cndmask_b32_e32 v4, 0, v4, vcc
	v_cndmask_b32_e32 v2, v6, v2, vcc
	v_lshlrev_b64 v[6:7], v4, v[34:35]
	v_lshl_add_u32 v2, v2, 23, v62
	v_lshlrev_b32_e32 v4, 20, v6
	v_lshlrev_b32_e32 v6, 24, v34
	v_and_b32_e32 v4, 0x700000, v4
	v_and_b32_e32 v6, 0x80000000, v6
	v_or3_b32 v2, v6, v2, v4
.LBB6_1187:                             ;   in Loop: Header=BB6_126 Depth=2
	s_or_b64 exec, exec, s[30:31]
.LBB6_1188:                             ;   in Loop: Header=BB6_126 Depth=2
	s_or_b64 exec, exec, s[94:95]
.LBB6_1189:                             ;   in Loop: Header=BB6_126 Depth=2
	s_or_b64 exec, exec, s[92:93]
	v_cmp_ne_u16_sdwa s[94:95], v28, v61 src0_sel:BYTE_0 src1_sel:DWORD
	s_and_saveexec_b64 s[92:93], s[94:95]
	s_cbranch_execz .LBB6_1195
; %bb.1190:                             ;   in Loop: Header=BB6_126 Depth=2
	v_cmp_ne_u16_sdwa vcc, v28, s53 src0_sel:BYTE_0 src1_sel:DWORD
	v_bfrev_b32_e32 v3, 1
	s_and_saveexec_b64 s[94:95], vcc
	s_cbranch_execz .LBB6_1194
; %bb.1191:                             ;   in Loop: Header=BB6_126 Depth=2
	v_and_b32_e32 v4, 0x7f, v28
	v_cmp_ne_u32_e32 vcc, s54, v4
	v_mov_b32_e32 v3, 0x7f800001
	s_and_saveexec_b64 s[30:31], vcc
	s_cbranch_execz .LBB6_1193
; %bb.1192:                             ;   in Loop: Header=BB6_126 Depth=2
	v_and_b32_e32 v3, 7, v28
	v_ffbh_u32_e32 v3, v3
	v_min_u32_e32 v3, 32, v3
	v_lshrrev_b32_e32 v6, 3, v4
	v_cmp_gt_u32_e32 vcc, 8, v4
	v_subrev_u32_e32 v4, 28, v3
	v_sub_u32_e32 v3, 29, v3
	v_cndmask_b32_e32 v6, v6, v3, vcc
	v_cndmask_b32_e32 v3, 0, v4, vcc
	v_lshlrev_b64 v[3:4], v3, v[28:29]
	v_lshlrev_b32_e32 v4, 24, v28
	v_lshlrev_b32_e32 v3, 20, v3
	v_and_b32_e32 v3, 0x700000, v3
	v_and_b32_e32 v4, 0x80000000, v4
	v_lshl_add_u32 v6, v6, 23, v62
	v_or3_b32 v3, v4, v6, v3
.LBB6_1193:                             ;   in Loop: Header=BB6_126 Depth=2
	s_or_b64 exec, exec, s[30:31]
.LBB6_1194:                             ;   in Loop: Header=BB6_126 Depth=2
	s_or_b64 exec, exec, s[94:95]
.LBB6_1195:                             ;   in Loop: Header=BB6_126 Depth=2
	s_or_b64 exec, exec, s[92:93]
	v_max_f32_e32 v3, v3, v3
	v_max_f32_e32 v2, v2, v2
	;; [unrolled: 1-line block ×3, first 2 shown]
	s_mov_b64 s[92:93], 0
.LBB6_1196:                             ;   in Loop: Header=BB6_126 Depth=2
	s_and_b64 vcc, exec, s[92:93]
	s_cbranch_vccz .LBB6_1210
; %bb.1197:                             ;   in Loop: Header=BB6_126 Depth=2
	v_mov_b32_e32 v3, 0
	v_mov_b32_e32 v2, 0
	s_and_saveexec_b64 s[92:93], s[22:23]
	s_cbranch_execz .LBB6_1203
; %bb.1198:                             ;   in Loop: Header=BB6_126 Depth=2
	v_cmp_ne_u16_sdwa s[94:95], v34, s53 src0_sel:BYTE_0 src1_sel:DWORD
	v_bfrev_b32_e32 v2, 1
	s_and_saveexec_b64 s[22:23], s[94:95]
	s_cbranch_execz .LBB6_1202
; %bb.1199:                             ;   in Loop: Header=BB6_126 Depth=2
	v_and_b32_e32 v4, 0x7f, v34
	v_cmp_ne_u32_e32 vcc, s54, v4
	v_mov_b32_e32 v2, 0x7f800001
	s_and_saveexec_b64 s[94:95], vcc
	s_cbranch_execz .LBB6_1201
; %bb.1200:                             ;   in Loop: Header=BB6_126 Depth=2
	v_and_b32_e32 v2, 7, v34
	v_ffbh_u32_e32 v2, v2
	v_min_u32_e32 v2, 32, v2
	v_lshrrev_b32_e32 v6, 3, v4
	v_cmp_gt_u32_e32 vcc, 8, v4
	v_subrev_u32_e32 v4, 28, v2
	v_sub_u32_e32 v2, 29, v2
	v_cndmask_b32_e32 v4, 0, v4, vcc
	v_cndmask_b32_e32 v2, v6, v2, vcc
	v_lshlrev_b64 v[6:7], v4, v[34:35]
	v_lshl_add_u32 v2, v2, 23, v62
	v_lshlrev_b32_e32 v4, 20, v6
	v_lshlrev_b32_e32 v6, 24, v34
	v_and_b32_e32 v4, 0x700000, v4
	v_and_b32_e32 v6, 0x80000000, v6
	v_or3_b32 v2, v6, v2, v4
.LBB6_1201:                             ;   in Loop: Header=BB6_126 Depth=2
	s_or_b64 exec, exec, s[94:95]
.LBB6_1202:                             ;   in Loop: Header=BB6_126 Depth=2
	s_or_b64 exec, exec, s[22:23]
.LBB6_1203:                             ;   in Loop: Header=BB6_126 Depth=2
	s_or_b64 exec, exec, s[92:93]
	v_cmp_ne_u16_sdwa s[92:93], v28, v61 src0_sel:BYTE_0 src1_sel:DWORD
	s_and_saveexec_b64 s[22:23], s[92:93]
	s_cbranch_execz .LBB6_1209
; %bb.1204:                             ;   in Loop: Header=BB6_126 Depth=2
	v_cmp_ne_u16_sdwa s[94:95], v28, s53 src0_sel:BYTE_0 src1_sel:DWORD
	v_bfrev_b32_e32 v3, 1
	s_and_saveexec_b64 s[92:93], s[94:95]
	s_cbranch_execz .LBB6_1208
; %bb.1205:                             ;   in Loop: Header=BB6_126 Depth=2
	v_and_b32_e32 v4, 0x7f, v28
	v_cmp_ne_u32_e32 vcc, s54, v4
	v_mov_b32_e32 v3, 0x7f800001
	s_and_saveexec_b64 s[94:95], vcc
	s_cbranch_execz .LBB6_1207
; %bb.1206:                             ;   in Loop: Header=BB6_126 Depth=2
	v_and_b32_e32 v3, 7, v28
	v_ffbh_u32_e32 v3, v3
	v_min_u32_e32 v3, 32, v3
	v_lshrrev_b32_e32 v6, 3, v4
	v_cmp_gt_u32_e32 vcc, 8, v4
	v_subrev_u32_e32 v4, 28, v3
	v_sub_u32_e32 v3, 29, v3
	v_cndmask_b32_e32 v6, v6, v3, vcc
	v_cndmask_b32_e32 v3, 0, v4, vcc
	v_lshlrev_b64 v[3:4], v3, v[28:29]
	v_lshlrev_b32_e32 v4, 24, v28
	v_lshlrev_b32_e32 v3, 20, v3
	v_and_b32_e32 v3, 0x700000, v3
	v_and_b32_e32 v4, 0x80000000, v4
	v_lshl_add_u32 v6, v6, 23, v62
	v_or3_b32 v3, v4, v6, v3
.LBB6_1207:                             ;   in Loop: Header=BB6_126 Depth=2
	s_or_b64 exec, exec, s[94:95]
.LBB6_1208:                             ;   in Loop: Header=BB6_126 Depth=2
	s_or_b64 exec, exec, s[92:93]
.LBB6_1209:                             ;   in Loop: Header=BB6_126 Depth=2
	s_or_b64 exec, exec, s[22:23]
	v_max_f32_e32 v3, v3, v3
	v_max_f32_e32 v2, v2, v2
	v_min_f32_e32 v3, v2, v3
.LBB6_1210:                             ;   in Loop: Header=BB6_126 Depth=2
	v_and_b32_e32 v60, 0x7f800000, v3
	v_cmp_ne_u64_e32 vcc, s[72:73], v[60:61]
	buffer_store_dword v8, off, s[0:3], s33 offset:156 ; 4-byte Folded Spill
                                        ; implicit-def: $vgpr9
	s_and_saveexec_b64 s[22:23], vcc
	s_xor_b64 s[92:93], exec, s[22:23]
	s_cbranch_execz .LBB6_1224
; %bb.1211:                             ;   in Loop: Header=BB6_126 Depth=2
	v_and_b32_e32 v60, 0x7fffffff, v3
	v_cmp_gt_u64_e32 vcc, s[74:75], v[60:61]
	v_and_b32_sdwa v2, v3, s53 dst_sel:DWORD dst_unused:UNUSED_PAD src0_sel:BYTE_3 src1_sel:DWORD
                                        ; implicit-def: $vgpr9
	s_and_saveexec_b64 s[22:23], vcc
	s_xor_b64 s[94:95], exec, s[22:23]
	s_cbranch_execz .LBB6_1221
; %bb.1212:                             ;   in Loop: Header=BB6_126 Depth=2
	v_mov_b32_e32 v9, 0
	v_cmp_ne_u32_e32 vcc, 0, v3
	s_and_saveexec_b64 s[30:31], vcc
	s_cbranch_execz .LBB6_1220
; %bb.1213:                             ;   in Loop: Header=BB6_126 Depth=2
	v_and_b32_e32 v6, 0x7fffff, v3
	v_bfe_u32 v3, v3, 23, 8
	v_cmp_gt_u32_e64 s[22:23], s64, v3
	v_sub_u32_e32 v4, 0x79, v3
	v_cmp_eq_u32_e32 vcc, 0, v3
	v_cndmask_b32_e64 v4, 0, v4, s[22:23]
	v_mov_b32_e32 v8, 0x78
	v_or_b32_e32 v7, 0x800000, v6
	v_cndmask_b32_e32 v4, v4, v8, vcc
	v_cndmask_b32_e32 v60, v7, v6, vcc
	v_add_u32_e32 v6, 20, v4
	v_lshlrev_b64 v[6:7], v6, -1
	v_add_u32_e32 v8, 19, v4
	v_lshlrev_b64 v[8:9], v8, 1
	v_lshrrev_b64 v[26:27], v4, v[60:61]
	v_bfi_b32 v7, v7, 0, 0
	v_bfi_b32 v6, v6, 0, v60
	v_cmp_eq_u64_e64 s[22:23], v[6:7], v[8:9]
	v_mov_b32_e32 v31, v27
	v_mov_b32_e32 v30, v26
	s_and_saveexec_b64 s[34:35], s[22:23]
; %bb.1214:                             ;   in Loop: Header=BB6_126 Depth=2
	v_bfe_u32 v6, v26, 20, 1
	v_add_co_u32_e64 v6, s[22:23], v26, v6
	v_add_co_u32_e64 v30, s[22:23], -1, v6
; %bb.1215:                             ;   in Loop: Header=BB6_126 Depth=2
	s_or_b64 exec, exec, s[34:35]
	v_add_u32_e32 v3, 0xffffff81, v3
	v_cndmask_b32_e32 v3, v3, v41, vcc
	v_lshrrev_b32_e32 v6, 23, v26
	v_add3_u32 v6, v4, v3, v6
	v_add_u32_e32 v4, 6, v6
	v_and_b32_e32 v3, 0xfffff, v30
	v_add_u32_e32 v60, v3, v26
	v_cmp_ne_u32_e32 vcc, 0, v4
                                        ; implicit-def: $vgpr26_vgpr27
                                        ; implicit-def: $vgpr3
	s_and_saveexec_b64 s[22:23], vcc
	s_xor_b64 s[22:23], exec, s[22:23]
; %bb.1216:                             ;   in Loop: Header=BB6_126 Depth=2
	v_cmp_lt_u64_e32 vcc, s[76:77], v[60:61]
	v_add_u32_e32 v3, 7, v6
	v_cndmask_b32_e32 v3, v4, v3, vcc
	v_cndmask_b32_e64 v4, 0, 1, vcc
	v_lshrrev_b64 v[26:27], v4, v[60:61]
; %bb.1217:                             ;   in Loop: Header=BB6_126 Depth=2
	s_andn2_saveexec_b64 s[22:23], s[22:23]
; %bb.1218:                             ;   in Loop: Header=BB6_126 Depth=2
	v_mov_b32_e32 v26, v60
	v_bfe_u32 v3, v60, 23, 1
	v_mov_b32_e32 v27, v61
; %bb.1219:                             ;   in Loop: Header=BB6_126 Depth=2
	s_or_b64 exec, exec, s[22:23]
	v_lshrrev_b64 v[6:7], 20, v[26:27]
	v_cmp_gt_i32_e32 vcc, 16, v3
	v_cndmask_b32_e32 v7, 0, v7, vcc
	v_cndmask_b32_e32 v6, 7, v6, vcc
	v_cmp_eq_u32_e32 vcc, 0, v3
	v_min_i32_e32 v3, 15, v3
	v_cmp_eq_u64_e64 s[22:23], 0, v[6:7]
	v_lshlrev_b32_e32 v3, 3, v3
	v_and_b32_e32 v3, 0xf8, v3
	v_and_or_b32 v3, v6, 7, v3
	s_and_b64 s[22:23], vcc, s[22:23]
	v_cndmask_b32_e64 v3, v3, 0, s[22:23]
	v_or_b32_e32 v9, v3, v2
.LBB6_1220:                             ;   in Loop: Header=BB6_126 Depth=2
	s_or_b64 exec, exec, s[30:31]
                                        ; implicit-def: $vgpr2
.LBB6_1221:                             ;   in Loop: Header=BB6_126 Depth=2
	s_andn2_saveexec_b64 s[22:23], s[94:95]
; %bb.1222:                             ;   in Loop: Header=BB6_126 Depth=2
	v_or_b32_e32 v9, 0x7e, v2
; %bb.1223:                             ;   in Loop: Header=BB6_126 Depth=2
	s_or_b64 exec, exec, s[22:23]
                                        ; implicit-def: $vgpr3
.LBB6_1224:                             ;   in Loop: Header=BB6_126 Depth=2
	s_andn2_saveexec_b64 s[22:23], s[92:93]
; %bb.1225:                             ;   in Loop: Header=BB6_126 Depth=2
	v_or_b32_sdwa v9, v3, s54 dst_sel:DWORD dst_unused:UNUSED_PAD src0_sel:BYTE_3 src1_sel:DWORD
; %bb.1226:                             ;   in Loop: Header=BB6_126 Depth=2
	s_or_b64 exec, exec, s[22:23]
	v_lshrrev_b16_e32 v27, 8, v34
	v_lshrrev_b16_e32 v26, 8, v28
	v_cmp_ne_u16_e64 s[22:23], 0, v27
	s_and_b64 vcc, exec, s[20:21]
	s_mov_b64 s[92:93], -1
                                        ; implicit-def: $vgpr3
	s_cbranch_vccnz .LBB6_1240
; %bb.1227:                             ;   in Loop: Header=BB6_126 Depth=2
	v_mov_b32_e32 v3, 0
	v_mov_b32_e32 v2, 0
	s_and_saveexec_b64 s[92:93], s[22:23]
	s_cbranch_execz .LBB6_1233
; %bb.1228:                             ;   in Loop: Header=BB6_126 Depth=2
	v_cmp_ne_u16_e32 vcc, s53, v27
	v_bfrev_b32_e32 v2, 1
	s_and_saveexec_b64 s[94:95], vcc
	s_cbranch_execz .LBB6_1232
; %bb.1229:                             ;   in Loop: Header=BB6_126 Depth=2
	v_and_b32_e32 v4, 0x7f, v27
	v_cmp_ne_u32_e32 vcc, s54, v4
	v_mov_b32_e32 v2, 0x7f800001
	s_and_saveexec_b64 s[30:31], vcc
	s_cbranch_execz .LBB6_1231
; %bb.1230:                             ;   in Loop: Header=BB6_126 Depth=2
	v_and_b32_e32 v2, 7, v27
	v_lshrrev_b32_e32 v8, 3, v4
	v_cmp_gt_u32_e32 vcc, 8, v4
	v_ffbh_u32_e32 v4, v2
	v_min_u32_e32 v4, 32, v4
	v_subrev_u32_e32 v6, 28, v4
	v_lshlrev_b64 v[6:7], v6, v[27:28]
	v_sub_u32_e32 v4, 29, v4
	v_and_b32_e32 v6, 7, v6
	v_cndmask_b32_e32 v4, v8, v4, vcc
	v_cndmask_b32_e32 v2, v2, v6, vcc
	v_lshlrev_b32_e32 v6, 16, v34
	v_lshlrev_b32_e32 v2, 20, v2
	v_and_b32_e32 v6, 0x80000000, v6
	v_lshl_add_u32 v4, v4, 23, v62
	v_or3_b32 v2, v6, v4, v2
.LBB6_1231:                             ;   in Loop: Header=BB6_126 Depth=2
	s_or_b64 exec, exec, s[30:31]
.LBB6_1232:                             ;   in Loop: Header=BB6_126 Depth=2
	s_or_b64 exec, exec, s[94:95]
.LBB6_1233:                             ;   in Loop: Header=BB6_126 Depth=2
	s_or_b64 exec, exec, s[92:93]
	v_cmp_ne_u16_e32 vcc, 0, v26
	s_and_saveexec_b64 s[92:93], vcc
	s_cbranch_execz .LBB6_1239
; %bb.1234:                             ;   in Loop: Header=BB6_126 Depth=2
	v_cmp_ne_u16_e32 vcc, s53, v26
	v_bfrev_b32_e32 v3, 1
	s_and_saveexec_b64 s[94:95], vcc
	s_cbranch_execz .LBB6_1238
; %bb.1235:                             ;   in Loop: Header=BB6_126 Depth=2
	v_and_b32_e32 v4, 0x7f, v26
	v_cmp_ne_u32_e32 vcc, s54, v4
	v_mov_b32_e32 v3, 0x7f800001
	s_and_saveexec_b64 s[30:31], vcc
	s_cbranch_execz .LBB6_1237
; %bb.1236:                             ;   in Loop: Header=BB6_126 Depth=2
	v_and_b32_e32 v6, 7, v26
	v_ffbh_u32_e32 v3, v6
	v_min_u32_e32 v8, 32, v3
	v_subrev_u32_e32 v3, 28, v8
	v_lshrrev_b32_e32 v7, 3, v4
	v_cmp_gt_u32_e32 vcc, 8, v4
	v_lshlrev_b64 v[3:4], v3, v[26:27]
	v_sub_u32_e32 v4, 29, v8
	v_and_b32_e32 v3, 7, v3
	v_cndmask_b32_e32 v4, v7, v4, vcc
	v_cndmask_b32_e32 v3, v6, v3, vcc
	v_lshlrev_b32_e32 v6, 16, v28
	v_lshlrev_b32_e32 v3, 20, v3
	v_and_b32_e32 v6, 0x80000000, v6
	v_lshl_add_u32 v4, v4, 23, v62
	v_or3_b32 v3, v6, v4, v3
.LBB6_1237:                             ;   in Loop: Header=BB6_126 Depth=2
	s_or_b64 exec, exec, s[30:31]
.LBB6_1238:                             ;   in Loop: Header=BB6_126 Depth=2
	s_or_b64 exec, exec, s[94:95]
.LBB6_1239:                             ;   in Loop: Header=BB6_126 Depth=2
	s_or_b64 exec, exec, s[92:93]
	v_max_f32_e32 v3, v3, v3
	v_max_f32_e32 v2, v2, v2
	;; [unrolled: 1-line block ×3, first 2 shown]
	s_mov_b64 s[92:93], 0
.LBB6_1240:                             ;   in Loop: Header=BB6_126 Depth=2
	s_and_b64 vcc, exec, s[92:93]
	s_cbranch_vccz .LBB6_1254
; %bb.1241:                             ;   in Loop: Header=BB6_126 Depth=2
	v_mov_b32_e32 v3, 0
	v_mov_b32_e32 v2, 0
	s_and_saveexec_b64 s[92:93], s[22:23]
	s_cbranch_execz .LBB6_1247
; %bb.1242:                             ;   in Loop: Header=BB6_126 Depth=2
	v_cmp_ne_u16_e32 vcc, s53, v27
	v_bfrev_b32_e32 v2, 1
	s_and_saveexec_b64 s[22:23], vcc
	s_cbranch_execz .LBB6_1246
; %bb.1243:                             ;   in Loop: Header=BB6_126 Depth=2
	v_and_b32_e32 v4, 0x7f, v27
	v_cmp_ne_u32_e32 vcc, s54, v4
	v_mov_b32_e32 v2, 0x7f800001
	s_and_saveexec_b64 s[94:95], vcc
	s_cbranch_execz .LBB6_1245
; %bb.1244:                             ;   in Loop: Header=BB6_126 Depth=2
	v_and_b32_e32 v2, 7, v27
	v_lshrrev_b32_e32 v8, 3, v4
	v_cmp_gt_u32_e32 vcc, 8, v4
	v_ffbh_u32_e32 v4, v2
	v_min_u32_e32 v4, 32, v4
	v_subrev_u32_e32 v6, 28, v4
	v_lshlrev_b64 v[6:7], v6, v[27:28]
	v_sub_u32_e32 v4, 29, v4
	v_and_b32_e32 v6, 7, v6
	v_cndmask_b32_e32 v4, v8, v4, vcc
	v_cndmask_b32_e32 v2, v2, v6, vcc
	v_lshlrev_b32_e32 v6, 16, v34
	v_lshlrev_b32_e32 v2, 20, v2
	v_and_b32_e32 v6, 0x80000000, v6
	v_lshl_add_u32 v4, v4, 23, v62
	v_or3_b32 v2, v6, v4, v2
.LBB6_1245:                             ;   in Loop: Header=BB6_126 Depth=2
	s_or_b64 exec, exec, s[94:95]
.LBB6_1246:                             ;   in Loop: Header=BB6_126 Depth=2
	s_or_b64 exec, exec, s[22:23]
.LBB6_1247:                             ;   in Loop: Header=BB6_126 Depth=2
	s_or_b64 exec, exec, s[92:93]
	v_cmp_ne_u16_e32 vcc, 0, v26
	s_and_saveexec_b64 s[22:23], vcc
	s_cbranch_execz .LBB6_1253
; %bb.1248:                             ;   in Loop: Header=BB6_126 Depth=2
	v_cmp_ne_u16_e32 vcc, s53, v26
	v_bfrev_b32_e32 v3, 1
	s_and_saveexec_b64 s[92:93], vcc
	s_cbranch_execz .LBB6_1252
; %bb.1249:                             ;   in Loop: Header=BB6_126 Depth=2
	v_and_b32_e32 v4, 0x7f, v26
	v_cmp_ne_u32_e32 vcc, s54, v4
	v_mov_b32_e32 v3, 0x7f800001
	s_and_saveexec_b64 s[94:95], vcc
	s_cbranch_execz .LBB6_1251
; %bb.1250:                             ;   in Loop: Header=BB6_126 Depth=2
	v_and_b32_e32 v6, 7, v26
	v_ffbh_u32_e32 v3, v6
	v_min_u32_e32 v8, 32, v3
	v_subrev_u32_e32 v3, 28, v8
	v_lshrrev_b32_e32 v7, 3, v4
	v_cmp_gt_u32_e32 vcc, 8, v4
	v_lshlrev_b64 v[3:4], v3, v[26:27]
	v_sub_u32_e32 v4, 29, v8
	v_and_b32_e32 v3, 7, v3
	v_cndmask_b32_e32 v4, v7, v4, vcc
	v_cndmask_b32_e32 v3, v6, v3, vcc
	v_lshlrev_b32_e32 v6, 16, v28
	v_lshlrev_b32_e32 v3, 20, v3
	v_and_b32_e32 v6, 0x80000000, v6
	v_lshl_add_u32 v4, v4, 23, v62
	v_or3_b32 v3, v6, v4, v3
.LBB6_1251:                             ;   in Loop: Header=BB6_126 Depth=2
	s_or_b64 exec, exec, s[94:95]
.LBB6_1252:                             ;   in Loop: Header=BB6_126 Depth=2
	s_or_b64 exec, exec, s[92:93]
.LBB6_1253:                             ;   in Loop: Header=BB6_126 Depth=2
	s_or_b64 exec, exec, s[22:23]
	v_max_f32_e32 v3, v3, v3
	v_max_f32_e32 v2, v2, v2
	v_min_f32_e32 v3, v2, v3
.LBB6_1254:                             ;   in Loop: Header=BB6_126 Depth=2
	v_and_b32_e32 v60, 0x7f800000, v3
	v_cmp_ne_u64_e32 vcc, s[72:73], v[60:61]
	buffer_store_dword v9, off, s[0:3], s33 offset:160 ; 4-byte Folded Spill
                                        ; implicit-def: $vgpr9
	s_and_saveexec_b64 s[22:23], vcc
	s_xor_b64 s[92:93], exec, s[22:23]
	s_cbranch_execz .LBB6_1268
; %bb.1255:                             ;   in Loop: Header=BB6_126 Depth=2
	v_and_b32_e32 v60, 0x7fffffff, v3
	v_cmp_gt_u64_e32 vcc, s[74:75], v[60:61]
	v_and_b32_sdwa v2, v3, s53 dst_sel:DWORD dst_unused:UNUSED_PAD src0_sel:BYTE_3 src1_sel:DWORD
                                        ; implicit-def: $vgpr9
	s_and_saveexec_b64 s[22:23], vcc
	s_xor_b64 s[94:95], exec, s[22:23]
	s_cbranch_execz .LBB6_1265
; %bb.1256:                             ;   in Loop: Header=BB6_126 Depth=2
	v_mov_b32_e32 v9, 0
	v_cmp_ne_u32_e32 vcc, 0, v3
	s_and_saveexec_b64 s[30:31], vcc
	s_cbranch_execz .LBB6_1264
; %bb.1257:                             ;   in Loop: Header=BB6_126 Depth=2
	v_and_b32_e32 v6, 0x7fffff, v3
	v_bfe_u32 v3, v3, 23, 8
	v_cmp_gt_u32_e64 s[22:23], s64, v3
	v_sub_u32_e32 v4, 0x79, v3
	v_cmp_eq_u32_e32 vcc, 0, v3
	v_cndmask_b32_e64 v4, 0, v4, s[22:23]
	v_mov_b32_e32 v8, 0x78
	v_or_b32_e32 v7, 0x800000, v6
	v_cndmask_b32_e32 v4, v4, v8, vcc
	v_cndmask_b32_e32 v60, v7, v6, vcc
	v_add_u32_e32 v6, 20, v4
	v_lshlrev_b64 v[6:7], v6, -1
	v_add_u32_e32 v8, 19, v4
	v_lshlrev_b64 v[8:9], v8, 1
	v_lshrrev_b64 v[26:27], v4, v[60:61]
	v_bfi_b32 v7, v7, 0, 0
	v_bfi_b32 v6, v6, 0, v60
	v_cmp_eq_u64_e64 s[22:23], v[6:7], v[8:9]
	v_mov_b32_e32 v31, v27
	v_mov_b32_e32 v30, v26
	s_and_saveexec_b64 s[34:35], s[22:23]
; %bb.1258:                             ;   in Loop: Header=BB6_126 Depth=2
	v_bfe_u32 v6, v26, 20, 1
	v_add_co_u32_e64 v6, s[22:23], v26, v6
	v_add_co_u32_e64 v30, s[22:23], -1, v6
; %bb.1259:                             ;   in Loop: Header=BB6_126 Depth=2
	s_or_b64 exec, exec, s[34:35]
	v_add_u32_e32 v3, 0xffffff81, v3
	v_cndmask_b32_e32 v3, v3, v41, vcc
	v_lshrrev_b32_e32 v6, 23, v26
	v_add3_u32 v6, v4, v3, v6
	v_add_u32_e32 v4, 6, v6
	v_and_b32_e32 v3, 0xfffff, v30
	v_add_u32_e32 v60, v3, v26
	v_cmp_ne_u32_e32 vcc, 0, v4
                                        ; implicit-def: $vgpr26_vgpr27
                                        ; implicit-def: $vgpr3
	s_and_saveexec_b64 s[22:23], vcc
	s_xor_b64 s[22:23], exec, s[22:23]
; %bb.1260:                             ;   in Loop: Header=BB6_126 Depth=2
	v_cmp_lt_u64_e32 vcc, s[76:77], v[60:61]
	v_add_u32_e32 v3, 7, v6
	v_cndmask_b32_e32 v3, v4, v3, vcc
	v_cndmask_b32_e64 v4, 0, 1, vcc
	v_lshrrev_b64 v[26:27], v4, v[60:61]
; %bb.1261:                             ;   in Loop: Header=BB6_126 Depth=2
	s_andn2_saveexec_b64 s[22:23], s[22:23]
; %bb.1262:                             ;   in Loop: Header=BB6_126 Depth=2
	v_mov_b32_e32 v26, v60
	v_bfe_u32 v3, v60, 23, 1
	v_mov_b32_e32 v27, v61
; %bb.1263:                             ;   in Loop: Header=BB6_126 Depth=2
	s_or_b64 exec, exec, s[22:23]
	v_lshrrev_b64 v[6:7], 20, v[26:27]
	v_cmp_gt_i32_e32 vcc, 16, v3
	v_cndmask_b32_e32 v7, 0, v7, vcc
	v_cndmask_b32_e32 v6, 7, v6, vcc
	v_cmp_eq_u32_e32 vcc, 0, v3
	v_min_i32_e32 v3, 15, v3
	v_cmp_eq_u64_e64 s[22:23], 0, v[6:7]
	v_lshlrev_b32_e32 v3, 3, v3
	v_and_b32_e32 v3, 0xf8, v3
	v_and_or_b32 v3, v6, 7, v3
	s_and_b64 s[22:23], vcc, s[22:23]
	v_cndmask_b32_e64 v3, v3, 0, s[22:23]
	v_or_b32_e32 v9, v3, v2
.LBB6_1264:                             ;   in Loop: Header=BB6_126 Depth=2
	s_or_b64 exec, exec, s[30:31]
                                        ; implicit-def: $vgpr2
.LBB6_1265:                             ;   in Loop: Header=BB6_126 Depth=2
	s_andn2_saveexec_b64 s[22:23], s[94:95]
; %bb.1266:                             ;   in Loop: Header=BB6_126 Depth=2
	v_or_b32_e32 v9, 0x7e, v2
; %bb.1267:                             ;   in Loop: Header=BB6_126 Depth=2
	s_or_b64 exec, exec, s[22:23]
                                        ; implicit-def: $vgpr3
.LBB6_1268:                             ;   in Loop: Header=BB6_126 Depth=2
	s_andn2_saveexec_b64 s[22:23], s[92:93]
; %bb.1269:                             ;   in Loop: Header=BB6_126 Depth=2
	v_or_b32_sdwa v9, v3, s54 dst_sel:DWORD dst_unused:UNUSED_PAD src0_sel:BYTE_3 src1_sel:DWORD
; %bb.1270:                             ;   in Loop: Header=BB6_126 Depth=2
	s_or_b64 exec, exec, s[22:23]
	v_lshrrev_b32_e32 v27, 16, v34
	v_lshrrev_b32_e32 v26, 16, v28
	v_cmp_ne_u16_sdwa s[22:23], v27, v61 src0_sel:BYTE_0 src1_sel:DWORD
	s_and_b64 vcc, exec, s[20:21]
	s_mov_b64 s[92:93], -1
                                        ; implicit-def: $vgpr3
	s_cbranch_vccnz .LBB6_1284
; %bb.1271:                             ;   in Loop: Header=BB6_126 Depth=2
	v_mov_b32_e32 v3, 0
	v_mov_b32_e32 v2, 0
	s_and_saveexec_b64 s[92:93], s[22:23]
	s_cbranch_execz .LBB6_1277
; %bb.1272:                             ;   in Loop: Header=BB6_126 Depth=2
	v_cmp_ne_u16_sdwa vcc, v27, s53 src0_sel:BYTE_0 src1_sel:DWORD
	v_bfrev_b32_e32 v2, 1
	s_and_saveexec_b64 s[94:95], vcc
	s_cbranch_execz .LBB6_1276
; %bb.1273:                             ;   in Loop: Header=BB6_126 Depth=2
	v_bfe_u32 v4, v34, 16, 7
	v_cmp_ne_u32_e32 vcc, s54, v4
	v_mov_b32_e32 v2, 0x7f800001
	s_and_saveexec_b64 s[30:31], vcc
	s_cbranch_execz .LBB6_1275
; %bb.1274:                             ;   in Loop: Header=BB6_126 Depth=2
	v_and_b32_e32 v2, 7, v27
	v_lshrrev_b32_e32 v8, 3, v4
	v_cmp_gt_u32_e32 vcc, 8, v4
	v_ffbh_u32_e32 v4, v2
	v_min_u32_e32 v4, 32, v4
	v_subrev_u32_e32 v6, 28, v4
	v_lshlrev_b64 v[6:7], v6, v[27:28]
	v_sub_u32_e32 v4, 29, v4
	v_and_b32_e32 v6, 7, v6
	v_cndmask_b32_e32 v4, v8, v4, vcc
	v_cndmask_b32_e32 v2, v2, v6, vcc
	v_lshlrev_b32_e32 v6, 24, v27
	v_lshlrev_b32_e32 v2, 20, v2
	v_and_b32_e32 v6, 0x80000000, v6
	v_lshl_add_u32 v4, v4, 23, v62
	v_or3_b32 v2, v6, v4, v2
.LBB6_1275:                             ;   in Loop: Header=BB6_126 Depth=2
	s_or_b64 exec, exec, s[30:31]
.LBB6_1276:                             ;   in Loop: Header=BB6_126 Depth=2
	s_or_b64 exec, exec, s[94:95]
.LBB6_1277:                             ;   in Loop: Header=BB6_126 Depth=2
	s_or_b64 exec, exec, s[92:93]
	v_cmp_ne_u16_sdwa s[94:95], v26, v61 src0_sel:BYTE_0 src1_sel:DWORD
	s_and_saveexec_b64 s[92:93], s[94:95]
	s_cbranch_execz .LBB6_1283
; %bb.1278:                             ;   in Loop: Header=BB6_126 Depth=2
	v_cmp_ne_u16_sdwa vcc, v26, s53 src0_sel:BYTE_0 src1_sel:DWORD
	v_bfrev_b32_e32 v3, 1
	s_and_saveexec_b64 s[94:95], vcc
	s_cbranch_execz .LBB6_1282
; %bb.1279:                             ;   in Loop: Header=BB6_126 Depth=2
	v_bfe_u32 v4, v28, 16, 7
	v_cmp_ne_u32_e32 vcc, s54, v4
	v_mov_b32_e32 v3, 0x7f800001
	s_and_saveexec_b64 s[30:31], vcc
	s_cbranch_execz .LBB6_1281
; %bb.1280:                             ;   in Loop: Header=BB6_126 Depth=2
	v_and_b32_e32 v6, 7, v26
	v_ffbh_u32_e32 v3, v6
	v_min_u32_e32 v8, 32, v3
	v_subrev_u32_e32 v3, 28, v8
	v_lshrrev_b32_e32 v7, 3, v4
	v_cmp_gt_u32_e32 vcc, 8, v4
	v_lshlrev_b64 v[3:4], v3, v[26:27]
	v_sub_u32_e32 v4, 29, v8
	v_and_b32_e32 v3, 7, v3
	v_cndmask_b32_e32 v4, v7, v4, vcc
	v_cndmask_b32_e32 v3, v6, v3, vcc
	v_lshlrev_b32_e32 v6, 24, v26
	v_lshlrev_b32_e32 v3, 20, v3
	v_and_b32_e32 v6, 0x80000000, v6
	v_lshl_add_u32 v4, v4, 23, v62
	v_or3_b32 v3, v6, v4, v3
.LBB6_1281:                             ;   in Loop: Header=BB6_126 Depth=2
	s_or_b64 exec, exec, s[30:31]
.LBB6_1282:                             ;   in Loop: Header=BB6_126 Depth=2
	s_or_b64 exec, exec, s[94:95]
.LBB6_1283:                             ;   in Loop: Header=BB6_126 Depth=2
	s_or_b64 exec, exec, s[92:93]
	v_max_f32_e32 v3, v3, v3
	v_max_f32_e32 v2, v2, v2
	;; [unrolled: 1-line block ×3, first 2 shown]
	s_mov_b64 s[92:93], 0
.LBB6_1284:                             ;   in Loop: Header=BB6_126 Depth=2
	s_and_b64 vcc, exec, s[92:93]
	s_cbranch_vccz .LBB6_1298
; %bb.1285:                             ;   in Loop: Header=BB6_126 Depth=2
	v_mov_b32_e32 v3, 0
	v_mov_b32_e32 v2, 0
	s_and_saveexec_b64 s[92:93], s[22:23]
	s_cbranch_execz .LBB6_1291
; %bb.1286:                             ;   in Loop: Header=BB6_126 Depth=2
	v_cmp_ne_u16_sdwa s[94:95], v27, s53 src0_sel:BYTE_0 src1_sel:DWORD
	v_bfrev_b32_e32 v2, 1
	s_and_saveexec_b64 s[22:23], s[94:95]
	s_cbranch_execz .LBB6_1290
; %bb.1287:                             ;   in Loop: Header=BB6_126 Depth=2
	v_bfe_u32 v4, v34, 16, 7
	v_cmp_ne_u32_e32 vcc, s54, v4
	v_mov_b32_e32 v2, 0x7f800001
	s_and_saveexec_b64 s[94:95], vcc
	s_cbranch_execz .LBB6_1289
; %bb.1288:                             ;   in Loop: Header=BB6_126 Depth=2
	v_and_b32_e32 v2, 7, v27
	v_lshrrev_b32_e32 v8, 3, v4
	v_cmp_gt_u32_e32 vcc, 8, v4
	v_ffbh_u32_e32 v4, v2
	v_min_u32_e32 v4, 32, v4
	v_subrev_u32_e32 v6, 28, v4
	v_lshlrev_b64 v[6:7], v6, v[27:28]
	v_sub_u32_e32 v4, 29, v4
	v_and_b32_e32 v6, 7, v6
	v_cndmask_b32_e32 v4, v8, v4, vcc
	v_cndmask_b32_e32 v2, v2, v6, vcc
	v_lshlrev_b32_e32 v6, 24, v27
	v_lshlrev_b32_e32 v2, 20, v2
	v_and_b32_e32 v6, 0x80000000, v6
	v_lshl_add_u32 v4, v4, 23, v62
	v_or3_b32 v2, v6, v4, v2
.LBB6_1289:                             ;   in Loop: Header=BB6_126 Depth=2
	s_or_b64 exec, exec, s[94:95]
.LBB6_1290:                             ;   in Loop: Header=BB6_126 Depth=2
	s_or_b64 exec, exec, s[22:23]
.LBB6_1291:                             ;   in Loop: Header=BB6_126 Depth=2
	s_or_b64 exec, exec, s[92:93]
	v_cmp_ne_u16_sdwa s[92:93], v26, v61 src0_sel:BYTE_0 src1_sel:DWORD
	s_and_saveexec_b64 s[22:23], s[92:93]
	s_cbranch_execz .LBB6_1297
; %bb.1292:                             ;   in Loop: Header=BB6_126 Depth=2
	v_cmp_ne_u16_sdwa s[94:95], v26, s53 src0_sel:BYTE_0 src1_sel:DWORD
	v_bfrev_b32_e32 v3, 1
	s_and_saveexec_b64 s[92:93], s[94:95]
	s_cbranch_execz .LBB6_1296
; %bb.1293:                             ;   in Loop: Header=BB6_126 Depth=2
	v_bfe_u32 v4, v28, 16, 7
	v_cmp_ne_u32_e32 vcc, s54, v4
	v_mov_b32_e32 v3, 0x7f800001
	s_and_saveexec_b64 s[94:95], vcc
	s_cbranch_execz .LBB6_1295
; %bb.1294:                             ;   in Loop: Header=BB6_126 Depth=2
	v_and_b32_e32 v6, 7, v26
	v_ffbh_u32_e32 v3, v6
	v_min_u32_e32 v8, 32, v3
	v_subrev_u32_e32 v3, 28, v8
	v_lshrrev_b32_e32 v7, 3, v4
	v_cmp_gt_u32_e32 vcc, 8, v4
	v_lshlrev_b64 v[3:4], v3, v[26:27]
	v_sub_u32_e32 v4, 29, v8
	v_and_b32_e32 v3, 7, v3
	v_cndmask_b32_e32 v4, v7, v4, vcc
	v_cndmask_b32_e32 v3, v6, v3, vcc
	v_lshlrev_b32_e32 v6, 24, v26
	v_lshlrev_b32_e32 v3, 20, v3
	v_and_b32_e32 v6, 0x80000000, v6
	v_lshl_add_u32 v4, v4, 23, v62
	v_or3_b32 v3, v6, v4, v3
.LBB6_1295:                             ;   in Loop: Header=BB6_126 Depth=2
	s_or_b64 exec, exec, s[94:95]
.LBB6_1296:                             ;   in Loop: Header=BB6_126 Depth=2
	s_or_b64 exec, exec, s[92:93]
.LBB6_1297:                             ;   in Loop: Header=BB6_126 Depth=2
	s_or_b64 exec, exec, s[22:23]
	v_max_f32_e32 v3, v3, v3
	v_max_f32_e32 v2, v2, v2
	v_min_f32_e32 v3, v2, v3
.LBB6_1298:                             ;   in Loop: Header=BB6_126 Depth=2
	v_and_b32_e32 v60, 0x7f800000, v3
	v_cmp_ne_u64_e32 vcc, s[72:73], v[60:61]
	buffer_store_dword v9, off, s[0:3], s33 offset:164 ; 4-byte Folded Spill
                                        ; implicit-def: $vgpr9
	s_and_saveexec_b64 s[22:23], vcc
	s_xor_b64 s[92:93], exec, s[22:23]
	s_cbranch_execz .LBB6_1312
; %bb.1299:                             ;   in Loop: Header=BB6_126 Depth=2
	v_and_b32_e32 v60, 0x7fffffff, v3
	v_cmp_gt_u64_e32 vcc, s[74:75], v[60:61]
	v_and_b32_sdwa v2, v3, s53 dst_sel:DWORD dst_unused:UNUSED_PAD src0_sel:BYTE_3 src1_sel:DWORD
                                        ; implicit-def: $vgpr9
	s_and_saveexec_b64 s[22:23], vcc
	s_xor_b64 s[94:95], exec, s[22:23]
	s_cbranch_execz .LBB6_1309
; %bb.1300:                             ;   in Loop: Header=BB6_126 Depth=2
	v_mov_b32_e32 v9, 0
	v_cmp_ne_u32_e32 vcc, 0, v3
	s_and_saveexec_b64 s[30:31], vcc
	s_cbranch_execz .LBB6_1308
; %bb.1301:                             ;   in Loop: Header=BB6_126 Depth=2
	v_and_b32_e32 v6, 0x7fffff, v3
	v_bfe_u32 v3, v3, 23, 8
	v_cmp_gt_u32_e64 s[22:23], s64, v3
	v_sub_u32_e32 v4, 0x79, v3
	v_cmp_eq_u32_e32 vcc, 0, v3
	v_cndmask_b32_e64 v4, 0, v4, s[22:23]
	v_mov_b32_e32 v8, 0x78
	v_or_b32_e32 v7, 0x800000, v6
	v_cndmask_b32_e32 v4, v4, v8, vcc
	v_cndmask_b32_e32 v60, v7, v6, vcc
	v_add_u32_e32 v6, 20, v4
	v_lshlrev_b64 v[6:7], v6, -1
	v_add_u32_e32 v8, 19, v4
	v_lshlrev_b64 v[8:9], v8, 1
	v_lshrrev_b64 v[26:27], v4, v[60:61]
	v_bfi_b32 v7, v7, 0, 0
	v_bfi_b32 v6, v6, 0, v60
	v_cmp_eq_u64_e64 s[22:23], v[6:7], v[8:9]
	v_mov_b32_e32 v31, v27
	v_mov_b32_e32 v30, v26
	s_and_saveexec_b64 s[34:35], s[22:23]
; %bb.1302:                             ;   in Loop: Header=BB6_126 Depth=2
	v_bfe_u32 v6, v26, 20, 1
	v_add_co_u32_e64 v6, s[22:23], v26, v6
	v_add_co_u32_e64 v30, s[22:23], -1, v6
; %bb.1303:                             ;   in Loop: Header=BB6_126 Depth=2
	s_or_b64 exec, exec, s[34:35]
	v_add_u32_e32 v3, 0xffffff81, v3
	v_cndmask_b32_e32 v3, v3, v41, vcc
	v_lshrrev_b32_e32 v6, 23, v26
	v_add3_u32 v6, v4, v3, v6
	v_add_u32_e32 v4, 6, v6
	v_and_b32_e32 v3, 0xfffff, v30
	v_add_u32_e32 v60, v3, v26
	v_cmp_ne_u32_e32 vcc, 0, v4
                                        ; implicit-def: $vgpr26_vgpr27
                                        ; implicit-def: $vgpr3
	s_and_saveexec_b64 s[22:23], vcc
	s_xor_b64 s[22:23], exec, s[22:23]
; %bb.1304:                             ;   in Loop: Header=BB6_126 Depth=2
	v_cmp_lt_u64_e32 vcc, s[76:77], v[60:61]
	v_add_u32_e32 v3, 7, v6
	v_cndmask_b32_e32 v3, v4, v3, vcc
	v_cndmask_b32_e64 v4, 0, 1, vcc
	v_lshrrev_b64 v[26:27], v4, v[60:61]
; %bb.1305:                             ;   in Loop: Header=BB6_126 Depth=2
	s_andn2_saveexec_b64 s[22:23], s[22:23]
; %bb.1306:                             ;   in Loop: Header=BB6_126 Depth=2
	v_mov_b32_e32 v26, v60
	v_bfe_u32 v3, v60, 23, 1
	v_mov_b32_e32 v27, v61
; %bb.1307:                             ;   in Loop: Header=BB6_126 Depth=2
	s_or_b64 exec, exec, s[22:23]
	v_lshrrev_b64 v[6:7], 20, v[26:27]
	v_cmp_gt_i32_e32 vcc, 16, v3
	v_cndmask_b32_e32 v7, 0, v7, vcc
	v_cndmask_b32_e32 v6, 7, v6, vcc
	v_cmp_eq_u32_e32 vcc, 0, v3
	v_min_i32_e32 v3, 15, v3
	v_cmp_eq_u64_e64 s[22:23], 0, v[6:7]
	v_lshlrev_b32_e32 v3, 3, v3
	v_and_b32_e32 v3, 0xf8, v3
	v_and_or_b32 v3, v6, 7, v3
	s_and_b64 s[22:23], vcc, s[22:23]
	v_cndmask_b32_e64 v3, v3, 0, s[22:23]
	v_or_b32_e32 v9, v3, v2
.LBB6_1308:                             ;   in Loop: Header=BB6_126 Depth=2
	s_or_b64 exec, exec, s[30:31]
                                        ; implicit-def: $vgpr2
.LBB6_1309:                             ;   in Loop: Header=BB6_126 Depth=2
	s_andn2_saveexec_b64 s[22:23], s[94:95]
; %bb.1310:                             ;   in Loop: Header=BB6_126 Depth=2
	v_or_b32_e32 v9, 0x7e, v2
; %bb.1311:                             ;   in Loop: Header=BB6_126 Depth=2
	s_or_b64 exec, exec, s[22:23]
                                        ; implicit-def: $vgpr3
.LBB6_1312:                             ;   in Loop: Header=BB6_126 Depth=2
	s_andn2_saveexec_b64 s[22:23], s[92:93]
; %bb.1313:                             ;   in Loop: Header=BB6_126 Depth=2
	v_or_b32_sdwa v9, v3, s54 dst_sel:DWORD dst_unused:UNUSED_PAD src0_sel:BYTE_3 src1_sel:DWORD
; %bb.1314:                             ;   in Loop: Header=BB6_126 Depth=2
	s_or_b64 exec, exec, s[22:23]
	v_lshrrev_b32_e32 v27, 24, v34
	v_lshrrev_b32_e32 v26, 24, v28
	v_cmp_lt_u32_e64 s[22:23], s79, v34
	s_and_b64 vcc, exec, s[20:21]
	s_mov_b64 s[92:93], -1
                                        ; implicit-def: $vgpr3
	s_cbranch_vccnz .LBB6_1328
; %bb.1315:                             ;   in Loop: Header=BB6_126 Depth=2
	v_mov_b32_e32 v3, 0
	v_mov_b32_e32 v2, 0
	s_and_saveexec_b64 s[92:93], s[22:23]
	s_cbranch_execz .LBB6_1321
; %bb.1316:                             ;   in Loop: Header=BB6_126 Depth=2
	v_cmp_ne_u32_e32 vcc, s53, v27
	v_bfrev_b32_e32 v2, 1
	s_and_saveexec_b64 s[94:95], vcc
	s_cbranch_execz .LBB6_1320
; %bb.1317:                             ;   in Loop: Header=BB6_126 Depth=2
	v_bfe_u32 v4, v34, 24, 7
	v_cmp_ne_u32_e32 vcc, s54, v4
	v_mov_b32_e32 v2, 0x7f800001
	s_and_saveexec_b64 s[30:31], vcc
	s_cbranch_execz .LBB6_1319
; %bb.1318:                             ;   in Loop: Header=BB6_126 Depth=2
	v_and_b32_e32 v2, 7, v27
	v_lshrrev_b32_e32 v8, 3, v4
	v_cmp_gt_u32_e32 vcc, 8, v4
	v_ffbh_u32_e32 v4, v2
	v_min_u32_e32 v4, 32, v4
	v_subrev_u32_e32 v6, 28, v4
	v_lshlrev_b64 v[6:7], v6, v[27:28]
	v_sub_u32_e32 v4, 29, v4
	v_and_b32_e32 v6, 7, v6
	v_cndmask_b32_e32 v4, v8, v4, vcc
	v_cndmask_b32_e32 v2, v2, v6, vcc
	v_lshlrev_b32_e32 v6, 24, v27
	v_lshlrev_b32_e32 v2, 20, v2
	v_and_b32_e32 v6, 0x80000000, v6
	v_lshl_add_u32 v4, v4, 23, v62
	v_or3_b32 v2, v6, v4, v2
.LBB6_1319:                             ;   in Loop: Header=BB6_126 Depth=2
	s_or_b64 exec, exec, s[30:31]
.LBB6_1320:                             ;   in Loop: Header=BB6_126 Depth=2
	s_or_b64 exec, exec, s[94:95]
.LBB6_1321:                             ;   in Loop: Header=BB6_126 Depth=2
	s_or_b64 exec, exec, s[92:93]
	v_cmp_lt_u32_e32 vcc, s79, v28
	s_and_saveexec_b64 s[92:93], vcc
	s_cbranch_execz .LBB6_1327
; %bb.1322:                             ;   in Loop: Header=BB6_126 Depth=2
	v_cmp_ne_u32_e32 vcc, s53, v26
	v_bfrev_b32_e32 v3, 1
	s_and_saveexec_b64 s[94:95], vcc
	s_cbranch_execz .LBB6_1326
; %bb.1323:                             ;   in Loop: Header=BB6_126 Depth=2
	v_bfe_u32 v4, v28, 24, 7
	v_cmp_ne_u32_e32 vcc, s54, v4
	v_mov_b32_e32 v3, 0x7f800001
	s_and_saveexec_b64 s[30:31], vcc
	s_cbranch_execz .LBB6_1325
; %bb.1324:                             ;   in Loop: Header=BB6_126 Depth=2
	v_and_b32_e32 v6, 7, v26
	v_ffbh_u32_e32 v3, v6
	v_min_u32_e32 v8, 32, v3
	v_subrev_u32_e32 v3, 28, v8
	v_lshrrev_b32_e32 v7, 3, v4
	v_cmp_gt_u32_e32 vcc, 8, v4
	v_lshlrev_b64 v[3:4], v3, v[26:27]
	v_sub_u32_e32 v4, 29, v8
	v_and_b32_e32 v3, 7, v3
	v_cndmask_b32_e32 v4, v7, v4, vcc
	v_cndmask_b32_e32 v3, v6, v3, vcc
	v_lshlrev_b32_e32 v6, 24, v26
	v_lshlrev_b32_e32 v3, 20, v3
	v_and_b32_e32 v6, 0x80000000, v6
	v_lshl_add_u32 v4, v4, 23, v62
	v_or3_b32 v3, v6, v4, v3
.LBB6_1325:                             ;   in Loop: Header=BB6_126 Depth=2
	s_or_b64 exec, exec, s[30:31]
.LBB6_1326:                             ;   in Loop: Header=BB6_126 Depth=2
	s_or_b64 exec, exec, s[94:95]
.LBB6_1327:                             ;   in Loop: Header=BB6_126 Depth=2
	s_or_b64 exec, exec, s[92:93]
	v_max_f32_e32 v3, v3, v3
	v_max_f32_e32 v2, v2, v2
	;; [unrolled: 1-line block ×3, first 2 shown]
	s_mov_b64 s[92:93], 0
.LBB6_1328:                             ;   in Loop: Header=BB6_126 Depth=2
	s_and_b64 vcc, exec, s[92:93]
	s_cbranch_vccz .LBB6_1342
; %bb.1329:                             ;   in Loop: Header=BB6_126 Depth=2
	v_mov_b32_e32 v3, 0
	v_mov_b32_e32 v2, 0
	s_and_saveexec_b64 s[92:93], s[22:23]
	s_cbranch_execz .LBB6_1335
; %bb.1330:                             ;   in Loop: Header=BB6_126 Depth=2
	v_cmp_ne_u32_e32 vcc, s53, v27
	v_bfrev_b32_e32 v2, 1
	s_and_saveexec_b64 s[22:23], vcc
	s_cbranch_execz .LBB6_1334
; %bb.1331:                             ;   in Loop: Header=BB6_126 Depth=2
	v_bfe_u32 v4, v34, 24, 7
	v_cmp_ne_u32_e32 vcc, s54, v4
	v_mov_b32_e32 v2, 0x7f800001
	s_and_saveexec_b64 s[94:95], vcc
	s_cbranch_execz .LBB6_1333
; %bb.1332:                             ;   in Loop: Header=BB6_126 Depth=2
	v_and_b32_e32 v2, 7, v27
	v_lshrrev_b32_e32 v8, 3, v4
	v_cmp_gt_u32_e32 vcc, 8, v4
	v_ffbh_u32_e32 v4, v2
	v_min_u32_e32 v4, 32, v4
	v_subrev_u32_e32 v6, 28, v4
	v_lshlrev_b64 v[6:7], v6, v[27:28]
	v_sub_u32_e32 v4, 29, v4
	v_and_b32_e32 v6, 7, v6
	v_cndmask_b32_e32 v4, v8, v4, vcc
	v_cndmask_b32_e32 v2, v2, v6, vcc
	v_lshlrev_b32_e32 v6, 24, v27
	v_lshlrev_b32_e32 v2, 20, v2
	v_and_b32_e32 v6, 0x80000000, v6
	v_lshl_add_u32 v4, v4, 23, v62
	v_or3_b32 v2, v6, v4, v2
.LBB6_1333:                             ;   in Loop: Header=BB6_126 Depth=2
	s_or_b64 exec, exec, s[94:95]
.LBB6_1334:                             ;   in Loop: Header=BB6_126 Depth=2
	s_or_b64 exec, exec, s[22:23]
.LBB6_1335:                             ;   in Loop: Header=BB6_126 Depth=2
	s_or_b64 exec, exec, s[92:93]
	v_cmp_lt_u32_e32 vcc, s79, v28
	s_and_saveexec_b64 s[22:23], vcc
	s_cbranch_execz .LBB6_1341
; %bb.1336:                             ;   in Loop: Header=BB6_126 Depth=2
	v_cmp_ne_u32_e32 vcc, s53, v26
	v_bfrev_b32_e32 v3, 1
	s_and_saveexec_b64 s[92:93], vcc
	s_cbranch_execz .LBB6_1340
; %bb.1337:                             ;   in Loop: Header=BB6_126 Depth=2
	v_bfe_u32 v4, v28, 24, 7
	v_cmp_ne_u32_e32 vcc, s54, v4
	v_mov_b32_e32 v3, 0x7f800001
	s_and_saveexec_b64 s[94:95], vcc
	s_cbranch_execz .LBB6_1339
; %bb.1338:                             ;   in Loop: Header=BB6_126 Depth=2
	v_and_b32_e32 v6, 7, v26
	v_ffbh_u32_e32 v3, v6
	v_min_u32_e32 v8, 32, v3
	v_subrev_u32_e32 v3, 28, v8
	v_lshrrev_b32_e32 v7, 3, v4
	v_cmp_gt_u32_e32 vcc, 8, v4
	v_lshlrev_b64 v[3:4], v3, v[26:27]
	v_sub_u32_e32 v4, 29, v8
	v_and_b32_e32 v3, 7, v3
	v_cndmask_b32_e32 v4, v7, v4, vcc
	v_cndmask_b32_e32 v3, v6, v3, vcc
	v_lshlrev_b32_e32 v6, 24, v26
	v_lshlrev_b32_e32 v3, 20, v3
	v_and_b32_e32 v6, 0x80000000, v6
	v_lshl_add_u32 v4, v4, 23, v62
	v_or3_b32 v3, v6, v4, v3
.LBB6_1339:                             ;   in Loop: Header=BB6_126 Depth=2
	s_or_b64 exec, exec, s[94:95]
.LBB6_1340:                             ;   in Loop: Header=BB6_126 Depth=2
	s_or_b64 exec, exec, s[92:93]
.LBB6_1341:                             ;   in Loop: Header=BB6_126 Depth=2
	s_or_b64 exec, exec, s[22:23]
	v_max_f32_e32 v3, v3, v3
	v_max_f32_e32 v2, v2, v2
	v_min_f32_e32 v3, v2, v3
.LBB6_1342:                             ;   in Loop: Header=BB6_126 Depth=2
	v_and_b32_e32 v60, 0x7f800000, v3
	v_cmp_ne_u64_e32 vcc, s[72:73], v[60:61]
	buffer_store_dword v9, off, s[0:3], s33 offset:168 ; 4-byte Folded Spill
                                        ; implicit-def: $vgpr2
                                        ; kill: killed $vgpr2
	s_and_saveexec_b64 s[22:23], vcc
	s_xor_b64 s[92:93], exec, s[22:23]
	s_cbranch_execz .LBB6_1356
; %bb.1343:                             ;   in Loop: Header=BB6_126 Depth=2
	v_and_b32_e32 v60, 0x7fffffff, v3
	v_cmp_gt_u64_e32 vcc, s[74:75], v[60:61]
	v_and_b32_sdwa v2, v3, s53 dst_sel:DWORD dst_unused:UNUSED_PAD src0_sel:BYTE_3 src1_sel:DWORD
                                        ; implicit-def: $vgpr4
                                        ; kill: killed $vgpr4
	s_and_saveexec_b64 s[22:23], vcc
	s_xor_b64 s[94:95], exec, s[22:23]
	s_cbranch_execz .LBB6_1353
; %bb.1344:                             ;   in Loop: Header=BB6_126 Depth=2
	v_mov_b32_e32 v4, 0
	v_cmp_ne_u32_e32 vcc, 0, v3
	buffer_store_dword v4, off, s[0:3], s33 offset:108 ; 4-byte Folded Spill
	s_and_saveexec_b64 s[30:31], vcc
	s_cbranch_execz .LBB6_1352
; %bb.1345:                             ;   in Loop: Header=BB6_126 Depth=2
	v_and_b32_e32 v6, 0x7fffff, v3
	v_bfe_u32 v3, v3, 23, 8
	v_cmp_gt_u32_e64 s[22:23], s64, v3
	v_sub_u32_e32 v4, 0x79, v3
	v_cmp_eq_u32_e32 vcc, 0, v3
	v_cndmask_b32_e64 v4, 0, v4, s[22:23]
	v_mov_b32_e32 v8, 0x78
	v_or_b32_e32 v7, 0x800000, v6
	v_cndmask_b32_e32 v4, v4, v8, vcc
	v_cndmask_b32_e32 v60, v7, v6, vcc
	v_add_u32_e32 v6, 20, v4
	v_lshlrev_b64 v[6:7], v6, -1
	v_add_u32_e32 v8, 19, v4
	v_lshlrev_b64 v[8:9], v8, 1
	v_lshrrev_b64 v[26:27], v4, v[60:61]
	v_bfi_b32 v7, v7, 0, 0
	v_bfi_b32 v6, v6, 0, v60
	v_cmp_eq_u64_e64 s[22:23], v[6:7], v[8:9]
	v_mov_b32_e32 v31, v27
	v_mov_b32_e32 v30, v26
	s_and_saveexec_b64 s[34:35], s[22:23]
; %bb.1346:                             ;   in Loop: Header=BB6_126 Depth=2
	v_bfe_u32 v6, v26, 20, 1
	v_add_co_u32_e64 v6, s[22:23], v26, v6
	v_add_co_u32_e64 v30, s[22:23], -1, v6
; %bb.1347:                             ;   in Loop: Header=BB6_126 Depth=2
	s_or_b64 exec, exec, s[34:35]
	v_add_u32_e32 v3, 0xffffff81, v3
	v_cndmask_b32_e32 v3, v3, v41, vcc
	v_lshrrev_b32_e32 v6, 23, v26
	v_add3_u32 v6, v4, v3, v6
	v_add_u32_e32 v4, 6, v6
	v_and_b32_e32 v3, 0xfffff, v30
	v_add_u32_e32 v60, v3, v26
	v_cmp_ne_u32_e32 vcc, 0, v4
                                        ; implicit-def: $vgpr26_vgpr27
                                        ; implicit-def: $vgpr3
	s_and_saveexec_b64 s[22:23], vcc
	s_xor_b64 s[22:23], exec, s[22:23]
; %bb.1348:                             ;   in Loop: Header=BB6_126 Depth=2
	v_cmp_lt_u64_e32 vcc, s[76:77], v[60:61]
	v_add_u32_e32 v3, 7, v6
	v_cndmask_b32_e32 v3, v4, v3, vcc
	v_cndmask_b32_e64 v4, 0, 1, vcc
	v_lshrrev_b64 v[26:27], v4, v[60:61]
; %bb.1349:                             ;   in Loop: Header=BB6_126 Depth=2
	s_andn2_saveexec_b64 s[22:23], s[22:23]
; %bb.1350:                             ;   in Loop: Header=BB6_126 Depth=2
	v_mov_b32_e32 v26, v60
	v_bfe_u32 v3, v60, 23, 1
	v_mov_b32_e32 v27, v61
; %bb.1351:                             ;   in Loop: Header=BB6_126 Depth=2
	s_or_b64 exec, exec, s[22:23]
	v_lshrrev_b64 v[6:7], 20, v[26:27]
	v_cmp_gt_i32_e32 vcc, 16, v3
	v_cndmask_b32_e32 v7, 0, v7, vcc
	v_cndmask_b32_e32 v6, 7, v6, vcc
	v_cmp_eq_u32_e32 vcc, 0, v3
	v_min_i32_e32 v3, 15, v3
	v_cmp_eq_u64_e64 s[22:23], 0, v[6:7]
	v_lshlrev_b32_e32 v3, 3, v3
	v_and_b32_e32 v3, 0xf8, v3
	v_and_or_b32 v3, v6, 7, v3
	s_and_b64 s[22:23], vcc, s[22:23]
	v_cndmask_b32_e64 v3, v3, 0, s[22:23]
	v_or_b32_e32 v2, v3, v2
	buffer_store_dword v2, off, s[0:3], s33 offset:108 ; 4-byte Folded Spill
.LBB6_1352:                             ;   in Loop: Header=BB6_126 Depth=2
	s_or_b64 exec, exec, s[30:31]
                                        ; implicit-def: $vgpr2
.LBB6_1353:                             ;   in Loop: Header=BB6_126 Depth=2
	s_andn2_saveexec_b64 s[22:23], s[94:95]
	s_cbranch_execz .LBB6_1355
; %bb.1354:                             ;   in Loop: Header=BB6_126 Depth=2
	v_or_b32_e32 v2, 0x7e, v2
	buffer_store_dword v2, off, s[0:3], s33 offset:108 ; 4-byte Folded Spill
.LBB6_1355:                             ;   in Loop: Header=BB6_126 Depth=2
	s_or_b64 exec, exec, s[22:23]
                                        ; implicit-def: $vgpr3
.LBB6_1356:                             ;   in Loop: Header=BB6_126 Depth=2
	s_andn2_saveexec_b64 s[22:23], s[92:93]
	s_cbranch_execz .LBB6_1358
; %bb.1357:                             ;   in Loop: Header=BB6_126 Depth=2
	v_or_b32_sdwa v2, v3, s54 dst_sel:DWORD dst_unused:UNUSED_PAD src0_sel:BYTE_3 src1_sel:DWORD
	buffer_store_dword v2, off, s[0:3], s33 offset:108 ; 4-byte Folded Spill
.LBB6_1358:                             ;   in Loop: Header=BB6_126 Depth=2
	s_or_b64 exec, exec, s[22:23]
	v_mov_b32_e32 v60, v35
	v_mov_b32_e32 v26, v29
	v_mov_b32_e32 v27, v61
	v_cmp_ne_u16_sdwa s[22:23], v35, v61 src0_sel:BYTE_0 src1_sel:DWORD
	s_and_b64 vcc, exec, s[20:21]
	s_mov_b64 s[92:93], -1
                                        ; implicit-def: $vgpr3
	s_cbranch_vccnz .LBB6_1372
; %bb.1359:                             ;   in Loop: Header=BB6_126 Depth=2
	v_mov_b32_e32 v3, 0
	v_mov_b32_e32 v2, 0
	s_and_saveexec_b64 s[92:93], s[22:23]
	s_cbranch_execz .LBB6_1365
; %bb.1360:                             ;   in Loop: Header=BB6_126 Depth=2
	v_cmp_ne_u16_sdwa vcc, v35, s53 src0_sel:BYTE_0 src1_sel:DWORD
	v_bfrev_b32_e32 v2, 1
	s_and_saveexec_b64 s[94:95], vcc
	s_cbranch_execz .LBB6_1364
; %bb.1361:                             ;   in Loop: Header=BB6_126 Depth=2
	v_and_b32_e32 v4, 0x7f, v35
	v_cmp_ne_u32_e32 vcc, s54, v4
	v_mov_b32_e32 v2, 0x7f800001
	s_and_saveexec_b64 s[30:31], vcc
	s_cbranch_execz .LBB6_1363
; %bb.1362:                             ;   in Loop: Header=BB6_126 Depth=2
	v_and_b32_e32 v2, 7, v35
	v_ffbh_u32_e32 v2, v2
	v_min_u32_e32 v2, 32, v2
	v_lshrrev_b32_e32 v6, 3, v4
	v_cmp_gt_u32_e32 vcc, 8, v4
	v_subrev_u32_e32 v4, 28, v2
	v_sub_u32_e32 v2, 29, v2
	v_cndmask_b32_e32 v4, 0, v4, vcc
	v_cndmask_b32_e32 v2, v6, v2, vcc
	v_lshlrev_b64 v[6:7], v4, v[60:61]
	v_lshl_add_u32 v2, v2, 23, v62
	v_lshlrev_b32_e32 v4, 20, v6
	v_lshlrev_b32_e32 v6, 24, v60
	v_and_b32_e32 v4, 0x700000, v4
	v_and_b32_e32 v6, 0x80000000, v6
	v_or3_b32 v2, v6, v2, v4
.LBB6_1363:                             ;   in Loop: Header=BB6_126 Depth=2
	s_or_b64 exec, exec, s[30:31]
.LBB6_1364:                             ;   in Loop: Header=BB6_126 Depth=2
	s_or_b64 exec, exec, s[94:95]
.LBB6_1365:                             ;   in Loop: Header=BB6_126 Depth=2
	s_or_b64 exec, exec, s[92:93]
	v_cmp_ne_u16_sdwa s[94:95], v29, v61 src0_sel:BYTE_0 src1_sel:DWORD
	s_and_saveexec_b64 s[92:93], s[94:95]
	s_cbranch_execz .LBB6_1371
; %bb.1366:                             ;   in Loop: Header=BB6_126 Depth=2
	v_cmp_ne_u16_sdwa vcc, v29, s53 src0_sel:BYTE_0 src1_sel:DWORD
	v_bfrev_b32_e32 v3, 1
	s_and_saveexec_b64 s[94:95], vcc
	s_cbranch_execz .LBB6_1370
; %bb.1367:                             ;   in Loop: Header=BB6_126 Depth=2
	v_and_b32_e32 v4, 0x7f, v29
	v_cmp_ne_u32_e32 vcc, s54, v4
	v_mov_b32_e32 v3, 0x7f800001
	s_and_saveexec_b64 s[30:31], vcc
	s_cbranch_execz .LBB6_1369
; %bb.1368:                             ;   in Loop: Header=BB6_126 Depth=2
	v_and_b32_e32 v3, 7, v29
	v_ffbh_u32_e32 v3, v3
	v_min_u32_e32 v3, 32, v3
	v_lshrrev_b32_e32 v6, 3, v4
	v_cmp_gt_u32_e32 vcc, 8, v4
	v_subrev_u32_e32 v4, 28, v3
	v_sub_u32_e32 v3, 29, v3
	v_cndmask_b32_e32 v6, v6, v3, vcc
	v_cndmask_b32_e32 v3, 0, v4, vcc
	v_lshlrev_b64 v[3:4], v3, v[26:27]
	v_lshlrev_b32_e32 v4, 24, v26
	v_lshlrev_b32_e32 v3, 20, v3
	v_and_b32_e32 v3, 0x700000, v3
	v_and_b32_e32 v4, 0x80000000, v4
	v_lshl_add_u32 v6, v6, 23, v62
	v_or3_b32 v3, v4, v6, v3
.LBB6_1369:                             ;   in Loop: Header=BB6_126 Depth=2
	s_or_b64 exec, exec, s[30:31]
.LBB6_1370:                             ;   in Loop: Header=BB6_126 Depth=2
	s_or_b64 exec, exec, s[94:95]
.LBB6_1371:                             ;   in Loop: Header=BB6_126 Depth=2
	s_or_b64 exec, exec, s[92:93]
	v_max_f32_e32 v3, v3, v3
	v_max_f32_e32 v2, v2, v2
	;; [unrolled: 1-line block ×3, first 2 shown]
	s_mov_b64 s[92:93], 0
.LBB6_1372:                             ;   in Loop: Header=BB6_126 Depth=2
	s_and_b64 vcc, exec, s[92:93]
	s_cbranch_vccz .LBB6_1386
; %bb.1373:                             ;   in Loop: Header=BB6_126 Depth=2
	v_mov_b32_e32 v3, 0
	v_mov_b32_e32 v2, 0
	s_and_saveexec_b64 s[92:93], s[22:23]
	s_cbranch_execz .LBB6_1379
; %bb.1374:                             ;   in Loop: Header=BB6_126 Depth=2
	v_cmp_ne_u16_sdwa s[94:95], v35, s53 src0_sel:BYTE_0 src1_sel:DWORD
	v_bfrev_b32_e32 v2, 1
	s_and_saveexec_b64 s[22:23], s[94:95]
	s_cbranch_execz .LBB6_1378
; %bb.1375:                             ;   in Loop: Header=BB6_126 Depth=2
	v_and_b32_e32 v4, 0x7f, v35
	v_cmp_ne_u32_e32 vcc, s54, v4
	v_mov_b32_e32 v2, 0x7f800001
	s_and_saveexec_b64 s[94:95], vcc
	s_cbranch_execz .LBB6_1377
; %bb.1376:                             ;   in Loop: Header=BB6_126 Depth=2
	v_and_b32_e32 v2, 7, v35
	v_ffbh_u32_e32 v2, v2
	v_min_u32_e32 v2, 32, v2
	v_lshrrev_b32_e32 v6, 3, v4
	v_cmp_gt_u32_e32 vcc, 8, v4
	v_subrev_u32_e32 v4, 28, v2
	v_sub_u32_e32 v2, 29, v2
	v_cndmask_b32_e32 v4, 0, v4, vcc
	v_cndmask_b32_e32 v2, v6, v2, vcc
	v_lshlrev_b64 v[6:7], v4, v[60:61]
	v_lshl_add_u32 v2, v2, 23, v62
	v_lshlrev_b32_e32 v4, 20, v6
	v_lshlrev_b32_e32 v6, 24, v60
	v_and_b32_e32 v4, 0x700000, v4
	v_and_b32_e32 v6, 0x80000000, v6
	v_or3_b32 v2, v6, v2, v4
.LBB6_1377:                             ;   in Loop: Header=BB6_126 Depth=2
	s_or_b64 exec, exec, s[94:95]
.LBB6_1378:                             ;   in Loop: Header=BB6_126 Depth=2
	s_or_b64 exec, exec, s[22:23]
.LBB6_1379:                             ;   in Loop: Header=BB6_126 Depth=2
	s_or_b64 exec, exec, s[92:93]
	v_cmp_ne_u16_sdwa s[92:93], v29, v61 src0_sel:BYTE_0 src1_sel:DWORD
	s_and_saveexec_b64 s[22:23], s[92:93]
	s_cbranch_execz .LBB6_1385
; %bb.1380:                             ;   in Loop: Header=BB6_126 Depth=2
	v_cmp_ne_u16_sdwa s[94:95], v29, s53 src0_sel:BYTE_0 src1_sel:DWORD
	v_bfrev_b32_e32 v3, 1
	s_and_saveexec_b64 s[92:93], s[94:95]
	s_cbranch_execz .LBB6_1384
; %bb.1381:                             ;   in Loop: Header=BB6_126 Depth=2
	v_and_b32_e32 v4, 0x7f, v29
	v_cmp_ne_u32_e32 vcc, s54, v4
	v_mov_b32_e32 v3, 0x7f800001
	s_and_saveexec_b64 s[94:95], vcc
	s_cbranch_execz .LBB6_1383
; %bb.1382:                             ;   in Loop: Header=BB6_126 Depth=2
	v_and_b32_e32 v3, 7, v29
	v_ffbh_u32_e32 v3, v3
	v_min_u32_e32 v3, 32, v3
	v_lshrrev_b32_e32 v6, 3, v4
	v_cmp_gt_u32_e32 vcc, 8, v4
	v_subrev_u32_e32 v4, 28, v3
	v_sub_u32_e32 v3, 29, v3
	v_cndmask_b32_e32 v6, v6, v3, vcc
	v_cndmask_b32_e32 v3, 0, v4, vcc
	v_lshlrev_b64 v[3:4], v3, v[26:27]
	v_lshlrev_b32_e32 v4, 24, v26
	v_lshlrev_b32_e32 v3, 20, v3
	v_and_b32_e32 v3, 0x700000, v3
	v_and_b32_e32 v4, 0x80000000, v4
	v_lshl_add_u32 v6, v6, 23, v62
	v_or3_b32 v3, v4, v6, v3
.LBB6_1383:                             ;   in Loop: Header=BB6_126 Depth=2
	s_or_b64 exec, exec, s[94:95]
.LBB6_1384:                             ;   in Loop: Header=BB6_126 Depth=2
	s_or_b64 exec, exec, s[92:93]
.LBB6_1385:                             ;   in Loop: Header=BB6_126 Depth=2
	s_or_b64 exec, exec, s[22:23]
	v_max_f32_e32 v3, v3, v3
	v_max_f32_e32 v2, v2, v2
	v_min_f32_e32 v3, v2, v3
.LBB6_1386:                             ;   in Loop: Header=BB6_126 Depth=2
	v_and_b32_e32 v6, 0x7f800000, v3
	v_mov_b32_e32 v7, v61
	v_cmp_ne_u64_e32 vcc, s[72:73], v[6:7]
                                        ; implicit-def: $vgpr32
	s_and_saveexec_b64 s[22:23], vcc
	s_xor_b64 s[92:93], exec, s[22:23]
	s_cbranch_execz .LBB6_1400
; %bb.1387:                             ;   in Loop: Header=BB6_126 Depth=2
	v_and_b32_e32 v6, 0x7fffffff, v3
	v_mov_b32_e32 v7, v61
	v_cmp_gt_u64_e32 vcc, s[74:75], v[6:7]
	v_and_b32_sdwa v2, v3, s53 dst_sel:DWORD dst_unused:UNUSED_PAD src0_sel:BYTE_3 src1_sel:DWORD
                                        ; implicit-def: $vgpr32
	s_and_saveexec_b64 s[22:23], vcc
	s_xor_b64 s[94:95], exec, s[22:23]
	s_cbranch_execz .LBB6_1397
; %bb.1388:                             ;   in Loop: Header=BB6_126 Depth=2
	v_mov_b32_e32 v32, 0
	v_cmp_ne_u32_e32 vcc, 0, v3
	s_and_saveexec_b64 s[30:31], vcc
	s_cbranch_execz .LBB6_1396
; %bb.1389:                             ;   in Loop: Header=BB6_126 Depth=2
	v_and_b32_e32 v6, 0x7fffff, v3
	v_bfe_u32 v3, v3, 23, 8
	v_cmp_gt_u32_e64 s[22:23], s64, v3
	v_sub_u32_e32 v4, 0x79, v3
	v_cmp_eq_u32_e32 vcc, 0, v3
	v_cndmask_b32_e64 v4, 0, v4, s[22:23]
	v_mov_b32_e32 v8, 0x78
	v_cndmask_b32_e32 v4, v4, v8, vcc
	v_add_u32_e32 v8, 20, v4
	v_or_b32_e32 v7, 0x800000, v6
	v_lshlrev_b64 v[8:9], v8, -1
	v_add_u32_e32 v27, 19, v4
	v_cndmask_b32_e32 v6, v7, v6, vcc
	v_lshlrev_b64 v[30:31], v27, 1
	v_mov_b32_e32 v7, v61
	v_bfi_b32 v9, v9, 0, 0
	v_bfi_b32 v8, v8, 0, v6
	v_cmp_eq_u64_e64 s[22:23], v[8:9], v[30:31]
	v_lshrrev_b64 v[30:31], v4, v[6:7]
	v_mov_b32_e32 v32, v31
	v_mov_b32_e32 v31, v30
	s_and_saveexec_b64 s[34:35], s[22:23]
; %bb.1390:                             ;   in Loop: Header=BB6_126 Depth=2
	v_bfe_u32 v6, v30, 20, 1
	v_add_co_u32_e64 v6, s[22:23], v30, v6
	v_add_co_u32_e64 v31, s[22:23], -1, v6
; %bb.1391:                             ;   in Loop: Header=BB6_126 Depth=2
	s_or_b64 exec, exec, s[34:35]
	v_add_u32_e32 v3, 0xffffff81, v3
	v_cndmask_b32_e32 v3, v3, v41, vcc
	v_lshrrev_b32_e32 v6, 23, v30
	v_add3_u32 v6, v4, v3, v6
	v_add_u32_e32 v4, 6, v6
	v_and_b32_e32 v3, 0xfffff, v31
	v_add_u32_e32 v30, v3, v30
	v_mov_b32_e32 v31, v61
	v_cmp_ne_u32_e32 vcc, 0, v4
                                        ; implicit-def: $vgpr3
	s_and_saveexec_b64 s[22:23], vcc
	s_xor_b64 s[22:23], exec, s[22:23]
; %bb.1392:                             ;   in Loop: Header=BB6_126 Depth=2
	v_cmp_lt_u64_e32 vcc, s[76:77], v[30:31]
	v_add_u32_e32 v3, 7, v6
	v_cndmask_b32_e32 v3, v4, v3, vcc
	v_cndmask_b32_e64 v4, 0, 1, vcc
	v_lshrrev_b64 v[30:31], v4, v[30:31]
; %bb.1393:                             ;   in Loop: Header=BB6_126 Depth=2
	s_andn2_saveexec_b64 s[22:23], s[22:23]
; %bb.1394:                             ;   in Loop: Header=BB6_126 Depth=2
	v_bfe_u32 v3, v30, 23, 1
; %bb.1395:                             ;   in Loop: Header=BB6_126 Depth=2
	s_or_b64 exec, exec, s[22:23]
	v_lshrrev_b64 v[6:7], 20, v[30:31]
	v_cmp_gt_i32_e32 vcc, 16, v3
	v_cndmask_b32_e32 v7, 0, v7, vcc
	v_cndmask_b32_e32 v6, 7, v6, vcc
	v_cmp_eq_u32_e32 vcc, 0, v3
	v_min_i32_e32 v3, 15, v3
	v_cmp_eq_u64_e64 s[22:23], 0, v[6:7]
	v_lshlrev_b32_e32 v3, 3, v3
	v_and_b32_e32 v3, 0xf8, v3
	v_and_or_b32 v3, v6, 7, v3
	s_and_b64 s[22:23], vcc, s[22:23]
	v_cndmask_b32_e64 v3, v3, 0, s[22:23]
	v_or_b32_e32 v32, v3, v2
.LBB6_1396:                             ;   in Loop: Header=BB6_126 Depth=2
	s_or_b64 exec, exec, s[30:31]
                                        ; implicit-def: $vgpr2
.LBB6_1397:                             ;   in Loop: Header=BB6_126 Depth=2
	s_andn2_saveexec_b64 s[22:23], s[94:95]
; %bb.1398:                             ;   in Loop: Header=BB6_126 Depth=2
	v_or_b32_e32 v32, 0x7e, v2
; %bb.1399:                             ;   in Loop: Header=BB6_126 Depth=2
	s_or_b64 exec, exec, s[22:23]
                                        ; implicit-def: $vgpr3
.LBB6_1400:                             ;   in Loop: Header=BB6_126 Depth=2
	s_andn2_saveexec_b64 s[22:23], s[92:93]
; %bb.1401:                             ;   in Loop: Header=BB6_126 Depth=2
	v_or_b32_sdwa v32, v3, s54 dst_sel:DWORD dst_unused:UNUSED_PAD src0_sel:BYTE_3 src1_sel:DWORD
; %bb.1402:                             ;   in Loop: Header=BB6_126 Depth=2
	s_or_b64 exec, exec, s[22:23]
	v_lshrrev_b16_e32 v31, 8, v60
	v_lshrrev_b16_e32 v27, 8, v26
	v_cmp_ne_u16_e64 s[22:23], 0, v31
	s_and_b64 vcc, exec, s[20:21]
	s_mov_b64 s[92:93], -1
                                        ; implicit-def: $vgpr3
	s_cbranch_vccnz .LBB6_1416
; %bb.1403:                             ;   in Loop: Header=BB6_126 Depth=2
	v_mov_b32_e32 v3, 0
	v_mov_b32_e32 v2, 0
	s_and_saveexec_b64 s[92:93], s[22:23]
	s_cbranch_execz .LBB6_1409
; %bb.1404:                             ;   in Loop: Header=BB6_126 Depth=2
	v_cmp_ne_u16_e32 vcc, s53, v31
	v_bfrev_b32_e32 v2, 1
	s_and_saveexec_b64 s[94:95], vcc
	s_cbranch_execz .LBB6_1408
; %bb.1405:                             ;   in Loop: Header=BB6_126 Depth=2
	v_and_b32_e32 v4, 0x7f, v31
	v_cmp_ne_u32_e32 vcc, s54, v4
	v_mov_b32_e32 v2, 0x7f800001
	s_and_saveexec_b64 s[30:31], vcc
	s_cbranch_execz .LBB6_1407
; %bb.1406:                             ;   in Loop: Header=BB6_126 Depth=2
	v_and_b32_e32 v2, 7, v31
	v_lshrrev_b32_e32 v8, 3, v4
	v_cmp_gt_u32_e32 vcc, 8, v4
	v_ffbh_u32_e32 v4, v2
	v_min_u32_e32 v4, 32, v4
	v_subrev_u32_e32 v6, 28, v4
	v_lshlrev_b64 v[6:7], v6, v[31:32]
	v_sub_u32_e32 v4, 29, v4
	v_and_b32_e32 v6, 7, v6
	v_cndmask_b32_e32 v4, v8, v4, vcc
	v_cndmask_b32_e32 v2, v2, v6, vcc
	v_lshlrev_b32_e32 v6, 16, v60
	v_lshlrev_b32_e32 v2, 20, v2
	v_and_b32_e32 v6, 0x80000000, v6
	v_lshl_add_u32 v4, v4, 23, v62
	v_or3_b32 v2, v6, v4, v2
.LBB6_1407:                             ;   in Loop: Header=BB6_126 Depth=2
	s_or_b64 exec, exec, s[30:31]
.LBB6_1408:                             ;   in Loop: Header=BB6_126 Depth=2
	s_or_b64 exec, exec, s[94:95]
.LBB6_1409:                             ;   in Loop: Header=BB6_126 Depth=2
	s_or_b64 exec, exec, s[92:93]
	v_cmp_ne_u16_e32 vcc, 0, v27
	s_and_saveexec_b64 s[92:93], vcc
	s_cbranch_execz .LBB6_1415
; %bb.1410:                             ;   in Loop: Header=BB6_126 Depth=2
	v_cmp_ne_u16_e32 vcc, s53, v27
	v_bfrev_b32_e32 v3, 1
	s_and_saveexec_b64 s[94:95], vcc
	s_cbranch_execz .LBB6_1414
; %bb.1411:                             ;   in Loop: Header=BB6_126 Depth=2
	v_and_b32_e32 v4, 0x7f, v27
	v_cmp_ne_u32_e32 vcc, s54, v4
	v_mov_b32_e32 v3, 0x7f800001
	s_and_saveexec_b64 s[30:31], vcc
	s_cbranch_execz .LBB6_1413
; %bb.1412:                             ;   in Loop: Header=BB6_126 Depth=2
	v_and_b32_e32 v6, 7, v27
	v_ffbh_u32_e32 v3, v6
	v_min_u32_e32 v8, 32, v3
	v_subrev_u32_e32 v3, 28, v8
	v_lshrrev_b32_e32 v7, 3, v4
	v_cmp_gt_u32_e32 vcc, 8, v4
	v_lshlrev_b64 v[3:4], v3, v[27:28]
	v_sub_u32_e32 v4, 29, v8
	v_and_b32_e32 v3, 7, v3
	v_cndmask_b32_e32 v4, v7, v4, vcc
	v_cndmask_b32_e32 v3, v6, v3, vcc
	v_lshlrev_b32_e32 v6, 16, v26
	v_lshlrev_b32_e32 v3, 20, v3
	v_and_b32_e32 v6, 0x80000000, v6
	v_lshl_add_u32 v4, v4, 23, v62
	v_or3_b32 v3, v6, v4, v3
.LBB6_1413:                             ;   in Loop: Header=BB6_126 Depth=2
	s_or_b64 exec, exec, s[30:31]
.LBB6_1414:                             ;   in Loop: Header=BB6_126 Depth=2
	s_or_b64 exec, exec, s[94:95]
.LBB6_1415:                             ;   in Loop: Header=BB6_126 Depth=2
	s_or_b64 exec, exec, s[92:93]
	v_max_f32_e32 v3, v3, v3
	v_max_f32_e32 v2, v2, v2
	;; [unrolled: 1-line block ×3, first 2 shown]
	s_mov_b64 s[92:93], 0
.LBB6_1416:                             ;   in Loop: Header=BB6_126 Depth=2
	s_and_b64 vcc, exec, s[92:93]
	s_cbranch_vccz .LBB6_1430
; %bb.1417:                             ;   in Loop: Header=BB6_126 Depth=2
	v_mov_b32_e32 v3, 0
	v_mov_b32_e32 v2, 0
	s_and_saveexec_b64 s[92:93], s[22:23]
	s_cbranch_execz .LBB6_1423
; %bb.1418:                             ;   in Loop: Header=BB6_126 Depth=2
	v_cmp_ne_u16_e32 vcc, s53, v31
	v_bfrev_b32_e32 v2, 1
	s_and_saveexec_b64 s[22:23], vcc
	s_cbranch_execz .LBB6_1422
; %bb.1419:                             ;   in Loop: Header=BB6_126 Depth=2
	v_and_b32_e32 v4, 0x7f, v31
	v_cmp_ne_u32_e32 vcc, s54, v4
	v_mov_b32_e32 v2, 0x7f800001
	s_and_saveexec_b64 s[94:95], vcc
	s_cbranch_execz .LBB6_1421
; %bb.1420:                             ;   in Loop: Header=BB6_126 Depth=2
	v_and_b32_e32 v2, 7, v31
	v_lshrrev_b32_e32 v8, 3, v4
	v_cmp_gt_u32_e32 vcc, 8, v4
	v_ffbh_u32_e32 v4, v2
	v_min_u32_e32 v4, 32, v4
	v_subrev_u32_e32 v6, 28, v4
	v_lshlrev_b64 v[6:7], v6, v[31:32]
	v_sub_u32_e32 v4, 29, v4
	v_and_b32_e32 v6, 7, v6
	v_cndmask_b32_e32 v4, v8, v4, vcc
	v_cndmask_b32_e32 v2, v2, v6, vcc
	v_lshlrev_b32_e32 v6, 16, v60
	v_lshlrev_b32_e32 v2, 20, v2
	v_and_b32_e32 v6, 0x80000000, v6
	v_lshl_add_u32 v4, v4, 23, v62
	v_or3_b32 v2, v6, v4, v2
.LBB6_1421:                             ;   in Loop: Header=BB6_126 Depth=2
	s_or_b64 exec, exec, s[94:95]
.LBB6_1422:                             ;   in Loop: Header=BB6_126 Depth=2
	s_or_b64 exec, exec, s[22:23]
.LBB6_1423:                             ;   in Loop: Header=BB6_126 Depth=2
	s_or_b64 exec, exec, s[92:93]
	v_cmp_ne_u16_e32 vcc, 0, v27
	s_and_saveexec_b64 s[22:23], vcc
	s_cbranch_execz .LBB6_1429
; %bb.1424:                             ;   in Loop: Header=BB6_126 Depth=2
	v_cmp_ne_u16_e32 vcc, s53, v27
	v_bfrev_b32_e32 v3, 1
	s_and_saveexec_b64 s[92:93], vcc
	s_cbranch_execz .LBB6_1428
; %bb.1425:                             ;   in Loop: Header=BB6_126 Depth=2
	v_and_b32_e32 v4, 0x7f, v27
	v_cmp_ne_u32_e32 vcc, s54, v4
	v_mov_b32_e32 v3, 0x7f800001
	s_and_saveexec_b64 s[94:95], vcc
	s_cbranch_execz .LBB6_1427
; %bb.1426:                             ;   in Loop: Header=BB6_126 Depth=2
	v_and_b32_e32 v6, 7, v27
	v_ffbh_u32_e32 v3, v6
	v_min_u32_e32 v8, 32, v3
	v_subrev_u32_e32 v3, 28, v8
	v_lshrrev_b32_e32 v7, 3, v4
	v_cmp_gt_u32_e32 vcc, 8, v4
	v_lshlrev_b64 v[3:4], v3, v[27:28]
	v_sub_u32_e32 v4, 29, v8
	v_and_b32_e32 v3, 7, v3
	v_cndmask_b32_e32 v4, v7, v4, vcc
	v_cndmask_b32_e32 v3, v6, v3, vcc
	v_lshlrev_b32_e32 v6, 16, v26
	v_lshlrev_b32_e32 v3, 20, v3
	v_and_b32_e32 v6, 0x80000000, v6
	v_lshl_add_u32 v4, v4, 23, v62
	v_or3_b32 v3, v6, v4, v3
.LBB6_1427:                             ;   in Loop: Header=BB6_126 Depth=2
	s_or_b64 exec, exec, s[94:95]
.LBB6_1428:                             ;   in Loop: Header=BB6_126 Depth=2
	s_or_b64 exec, exec, s[92:93]
.LBB6_1429:                             ;   in Loop: Header=BB6_126 Depth=2
	s_or_b64 exec, exec, s[22:23]
	v_max_f32_e32 v3, v3, v3
	v_max_f32_e32 v2, v2, v2
	v_min_f32_e32 v3, v2, v3
.LBB6_1430:                             ;   in Loop: Header=BB6_126 Depth=2
	v_and_b32_e32 v60, 0x7f800000, v3
	v_cmp_ne_u64_e32 vcc, s[72:73], v[60:61]
                                        ; implicit-def: $vgpr9
	s_and_saveexec_b64 s[22:23], vcc
	s_xor_b64 s[92:93], exec, s[22:23]
	s_cbranch_execz .LBB6_1444
; %bb.1431:                             ;   in Loop: Header=BB6_126 Depth=2
	v_and_b32_e32 v60, 0x7fffffff, v3
	v_cmp_gt_u64_e32 vcc, s[74:75], v[60:61]
	v_and_b32_sdwa v2, v3, s53 dst_sel:DWORD dst_unused:UNUSED_PAD src0_sel:BYTE_3 src1_sel:DWORD
                                        ; implicit-def: $vgpr9
	s_and_saveexec_b64 s[22:23], vcc
	s_xor_b64 s[94:95], exec, s[22:23]
	s_cbranch_execz .LBB6_1441
; %bb.1432:                             ;   in Loop: Header=BB6_126 Depth=2
	v_mov_b32_e32 v9, 0
	v_cmp_ne_u32_e32 vcc, 0, v3
	s_and_saveexec_b64 s[30:31], vcc
	s_cbranch_execz .LBB6_1440
; %bb.1433:                             ;   in Loop: Header=BB6_126 Depth=2
	v_and_b32_e32 v6, 0x7fffff, v3
	v_bfe_u32 v3, v3, 23, 8
	v_cmp_gt_u32_e64 s[22:23], s64, v3
	v_sub_u32_e32 v4, 0x79, v3
	v_cmp_eq_u32_e32 vcc, 0, v3
	v_cndmask_b32_e64 v4, 0, v4, s[22:23]
	v_mov_b32_e32 v8, 0x78
	v_or_b32_e32 v7, 0x800000, v6
	v_cndmask_b32_e32 v4, v4, v8, vcc
	v_cndmask_b32_e32 v60, v7, v6, vcc
	v_add_u32_e32 v6, 20, v4
	v_lshlrev_b64 v[6:7], v6, -1
	v_add_u32_e32 v8, 19, v4
	v_lshlrev_b64 v[8:9], v8, 1
	v_lshrrev_b64 v[26:27], v4, v[60:61]
	v_bfi_b32 v7, v7, 0, 0
	v_bfi_b32 v6, v6, 0, v60
	v_cmp_eq_u64_e64 s[22:23], v[6:7], v[8:9]
	v_mov_b32_e32 v31, v27
	v_mov_b32_e32 v30, v26
	s_and_saveexec_b64 s[34:35], s[22:23]
; %bb.1434:                             ;   in Loop: Header=BB6_126 Depth=2
	v_bfe_u32 v6, v26, 20, 1
	v_add_co_u32_e64 v6, s[22:23], v26, v6
	v_add_co_u32_e64 v30, s[22:23], -1, v6
; %bb.1435:                             ;   in Loop: Header=BB6_126 Depth=2
	s_or_b64 exec, exec, s[34:35]
	v_add_u32_e32 v3, 0xffffff81, v3
	v_cndmask_b32_e32 v3, v3, v41, vcc
	v_lshrrev_b32_e32 v6, 23, v26
	v_add3_u32 v6, v4, v3, v6
	v_add_u32_e32 v4, 6, v6
	v_and_b32_e32 v3, 0xfffff, v30
	v_add_u32_e32 v60, v3, v26
	v_cmp_ne_u32_e32 vcc, 0, v4
                                        ; implicit-def: $vgpr26_vgpr27
                                        ; implicit-def: $vgpr3
	s_and_saveexec_b64 s[22:23], vcc
	s_xor_b64 s[22:23], exec, s[22:23]
; %bb.1436:                             ;   in Loop: Header=BB6_126 Depth=2
	v_cmp_lt_u64_e32 vcc, s[76:77], v[60:61]
	v_add_u32_e32 v3, 7, v6
	v_cndmask_b32_e32 v3, v4, v3, vcc
	v_cndmask_b32_e64 v4, 0, 1, vcc
	v_lshrrev_b64 v[26:27], v4, v[60:61]
; %bb.1437:                             ;   in Loop: Header=BB6_126 Depth=2
	s_andn2_saveexec_b64 s[22:23], s[22:23]
; %bb.1438:                             ;   in Loop: Header=BB6_126 Depth=2
	v_mov_b32_e32 v26, v60
	v_bfe_u32 v3, v60, 23, 1
	v_mov_b32_e32 v27, v61
; %bb.1439:                             ;   in Loop: Header=BB6_126 Depth=2
	s_or_b64 exec, exec, s[22:23]
	v_lshrrev_b64 v[6:7], 20, v[26:27]
	v_cmp_gt_i32_e32 vcc, 16, v3
	v_cndmask_b32_e32 v7, 0, v7, vcc
	v_cndmask_b32_e32 v6, 7, v6, vcc
	v_cmp_eq_u32_e32 vcc, 0, v3
	v_min_i32_e32 v3, 15, v3
	v_cmp_eq_u64_e64 s[22:23], 0, v[6:7]
	v_lshlrev_b32_e32 v3, 3, v3
	v_and_b32_e32 v3, 0xf8, v3
	v_and_or_b32 v3, v6, 7, v3
	s_and_b64 s[22:23], vcc, s[22:23]
	v_cndmask_b32_e64 v3, v3, 0, s[22:23]
	v_or_b32_e32 v9, v3, v2
.LBB6_1440:                             ;   in Loop: Header=BB6_126 Depth=2
	s_or_b64 exec, exec, s[30:31]
                                        ; implicit-def: $vgpr2
.LBB6_1441:                             ;   in Loop: Header=BB6_126 Depth=2
	s_andn2_saveexec_b64 s[22:23], s[94:95]
; %bb.1442:                             ;   in Loop: Header=BB6_126 Depth=2
	v_or_b32_e32 v9, 0x7e, v2
; %bb.1443:                             ;   in Loop: Header=BB6_126 Depth=2
	s_or_b64 exec, exec, s[22:23]
                                        ; implicit-def: $vgpr3
.LBB6_1444:                             ;   in Loop: Header=BB6_126 Depth=2
	s_andn2_saveexec_b64 s[22:23], s[92:93]
; %bb.1445:                             ;   in Loop: Header=BB6_126 Depth=2
	v_or_b32_sdwa v9, v3, s54 dst_sel:DWORD dst_unused:UNUSED_PAD src0_sel:BYTE_3 src1_sel:DWORD
; %bb.1446:                             ;   in Loop: Header=BB6_126 Depth=2
	s_or_b64 exec, exec, s[22:23]
	v_lshrrev_b32_e32 v27, 16, v35
	v_lshrrev_b32_e32 v26, 16, v29
	v_cmp_ne_u16_sdwa s[22:23], v27, v61 src0_sel:BYTE_0 src1_sel:DWORD
	s_and_b64 vcc, exec, s[20:21]
	s_mov_b64 s[92:93], -1
                                        ; implicit-def: $vgpr3
	s_cbranch_vccnz .LBB6_1460
; %bb.1447:                             ;   in Loop: Header=BB6_126 Depth=2
	v_mov_b32_e32 v3, 0
	v_mov_b32_e32 v2, 0
	s_and_saveexec_b64 s[92:93], s[22:23]
	s_cbranch_execz .LBB6_1453
; %bb.1448:                             ;   in Loop: Header=BB6_126 Depth=2
	v_cmp_ne_u16_sdwa vcc, v27, s53 src0_sel:BYTE_0 src1_sel:DWORD
	v_bfrev_b32_e32 v2, 1
	s_and_saveexec_b64 s[94:95], vcc
	s_cbranch_execz .LBB6_1452
; %bb.1449:                             ;   in Loop: Header=BB6_126 Depth=2
	v_bfe_u32 v4, v35, 16, 7
	v_cmp_ne_u32_e32 vcc, s54, v4
	v_mov_b32_e32 v2, 0x7f800001
	s_and_saveexec_b64 s[30:31], vcc
	s_cbranch_execz .LBB6_1451
; %bb.1450:                             ;   in Loop: Header=BB6_126 Depth=2
	v_and_b32_e32 v2, 7, v27
	v_lshrrev_b32_e32 v8, 3, v4
	v_cmp_gt_u32_e32 vcc, 8, v4
	v_ffbh_u32_e32 v4, v2
	v_min_u32_e32 v4, 32, v4
	v_subrev_u32_e32 v6, 28, v4
	v_lshlrev_b64 v[6:7], v6, v[27:28]
	v_sub_u32_e32 v4, 29, v4
	v_and_b32_e32 v6, 7, v6
	v_cndmask_b32_e32 v4, v8, v4, vcc
	v_cndmask_b32_e32 v2, v2, v6, vcc
	v_lshlrev_b32_e32 v6, 24, v27
	v_lshlrev_b32_e32 v2, 20, v2
	v_and_b32_e32 v6, 0x80000000, v6
	v_lshl_add_u32 v4, v4, 23, v62
	v_or3_b32 v2, v6, v4, v2
.LBB6_1451:                             ;   in Loop: Header=BB6_126 Depth=2
	s_or_b64 exec, exec, s[30:31]
.LBB6_1452:                             ;   in Loop: Header=BB6_126 Depth=2
	s_or_b64 exec, exec, s[94:95]
.LBB6_1453:                             ;   in Loop: Header=BB6_126 Depth=2
	s_or_b64 exec, exec, s[92:93]
	v_cmp_ne_u16_sdwa s[94:95], v26, v61 src0_sel:BYTE_0 src1_sel:DWORD
	s_and_saveexec_b64 s[92:93], s[94:95]
	s_cbranch_execz .LBB6_1459
; %bb.1454:                             ;   in Loop: Header=BB6_126 Depth=2
	v_cmp_ne_u16_sdwa vcc, v26, s53 src0_sel:BYTE_0 src1_sel:DWORD
	v_bfrev_b32_e32 v3, 1
	s_and_saveexec_b64 s[94:95], vcc
	s_cbranch_execz .LBB6_1458
; %bb.1455:                             ;   in Loop: Header=BB6_126 Depth=2
	v_bfe_u32 v4, v29, 16, 7
	v_cmp_ne_u32_e32 vcc, s54, v4
	v_mov_b32_e32 v3, 0x7f800001
	s_and_saveexec_b64 s[30:31], vcc
	s_cbranch_execz .LBB6_1457
; %bb.1456:                             ;   in Loop: Header=BB6_126 Depth=2
	v_and_b32_e32 v6, 7, v26
	v_ffbh_u32_e32 v3, v6
	v_min_u32_e32 v8, 32, v3
	v_subrev_u32_e32 v3, 28, v8
	v_lshrrev_b32_e32 v7, 3, v4
	v_cmp_gt_u32_e32 vcc, 8, v4
	v_lshlrev_b64 v[3:4], v3, v[26:27]
	v_sub_u32_e32 v4, 29, v8
	v_and_b32_e32 v3, 7, v3
	v_cndmask_b32_e32 v4, v7, v4, vcc
	v_cndmask_b32_e32 v3, v6, v3, vcc
	v_lshlrev_b32_e32 v6, 24, v26
	v_lshlrev_b32_e32 v3, 20, v3
	v_and_b32_e32 v6, 0x80000000, v6
	v_lshl_add_u32 v4, v4, 23, v62
	v_or3_b32 v3, v6, v4, v3
.LBB6_1457:                             ;   in Loop: Header=BB6_126 Depth=2
	s_or_b64 exec, exec, s[30:31]
.LBB6_1458:                             ;   in Loop: Header=BB6_126 Depth=2
	s_or_b64 exec, exec, s[94:95]
.LBB6_1459:                             ;   in Loop: Header=BB6_126 Depth=2
	s_or_b64 exec, exec, s[92:93]
	v_max_f32_e32 v3, v3, v3
	v_max_f32_e32 v2, v2, v2
	;; [unrolled: 1-line block ×3, first 2 shown]
	s_mov_b64 s[92:93], 0
.LBB6_1460:                             ;   in Loop: Header=BB6_126 Depth=2
	s_and_b64 vcc, exec, s[92:93]
	s_cbranch_vccz .LBB6_1474
; %bb.1461:                             ;   in Loop: Header=BB6_126 Depth=2
	v_mov_b32_e32 v3, 0
	v_mov_b32_e32 v2, 0
	s_and_saveexec_b64 s[92:93], s[22:23]
	s_cbranch_execz .LBB6_1467
; %bb.1462:                             ;   in Loop: Header=BB6_126 Depth=2
	v_cmp_ne_u16_sdwa s[94:95], v27, s53 src0_sel:BYTE_0 src1_sel:DWORD
	v_bfrev_b32_e32 v2, 1
	s_and_saveexec_b64 s[22:23], s[94:95]
	s_cbranch_execz .LBB6_1466
; %bb.1463:                             ;   in Loop: Header=BB6_126 Depth=2
	v_bfe_u32 v4, v35, 16, 7
	v_cmp_ne_u32_e32 vcc, s54, v4
	v_mov_b32_e32 v2, 0x7f800001
	s_and_saveexec_b64 s[94:95], vcc
	s_cbranch_execz .LBB6_1465
; %bb.1464:                             ;   in Loop: Header=BB6_126 Depth=2
	v_and_b32_e32 v2, 7, v27
	v_lshrrev_b32_e32 v8, 3, v4
	v_cmp_gt_u32_e32 vcc, 8, v4
	v_ffbh_u32_e32 v4, v2
	v_min_u32_e32 v4, 32, v4
	v_subrev_u32_e32 v6, 28, v4
	v_lshlrev_b64 v[6:7], v6, v[27:28]
	v_sub_u32_e32 v4, 29, v4
	v_and_b32_e32 v6, 7, v6
	v_cndmask_b32_e32 v4, v8, v4, vcc
	v_cndmask_b32_e32 v2, v2, v6, vcc
	v_lshlrev_b32_e32 v6, 24, v27
	v_lshlrev_b32_e32 v2, 20, v2
	v_and_b32_e32 v6, 0x80000000, v6
	v_lshl_add_u32 v4, v4, 23, v62
	v_or3_b32 v2, v6, v4, v2
.LBB6_1465:                             ;   in Loop: Header=BB6_126 Depth=2
	s_or_b64 exec, exec, s[94:95]
.LBB6_1466:                             ;   in Loop: Header=BB6_126 Depth=2
	s_or_b64 exec, exec, s[22:23]
.LBB6_1467:                             ;   in Loop: Header=BB6_126 Depth=2
	s_or_b64 exec, exec, s[92:93]
	v_cmp_ne_u16_sdwa s[92:93], v26, v61 src0_sel:BYTE_0 src1_sel:DWORD
	s_and_saveexec_b64 s[22:23], s[92:93]
	s_cbranch_execz .LBB6_1473
; %bb.1468:                             ;   in Loop: Header=BB6_126 Depth=2
	v_cmp_ne_u16_sdwa s[94:95], v26, s53 src0_sel:BYTE_0 src1_sel:DWORD
	v_bfrev_b32_e32 v3, 1
	s_and_saveexec_b64 s[92:93], s[94:95]
	s_cbranch_execz .LBB6_1472
; %bb.1469:                             ;   in Loop: Header=BB6_126 Depth=2
	v_bfe_u32 v4, v29, 16, 7
	v_cmp_ne_u32_e32 vcc, s54, v4
	v_mov_b32_e32 v3, 0x7f800001
	s_and_saveexec_b64 s[94:95], vcc
	s_cbranch_execz .LBB6_1471
; %bb.1470:                             ;   in Loop: Header=BB6_126 Depth=2
	v_and_b32_e32 v6, 7, v26
	v_ffbh_u32_e32 v3, v6
	v_min_u32_e32 v8, 32, v3
	v_subrev_u32_e32 v3, 28, v8
	v_lshrrev_b32_e32 v7, 3, v4
	v_cmp_gt_u32_e32 vcc, 8, v4
	v_lshlrev_b64 v[3:4], v3, v[26:27]
	v_sub_u32_e32 v4, 29, v8
	v_and_b32_e32 v3, 7, v3
	v_cndmask_b32_e32 v4, v7, v4, vcc
	v_cndmask_b32_e32 v3, v6, v3, vcc
	v_lshlrev_b32_e32 v6, 24, v26
	v_lshlrev_b32_e32 v3, 20, v3
	v_and_b32_e32 v6, 0x80000000, v6
	v_lshl_add_u32 v4, v4, 23, v62
	v_or3_b32 v3, v6, v4, v3
.LBB6_1471:                             ;   in Loop: Header=BB6_126 Depth=2
	s_or_b64 exec, exec, s[94:95]
.LBB6_1472:                             ;   in Loop: Header=BB6_126 Depth=2
	s_or_b64 exec, exec, s[92:93]
.LBB6_1473:                             ;   in Loop: Header=BB6_126 Depth=2
	s_or_b64 exec, exec, s[22:23]
	v_max_f32_e32 v3, v3, v3
	v_max_f32_e32 v2, v2, v2
	v_min_f32_e32 v3, v2, v3
.LBB6_1474:                             ;   in Loop: Header=BB6_126 Depth=2
	v_and_b32_e32 v60, 0x7f800000, v3
	v_cmp_ne_u64_e32 vcc, s[72:73], v[60:61]
	buffer_store_dword v9, off, s[0:3], s33 offset:172 ; 4-byte Folded Spill
                                        ; implicit-def: $vgpr30
	s_and_saveexec_b64 s[22:23], vcc
	s_xor_b64 s[92:93], exec, s[22:23]
	s_cbranch_execz .LBB6_1488
; %bb.1475:                             ;   in Loop: Header=BB6_126 Depth=2
	v_and_b32_e32 v60, 0x7fffffff, v3
	v_cmp_gt_u64_e32 vcc, s[74:75], v[60:61]
	v_and_b32_sdwa v2, v3, s53 dst_sel:DWORD dst_unused:UNUSED_PAD src0_sel:BYTE_3 src1_sel:DWORD
                                        ; implicit-def: $vgpr30
	s_and_saveexec_b64 s[22:23], vcc
	s_xor_b64 s[94:95], exec, s[22:23]
	s_cbranch_execz .LBB6_1485
; %bb.1476:                             ;   in Loop: Header=BB6_126 Depth=2
	v_mov_b32_e32 v30, 0
	v_cmp_ne_u32_e32 vcc, 0, v3
	s_and_saveexec_b64 s[30:31], vcc
	s_cbranch_execz .LBB6_1484
; %bb.1477:                             ;   in Loop: Header=BB6_126 Depth=2
	v_and_b32_e32 v6, 0x7fffff, v3
	v_bfe_u32 v3, v3, 23, 8
	v_cmp_gt_u32_e64 s[22:23], s64, v3
	v_sub_u32_e32 v4, 0x79, v3
	v_cmp_eq_u32_e32 vcc, 0, v3
	v_cndmask_b32_e64 v4, 0, v4, s[22:23]
	v_mov_b32_e32 v8, 0x78
	v_or_b32_e32 v7, 0x800000, v6
	v_cndmask_b32_e32 v4, v4, v8, vcc
	v_cndmask_b32_e32 v60, v7, v6, vcc
	v_add_u32_e32 v6, 20, v4
	v_lshlrev_b64 v[6:7], v6, -1
	v_add_u32_e32 v8, 19, v4
	v_lshlrev_b64 v[8:9], v8, 1
	v_lshrrev_b64 v[26:27], v4, v[60:61]
	v_bfi_b32 v7, v7, 0, 0
	v_bfi_b32 v6, v6, 0, v60
	v_cmp_eq_u64_e64 s[22:23], v[6:7], v[8:9]
	v_mov_b32_e32 v31, v27
	v_mov_b32_e32 v30, v26
	s_and_saveexec_b64 s[34:35], s[22:23]
; %bb.1478:                             ;   in Loop: Header=BB6_126 Depth=2
	v_bfe_u32 v6, v26, 20, 1
	v_add_co_u32_e64 v6, s[22:23], v26, v6
	v_add_co_u32_e64 v30, s[22:23], -1, v6
; %bb.1479:                             ;   in Loop: Header=BB6_126 Depth=2
	s_or_b64 exec, exec, s[34:35]
	v_add_u32_e32 v3, 0xffffff81, v3
	v_cndmask_b32_e32 v3, v3, v41, vcc
	v_lshrrev_b32_e32 v6, 23, v26
	v_add3_u32 v6, v4, v3, v6
	v_add_u32_e32 v4, 6, v6
	v_and_b32_e32 v3, 0xfffff, v30
	v_add_u32_e32 v60, v3, v26
	v_cmp_ne_u32_e32 vcc, 0, v4
                                        ; implicit-def: $vgpr26_vgpr27
                                        ; implicit-def: $vgpr3
	s_and_saveexec_b64 s[22:23], vcc
	s_xor_b64 s[22:23], exec, s[22:23]
; %bb.1480:                             ;   in Loop: Header=BB6_126 Depth=2
	v_cmp_lt_u64_e32 vcc, s[76:77], v[60:61]
	v_add_u32_e32 v3, 7, v6
	v_cndmask_b32_e32 v3, v4, v3, vcc
	v_cndmask_b32_e64 v4, 0, 1, vcc
	v_lshrrev_b64 v[26:27], v4, v[60:61]
; %bb.1481:                             ;   in Loop: Header=BB6_126 Depth=2
	s_andn2_saveexec_b64 s[22:23], s[22:23]
; %bb.1482:                             ;   in Loop: Header=BB6_126 Depth=2
	v_mov_b32_e32 v26, v60
	v_bfe_u32 v3, v60, 23, 1
	v_mov_b32_e32 v27, v61
; %bb.1483:                             ;   in Loop: Header=BB6_126 Depth=2
	s_or_b64 exec, exec, s[22:23]
	v_lshrrev_b64 v[6:7], 20, v[26:27]
	v_cmp_gt_i32_e32 vcc, 16, v3
	v_cndmask_b32_e32 v7, 0, v7, vcc
	v_cndmask_b32_e32 v6, 7, v6, vcc
	v_cmp_eq_u32_e32 vcc, 0, v3
	v_min_i32_e32 v3, 15, v3
	v_cmp_eq_u64_e64 s[22:23], 0, v[6:7]
	v_lshlrev_b32_e32 v3, 3, v3
	v_and_b32_e32 v3, 0xf8, v3
	v_and_or_b32 v3, v6, 7, v3
	s_and_b64 s[22:23], vcc, s[22:23]
	v_cndmask_b32_e64 v3, v3, 0, s[22:23]
	v_or_b32_e32 v30, v3, v2
.LBB6_1484:                             ;   in Loop: Header=BB6_126 Depth=2
	s_or_b64 exec, exec, s[30:31]
                                        ; implicit-def: $vgpr2
.LBB6_1485:                             ;   in Loop: Header=BB6_126 Depth=2
	s_andn2_saveexec_b64 s[22:23], s[94:95]
; %bb.1486:                             ;   in Loop: Header=BB6_126 Depth=2
	v_or_b32_e32 v30, 0x7e, v2
; %bb.1487:                             ;   in Loop: Header=BB6_126 Depth=2
	s_or_b64 exec, exec, s[22:23]
                                        ; implicit-def: $vgpr3
.LBB6_1488:                             ;   in Loop: Header=BB6_126 Depth=2
	s_andn2_saveexec_b64 s[22:23], s[92:93]
; %bb.1489:                             ;   in Loop: Header=BB6_126 Depth=2
	v_or_b32_sdwa v30, v3, s54 dst_sel:DWORD dst_unused:UNUSED_PAD src0_sel:BYTE_3 src1_sel:DWORD
; %bb.1490:                             ;   in Loop: Header=BB6_126 Depth=2
	s_or_b64 exec, exec, s[22:23]
	v_cmp_lt_u64_e64 s[22:23], s[78:79], v[34:35]
	v_lshrrev_b32_e32 v27, 24, v35
	v_lshrrev_b32_e32 v26, 24, v29
	s_and_b64 vcc, exec, s[20:21]
	s_mov_b64 s[92:93], -1
                                        ; implicit-def: $vgpr3
	s_cbranch_vccnz .LBB6_1504
; %bb.1491:                             ;   in Loop: Header=BB6_126 Depth=2
	v_mov_b32_e32 v3, 0
	v_mov_b32_e32 v2, 0
	s_and_saveexec_b64 s[92:93], s[22:23]
	s_cbranch_execz .LBB6_1497
; %bb.1492:                             ;   in Loop: Header=BB6_126 Depth=2
	v_cmp_ne_u32_e32 vcc, s53, v27
	v_bfrev_b32_e32 v2, 1
	s_and_saveexec_b64 s[94:95], vcc
	s_cbranch_execz .LBB6_1496
; %bb.1493:                             ;   in Loop: Header=BB6_126 Depth=2
	v_bfe_u32 v4, v35, 24, 7
	v_cmp_ne_u32_e32 vcc, s54, v4
	v_mov_b32_e32 v2, 0x7f800001
	s_and_saveexec_b64 s[30:31], vcc
	s_cbranch_execz .LBB6_1495
; %bb.1494:                             ;   in Loop: Header=BB6_126 Depth=2
	v_and_b32_e32 v2, 7, v27
	v_lshrrev_b32_e32 v8, 3, v4
	v_cmp_gt_u32_e32 vcc, 8, v4
	v_ffbh_u32_e32 v4, v2
	v_min_u32_e32 v4, 32, v4
	v_subrev_u32_e32 v6, 28, v4
	v_lshlrev_b64 v[6:7], v6, v[27:28]
	v_sub_u32_e32 v4, 29, v4
	v_and_b32_e32 v6, 7, v6
	v_cndmask_b32_e32 v4, v8, v4, vcc
	v_cndmask_b32_e32 v2, v2, v6, vcc
	v_lshlrev_b32_e32 v6, 24, v27
	v_lshlrev_b32_e32 v2, 20, v2
	v_and_b32_e32 v6, 0x80000000, v6
	v_lshl_add_u32 v4, v4, 23, v62
	v_or3_b32 v2, v6, v4, v2
.LBB6_1495:                             ;   in Loop: Header=BB6_126 Depth=2
	s_or_b64 exec, exec, s[30:31]
.LBB6_1496:                             ;   in Loop: Header=BB6_126 Depth=2
	s_or_b64 exec, exec, s[94:95]
.LBB6_1497:                             ;   in Loop: Header=BB6_126 Depth=2
	s_or_b64 exec, exec, s[92:93]
	v_cmp_lt_u64_e32 vcc, s[78:79], v[28:29]
	s_and_saveexec_b64 s[92:93], vcc
	s_cbranch_execz .LBB6_1503
; %bb.1498:                             ;   in Loop: Header=BB6_126 Depth=2
	v_cmp_ne_u32_e32 vcc, s53, v26
	v_bfrev_b32_e32 v3, 1
	s_and_saveexec_b64 s[94:95], vcc
	s_cbranch_execz .LBB6_1502
; %bb.1499:                             ;   in Loop: Header=BB6_126 Depth=2
	v_bfe_u32 v4, v29, 24, 7
	v_cmp_ne_u32_e32 vcc, s54, v4
	v_mov_b32_e32 v3, 0x7f800001
	s_and_saveexec_b64 s[30:31], vcc
	s_cbranch_execz .LBB6_1501
; %bb.1500:                             ;   in Loop: Header=BB6_126 Depth=2
	v_and_b32_e32 v6, 7, v26
	v_ffbh_u32_e32 v3, v6
	v_min_u32_e32 v8, 32, v3
	v_subrev_u32_e32 v3, 28, v8
	v_lshrrev_b32_e32 v7, 3, v4
	v_cmp_gt_u32_e32 vcc, 8, v4
	v_lshlrev_b64 v[3:4], v3, v[26:27]
	v_sub_u32_e32 v4, 29, v8
	v_and_b32_e32 v3, 7, v3
	v_cndmask_b32_e32 v4, v7, v4, vcc
	v_cndmask_b32_e32 v3, v6, v3, vcc
	v_lshlrev_b32_e32 v6, 24, v26
	v_lshlrev_b32_e32 v3, 20, v3
	v_and_b32_e32 v6, 0x80000000, v6
	v_lshl_add_u32 v4, v4, 23, v62
	v_or3_b32 v3, v6, v4, v3
.LBB6_1501:                             ;   in Loop: Header=BB6_126 Depth=2
	s_or_b64 exec, exec, s[30:31]
.LBB6_1502:                             ;   in Loop: Header=BB6_126 Depth=2
	s_or_b64 exec, exec, s[94:95]
.LBB6_1503:                             ;   in Loop: Header=BB6_126 Depth=2
	s_or_b64 exec, exec, s[92:93]
	v_max_f32_e32 v3, v3, v3
	v_max_f32_e32 v2, v2, v2
	;; [unrolled: 1-line block ×3, first 2 shown]
	s_mov_b64 s[92:93], 0
.LBB6_1504:                             ;   in Loop: Header=BB6_126 Depth=2
	s_and_b64 vcc, exec, s[92:93]
	s_cbranch_vccz .LBB6_1518
; %bb.1505:                             ;   in Loop: Header=BB6_126 Depth=2
	v_mov_b32_e32 v3, 0
	v_mov_b32_e32 v2, 0
	s_and_saveexec_b64 s[92:93], s[22:23]
	s_cbranch_execz .LBB6_1511
; %bb.1506:                             ;   in Loop: Header=BB6_126 Depth=2
	v_cmp_ne_u32_e32 vcc, s53, v27
	v_bfrev_b32_e32 v2, 1
	s_and_saveexec_b64 s[22:23], vcc
	s_cbranch_execz .LBB6_1510
; %bb.1507:                             ;   in Loop: Header=BB6_126 Depth=2
	v_bfe_u32 v4, v35, 24, 7
	v_cmp_ne_u32_e32 vcc, s54, v4
	v_mov_b32_e32 v2, 0x7f800001
	s_and_saveexec_b64 s[94:95], vcc
	s_cbranch_execz .LBB6_1509
; %bb.1508:                             ;   in Loop: Header=BB6_126 Depth=2
	v_and_b32_e32 v2, 7, v27
	v_lshrrev_b32_e32 v8, 3, v4
	v_cmp_gt_u32_e32 vcc, 8, v4
	v_ffbh_u32_e32 v4, v2
	v_min_u32_e32 v4, 32, v4
	v_subrev_u32_e32 v6, 28, v4
	v_lshlrev_b64 v[6:7], v6, v[27:28]
	v_sub_u32_e32 v4, 29, v4
	v_and_b32_e32 v6, 7, v6
	v_cndmask_b32_e32 v4, v8, v4, vcc
	v_cndmask_b32_e32 v2, v2, v6, vcc
	v_lshlrev_b32_e32 v6, 24, v27
	v_lshlrev_b32_e32 v2, 20, v2
	v_and_b32_e32 v6, 0x80000000, v6
	v_lshl_add_u32 v4, v4, 23, v62
	v_or3_b32 v2, v6, v4, v2
.LBB6_1509:                             ;   in Loop: Header=BB6_126 Depth=2
	s_or_b64 exec, exec, s[94:95]
.LBB6_1510:                             ;   in Loop: Header=BB6_126 Depth=2
	s_or_b64 exec, exec, s[22:23]
.LBB6_1511:                             ;   in Loop: Header=BB6_126 Depth=2
	s_or_b64 exec, exec, s[92:93]
	v_cmp_lt_u64_e32 vcc, s[78:79], v[28:29]
	s_and_saveexec_b64 s[22:23], vcc
	s_cbranch_execz .LBB6_1517
; %bb.1512:                             ;   in Loop: Header=BB6_126 Depth=2
	v_cmp_ne_u32_e32 vcc, s53, v26
	v_bfrev_b32_e32 v3, 1
	s_and_saveexec_b64 s[92:93], vcc
	s_cbranch_execz .LBB6_1516
; %bb.1513:                             ;   in Loop: Header=BB6_126 Depth=2
	v_bfe_u32 v4, v29, 24, 7
	v_cmp_ne_u32_e32 vcc, s54, v4
	v_mov_b32_e32 v3, 0x7f800001
	s_and_saveexec_b64 s[94:95], vcc
	s_cbranch_execz .LBB6_1515
; %bb.1514:                             ;   in Loop: Header=BB6_126 Depth=2
	v_and_b32_e32 v6, 7, v26
	v_ffbh_u32_e32 v3, v6
	v_min_u32_e32 v8, 32, v3
	v_subrev_u32_e32 v3, 28, v8
	v_lshrrev_b32_e32 v7, 3, v4
	v_cmp_gt_u32_e32 vcc, 8, v4
	v_lshlrev_b64 v[3:4], v3, v[26:27]
	v_sub_u32_e32 v4, 29, v8
	v_and_b32_e32 v3, 7, v3
	v_cndmask_b32_e32 v4, v7, v4, vcc
	v_cndmask_b32_e32 v3, v6, v3, vcc
	v_lshlrev_b32_e32 v6, 24, v26
	v_lshlrev_b32_e32 v3, 20, v3
	v_and_b32_e32 v6, 0x80000000, v6
	v_lshl_add_u32 v4, v4, 23, v62
	v_or3_b32 v3, v6, v4, v3
.LBB6_1515:                             ;   in Loop: Header=BB6_126 Depth=2
	s_or_b64 exec, exec, s[94:95]
.LBB6_1516:                             ;   in Loop: Header=BB6_126 Depth=2
	s_or_b64 exec, exec, s[92:93]
.LBB6_1517:                             ;   in Loop: Header=BB6_126 Depth=2
	s_or_b64 exec, exec, s[22:23]
	v_max_f32_e32 v3, v3, v3
	v_max_f32_e32 v2, v2, v2
	v_min_f32_e32 v3, v2, v3
.LBB6_1518:                             ;   in Loop: Header=BB6_126 Depth=2
	v_and_b32_e32 v60, 0x7f800000, v3
	v_cmp_ne_u64_e32 vcc, s[72:73], v[60:61]
                                        ; implicit-def: $vgpr42
	s_and_saveexec_b64 s[22:23], vcc
	s_xor_b64 s[92:93], exec, s[22:23]
	s_cbranch_execz .LBB6_1532
; %bb.1519:                             ;   in Loop: Header=BB6_126 Depth=2
	v_and_b32_e32 v60, 0x7fffffff, v3
	v_cmp_gt_u64_e32 vcc, s[74:75], v[60:61]
	v_and_b32_sdwa v2, v3, s53 dst_sel:DWORD dst_unused:UNUSED_PAD src0_sel:BYTE_3 src1_sel:DWORD
                                        ; implicit-def: $vgpr42
	s_and_saveexec_b64 s[22:23], vcc
	s_xor_b64 s[94:95], exec, s[22:23]
	s_cbranch_execz .LBB6_1529
; %bb.1520:                             ;   in Loop: Header=BB6_126 Depth=2
	v_mov_b32_e32 v42, 0
	v_cmp_ne_u32_e32 vcc, 0, v3
	s_and_saveexec_b64 s[30:31], vcc
	s_cbranch_execz .LBB6_1528
; %bb.1521:                             ;   in Loop: Header=BB6_126 Depth=2
	v_and_b32_e32 v6, 0x7fffff, v3
	v_bfe_u32 v3, v3, 23, 8
	v_cmp_gt_u32_e64 s[22:23], s64, v3
	v_sub_u32_e32 v4, 0x79, v3
	v_cmp_eq_u32_e32 vcc, 0, v3
	v_cndmask_b32_e64 v4, 0, v4, s[22:23]
	v_mov_b32_e32 v8, 0x78
	v_or_b32_e32 v7, 0x800000, v6
	v_cndmask_b32_e32 v4, v4, v8, vcc
	v_cndmask_b32_e32 v60, v7, v6, vcc
	v_add_u32_e32 v6, 20, v4
	v_lshlrev_b64 v[6:7], v6, -1
	v_add_u32_e32 v8, 19, v4
	v_lshlrev_b64 v[8:9], v8, 1
	v_lshrrev_b64 v[26:27], v4, v[60:61]
	v_bfi_b32 v7, v7, 0, 0
	v_bfi_b32 v6, v6, 0, v60
	v_cmp_eq_u64_e64 s[22:23], v[6:7], v[8:9]
	v_mov_b32_e32 v28, v27
	v_mov_b32_e32 v27, v26
	s_and_saveexec_b64 s[34:35], s[22:23]
; %bb.1522:                             ;   in Loop: Header=BB6_126 Depth=2
	v_bfe_u32 v6, v26, 20, 1
	v_add_co_u32_e64 v6, s[22:23], v26, v6
	v_add_co_u32_e64 v27, s[22:23], -1, v6
; %bb.1523:                             ;   in Loop: Header=BB6_126 Depth=2
	s_or_b64 exec, exec, s[34:35]
	v_add_u32_e32 v3, 0xffffff81, v3
	v_cndmask_b32_e32 v3, v3, v41, vcc
	v_lshrrev_b32_e32 v6, 23, v26
	v_add3_u32 v6, v4, v3, v6
	v_add_u32_e32 v4, 6, v6
	v_and_b32_e32 v3, 0xfffff, v27
	v_add_u32_e32 v60, v3, v26
	v_cmp_ne_u32_e32 vcc, 0, v4
                                        ; implicit-def: $vgpr26_vgpr27
                                        ; implicit-def: $vgpr3
	s_and_saveexec_b64 s[22:23], vcc
	s_xor_b64 s[22:23], exec, s[22:23]
; %bb.1524:                             ;   in Loop: Header=BB6_126 Depth=2
	v_cmp_lt_u64_e32 vcc, s[76:77], v[60:61]
	v_add_u32_e32 v3, 7, v6
	v_cndmask_b32_e32 v3, v4, v3, vcc
	v_cndmask_b32_e64 v4, 0, 1, vcc
	v_lshrrev_b64 v[26:27], v4, v[60:61]
; %bb.1525:                             ;   in Loop: Header=BB6_126 Depth=2
	s_andn2_saveexec_b64 s[22:23], s[22:23]
; %bb.1526:                             ;   in Loop: Header=BB6_126 Depth=2
	v_mov_b32_e32 v26, v60
	v_bfe_u32 v3, v60, 23, 1
	v_mov_b32_e32 v27, v61
; %bb.1527:                             ;   in Loop: Header=BB6_126 Depth=2
	s_or_b64 exec, exec, s[22:23]
	v_lshrrev_b64 v[6:7], 20, v[26:27]
	v_cmp_gt_i32_e32 vcc, 16, v3
	v_cndmask_b32_e32 v7, 0, v7, vcc
	v_cndmask_b32_e32 v6, 7, v6, vcc
	v_cmp_eq_u32_e32 vcc, 0, v3
	v_min_i32_e32 v3, 15, v3
	v_cmp_eq_u64_e64 s[22:23], 0, v[6:7]
	v_lshlrev_b32_e32 v3, 3, v3
	v_and_b32_e32 v3, 0xf8, v3
	v_and_or_b32 v3, v6, 7, v3
	s_and_b64 s[22:23], vcc, s[22:23]
	v_cndmask_b32_e64 v3, v3, 0, s[22:23]
	v_or_b32_e32 v42, v3, v2
.LBB6_1528:                             ;   in Loop: Header=BB6_126 Depth=2
	s_or_b64 exec, exec, s[30:31]
                                        ; implicit-def: $vgpr2
.LBB6_1529:                             ;   in Loop: Header=BB6_126 Depth=2
	s_andn2_saveexec_b64 s[22:23], s[94:95]
; %bb.1530:                             ;   in Loop: Header=BB6_126 Depth=2
	v_or_b32_e32 v42, 0x7e, v2
; %bb.1531:                             ;   in Loop: Header=BB6_126 Depth=2
	s_or_b64 exec, exec, s[22:23]
                                        ; implicit-def: $vgpr3
.LBB6_1532:                             ;   in Loop: Header=BB6_126 Depth=2
	s_andn2_saveexec_b64 s[22:23], s[92:93]
; %bb.1533:                             ;   in Loop: Header=BB6_126 Depth=2
	v_or_b32_sdwa v42, v3, s54 dst_sel:DWORD dst_unused:UNUSED_PAD src0_sel:BYTE_3 src1_sel:DWORD
; %bb.1534:                             ;   in Loop: Header=BB6_126 Depth=2
	s_or_b64 exec, exec, s[22:23]
	v_cmp_ne_u16_sdwa s[22:23], v22, v61 src0_sel:BYTE_0 src1_sel:DWORD
	s_and_b64 vcc, exec, s[20:21]
	s_mov_b64 s[92:93], -1
                                        ; implicit-def: $vgpr3
	s_cbranch_vccnz .LBB6_1548
; %bb.1535:                             ;   in Loop: Header=BB6_126 Depth=2
	v_mov_b32_e32 v3, 0
	v_mov_b32_e32 v2, 0
	s_and_saveexec_b64 s[92:93], s[22:23]
	s_cbranch_execz .LBB6_1541
; %bb.1536:                             ;   in Loop: Header=BB6_126 Depth=2
	v_cmp_ne_u16_sdwa vcc, v22, s53 src0_sel:BYTE_0 src1_sel:DWORD
	v_bfrev_b32_e32 v2, 1
	s_and_saveexec_b64 s[94:95], vcc
	s_cbranch_execz .LBB6_1540
; %bb.1537:                             ;   in Loop: Header=BB6_126 Depth=2
	v_and_b32_e32 v4, 0x7f, v22
	v_cmp_ne_u32_e32 vcc, s54, v4
	v_mov_b32_e32 v2, 0x7f800001
	s_and_saveexec_b64 s[30:31], vcc
	s_cbranch_execz .LBB6_1539
; %bb.1538:                             ;   in Loop: Header=BB6_126 Depth=2
	v_and_b32_e32 v2, 7, v22
	v_ffbh_u32_e32 v2, v2
	v_min_u32_e32 v2, 32, v2
	v_lshrrev_b32_e32 v6, 3, v4
	v_cmp_gt_u32_e32 vcc, 8, v4
	v_subrev_u32_e32 v4, 28, v2
	v_sub_u32_e32 v2, 29, v2
	v_cndmask_b32_e32 v4, 0, v4, vcc
	v_cndmask_b32_e32 v2, v6, v2, vcc
	v_lshlrev_b64 v[6:7], v4, v[22:23]
	v_lshl_add_u32 v2, v2, 23, v62
	v_lshlrev_b32_e32 v4, 20, v6
	v_lshlrev_b32_e32 v6, 24, v22
	v_and_b32_e32 v4, 0x700000, v4
	v_and_b32_e32 v6, 0x80000000, v6
	v_or3_b32 v2, v6, v2, v4
.LBB6_1539:                             ;   in Loop: Header=BB6_126 Depth=2
	s_or_b64 exec, exec, s[30:31]
.LBB6_1540:                             ;   in Loop: Header=BB6_126 Depth=2
	s_or_b64 exec, exec, s[94:95]
.LBB6_1541:                             ;   in Loop: Header=BB6_126 Depth=2
	s_or_b64 exec, exec, s[92:93]
	s_waitcnt vmcnt(12)
	v_cmp_ne_u16_sdwa s[94:95], v18, v61 src0_sel:BYTE_0 src1_sel:DWORD
	s_and_saveexec_b64 s[92:93], s[94:95]
	s_cbranch_execz .LBB6_1547
; %bb.1542:                             ;   in Loop: Header=BB6_126 Depth=2
	v_cmp_ne_u16_sdwa vcc, v18, s53 src0_sel:BYTE_0 src1_sel:DWORD
	v_bfrev_b32_e32 v3, 1
	s_and_saveexec_b64 s[94:95], vcc
	s_cbranch_execz .LBB6_1546
; %bb.1543:                             ;   in Loop: Header=BB6_126 Depth=2
	v_and_b32_e32 v4, 0x7f, v18
	v_cmp_ne_u32_e32 vcc, s54, v4
	v_mov_b32_e32 v3, 0x7f800001
	s_and_saveexec_b64 s[30:31], vcc
	s_cbranch_execz .LBB6_1545
; %bb.1544:                             ;   in Loop: Header=BB6_126 Depth=2
	v_and_b32_e32 v3, 7, v18
	v_ffbh_u32_e32 v3, v3
	v_min_u32_e32 v3, 32, v3
	v_lshrrev_b32_e32 v6, 3, v4
	v_cmp_gt_u32_e32 vcc, 8, v4
	v_subrev_u32_e32 v4, 28, v3
	v_sub_u32_e32 v3, 29, v3
	v_cndmask_b32_e32 v6, v6, v3, vcc
	v_cndmask_b32_e32 v3, 0, v4, vcc
	v_lshlrev_b64 v[3:4], v3, v[18:19]
	v_lshlrev_b32_e32 v4, 24, v18
	v_lshlrev_b32_e32 v3, 20, v3
	v_and_b32_e32 v3, 0x700000, v3
	v_and_b32_e32 v4, 0x80000000, v4
	v_lshl_add_u32 v6, v6, 23, v62
	v_or3_b32 v3, v4, v6, v3
.LBB6_1545:                             ;   in Loop: Header=BB6_126 Depth=2
	s_or_b64 exec, exec, s[30:31]
.LBB6_1546:                             ;   in Loop: Header=BB6_126 Depth=2
	s_or_b64 exec, exec, s[94:95]
.LBB6_1547:                             ;   in Loop: Header=BB6_126 Depth=2
	s_or_b64 exec, exec, s[92:93]
	v_max_f32_e32 v3, v3, v3
	v_max_f32_e32 v2, v2, v2
	;; [unrolled: 1-line block ×3, first 2 shown]
	s_mov_b64 s[92:93], 0
.LBB6_1548:                             ;   in Loop: Header=BB6_126 Depth=2
	s_and_b64 vcc, exec, s[92:93]
	s_cbranch_vccz .LBB6_1562
; %bb.1549:                             ;   in Loop: Header=BB6_126 Depth=2
	v_mov_b32_e32 v3, 0
	v_mov_b32_e32 v2, 0
	s_and_saveexec_b64 s[92:93], s[22:23]
	s_cbranch_execz .LBB6_1555
; %bb.1550:                             ;   in Loop: Header=BB6_126 Depth=2
	v_cmp_ne_u16_sdwa s[94:95], v22, s53 src0_sel:BYTE_0 src1_sel:DWORD
	v_bfrev_b32_e32 v2, 1
	s_and_saveexec_b64 s[22:23], s[94:95]
	s_cbranch_execz .LBB6_1554
; %bb.1551:                             ;   in Loop: Header=BB6_126 Depth=2
	v_and_b32_e32 v4, 0x7f, v22
	v_cmp_ne_u32_e32 vcc, s54, v4
	v_mov_b32_e32 v2, 0x7f800001
	s_and_saveexec_b64 s[94:95], vcc
	s_cbranch_execz .LBB6_1553
; %bb.1552:                             ;   in Loop: Header=BB6_126 Depth=2
	v_and_b32_e32 v2, 7, v22
	v_ffbh_u32_e32 v2, v2
	v_min_u32_e32 v2, 32, v2
	v_lshrrev_b32_e32 v6, 3, v4
	v_cmp_gt_u32_e32 vcc, 8, v4
	v_subrev_u32_e32 v4, 28, v2
	v_sub_u32_e32 v2, 29, v2
	v_cndmask_b32_e32 v4, 0, v4, vcc
	v_cndmask_b32_e32 v2, v6, v2, vcc
	v_lshlrev_b64 v[6:7], v4, v[22:23]
	v_lshl_add_u32 v2, v2, 23, v62
	v_lshlrev_b32_e32 v4, 20, v6
	v_lshlrev_b32_e32 v6, 24, v22
	v_and_b32_e32 v4, 0x700000, v4
	v_and_b32_e32 v6, 0x80000000, v6
	v_or3_b32 v2, v6, v2, v4
.LBB6_1553:                             ;   in Loop: Header=BB6_126 Depth=2
	s_or_b64 exec, exec, s[94:95]
.LBB6_1554:                             ;   in Loop: Header=BB6_126 Depth=2
	s_or_b64 exec, exec, s[22:23]
.LBB6_1555:                             ;   in Loop: Header=BB6_126 Depth=2
	s_or_b64 exec, exec, s[92:93]
	s_waitcnt vmcnt(12)
	v_cmp_ne_u16_sdwa s[92:93], v18, v61 src0_sel:BYTE_0 src1_sel:DWORD
	s_and_saveexec_b64 s[22:23], s[92:93]
	s_cbranch_execz .LBB6_1561
; %bb.1556:                             ;   in Loop: Header=BB6_126 Depth=2
	v_cmp_ne_u16_sdwa s[94:95], v18, s53 src0_sel:BYTE_0 src1_sel:DWORD
	v_bfrev_b32_e32 v3, 1
	s_and_saveexec_b64 s[92:93], s[94:95]
	s_cbranch_execz .LBB6_1560
; %bb.1557:                             ;   in Loop: Header=BB6_126 Depth=2
	v_and_b32_e32 v4, 0x7f, v18
	v_cmp_ne_u32_e32 vcc, s54, v4
	v_mov_b32_e32 v3, 0x7f800001
	s_and_saveexec_b64 s[94:95], vcc
	s_cbranch_execz .LBB6_1559
; %bb.1558:                             ;   in Loop: Header=BB6_126 Depth=2
	v_and_b32_e32 v3, 7, v18
	v_ffbh_u32_e32 v3, v3
	v_min_u32_e32 v3, 32, v3
	v_lshrrev_b32_e32 v6, 3, v4
	v_cmp_gt_u32_e32 vcc, 8, v4
	v_subrev_u32_e32 v4, 28, v3
	v_sub_u32_e32 v3, 29, v3
	v_cndmask_b32_e32 v6, v6, v3, vcc
	v_cndmask_b32_e32 v3, 0, v4, vcc
	v_lshlrev_b64 v[3:4], v3, v[18:19]
	v_lshlrev_b32_e32 v4, 24, v18
	v_lshlrev_b32_e32 v3, 20, v3
	v_and_b32_e32 v3, 0x700000, v3
	v_and_b32_e32 v4, 0x80000000, v4
	v_lshl_add_u32 v6, v6, 23, v62
	v_or3_b32 v3, v4, v6, v3
.LBB6_1559:                             ;   in Loop: Header=BB6_126 Depth=2
	s_or_b64 exec, exec, s[94:95]
.LBB6_1560:                             ;   in Loop: Header=BB6_126 Depth=2
	s_or_b64 exec, exec, s[92:93]
.LBB6_1561:                             ;   in Loop: Header=BB6_126 Depth=2
	s_or_b64 exec, exec, s[22:23]
	v_max_f32_e32 v3, v3, v3
	v_max_f32_e32 v2, v2, v2
	v_min_f32_e32 v3, v2, v3
.LBB6_1562:                             ;   in Loop: Header=BB6_126 Depth=2
	v_and_b32_e32 v60, 0x7f800000, v3
	v_cmp_ne_u64_e32 vcc, s[72:73], v[60:61]
                                        ; implicit-def: $vgpr35
	s_and_saveexec_b64 s[22:23], vcc
	s_xor_b64 s[92:93], exec, s[22:23]
	s_cbranch_execz .LBB6_1576
; %bb.1563:                             ;   in Loop: Header=BB6_126 Depth=2
	v_and_b32_e32 v60, 0x7fffffff, v3
	v_cmp_gt_u64_e32 vcc, s[74:75], v[60:61]
	v_and_b32_sdwa v2, v3, s53 dst_sel:DWORD dst_unused:UNUSED_PAD src0_sel:BYTE_3 src1_sel:DWORD
                                        ; implicit-def: $vgpr35
	s_and_saveexec_b64 s[22:23], vcc
	s_xor_b64 s[94:95], exec, s[22:23]
	s_cbranch_execz .LBB6_1573
; %bb.1564:                             ;   in Loop: Header=BB6_126 Depth=2
	v_mov_b32_e32 v35, 0
	v_cmp_ne_u32_e32 vcc, 0, v3
	s_and_saveexec_b64 s[30:31], vcc
	s_cbranch_execz .LBB6_1572
; %bb.1565:                             ;   in Loop: Header=BB6_126 Depth=2
	v_and_b32_e32 v6, 0x7fffff, v3
	v_bfe_u32 v3, v3, 23, 8
	v_cmp_gt_u32_e64 s[22:23], s64, v3
	v_sub_u32_e32 v4, 0x79, v3
	v_cmp_eq_u32_e32 vcc, 0, v3
	v_cndmask_b32_e64 v4, 0, v4, s[22:23]
	v_mov_b32_e32 v8, 0x78
	v_or_b32_e32 v7, 0x800000, v6
	v_cndmask_b32_e32 v4, v4, v8, vcc
	v_cndmask_b32_e32 v60, v7, v6, vcc
	v_add_u32_e32 v6, 20, v4
	v_lshlrev_b64 v[6:7], v6, -1
	v_add_u32_e32 v8, 19, v4
	v_lshlrev_b64 v[8:9], v8, 1
	v_lshrrev_b64 v[26:27], v4, v[60:61]
	v_bfi_b32 v7, v7, 0, 0
	v_bfi_b32 v6, v6, 0, v60
	v_cmp_eq_u64_e64 s[22:23], v[6:7], v[8:9]
	v_mov_b32_e32 v28, v27
	v_mov_b32_e32 v27, v26
	s_and_saveexec_b64 s[34:35], s[22:23]
; %bb.1566:                             ;   in Loop: Header=BB6_126 Depth=2
	v_bfe_u32 v6, v26, 20, 1
	v_add_co_u32_e64 v6, s[22:23], v26, v6
	v_add_co_u32_e64 v27, s[22:23], -1, v6
; %bb.1567:                             ;   in Loop: Header=BB6_126 Depth=2
	s_or_b64 exec, exec, s[34:35]
	v_add_u32_e32 v3, 0xffffff81, v3
	v_cndmask_b32_e32 v3, v3, v41, vcc
	v_lshrrev_b32_e32 v6, 23, v26
	v_add3_u32 v6, v4, v3, v6
	v_add_u32_e32 v4, 6, v6
	v_and_b32_e32 v3, 0xfffff, v27
	v_add_u32_e32 v60, v3, v26
	v_cmp_ne_u32_e32 vcc, 0, v4
                                        ; implicit-def: $vgpr26_vgpr27
                                        ; implicit-def: $vgpr3
	s_and_saveexec_b64 s[22:23], vcc
	s_xor_b64 s[22:23], exec, s[22:23]
; %bb.1568:                             ;   in Loop: Header=BB6_126 Depth=2
	v_cmp_lt_u64_e32 vcc, s[76:77], v[60:61]
	v_add_u32_e32 v3, 7, v6
	v_cndmask_b32_e32 v3, v4, v3, vcc
	v_cndmask_b32_e64 v4, 0, 1, vcc
	v_lshrrev_b64 v[26:27], v4, v[60:61]
; %bb.1569:                             ;   in Loop: Header=BB6_126 Depth=2
	s_andn2_saveexec_b64 s[22:23], s[22:23]
; %bb.1570:                             ;   in Loop: Header=BB6_126 Depth=2
	v_mov_b32_e32 v26, v60
	v_bfe_u32 v3, v60, 23, 1
	v_mov_b32_e32 v27, v61
; %bb.1571:                             ;   in Loop: Header=BB6_126 Depth=2
	s_or_b64 exec, exec, s[22:23]
	v_lshrrev_b64 v[6:7], 20, v[26:27]
	v_cmp_gt_i32_e32 vcc, 16, v3
	v_cndmask_b32_e32 v7, 0, v7, vcc
	v_cndmask_b32_e32 v6, 7, v6, vcc
	v_cmp_eq_u32_e32 vcc, 0, v3
	v_min_i32_e32 v3, 15, v3
	v_cmp_eq_u64_e64 s[22:23], 0, v[6:7]
	v_lshlrev_b32_e32 v3, 3, v3
	v_and_b32_e32 v3, 0xf8, v3
	v_and_or_b32 v3, v6, 7, v3
	s_and_b64 s[22:23], vcc, s[22:23]
	v_cndmask_b32_e64 v3, v3, 0, s[22:23]
	v_or_b32_e32 v35, v3, v2
.LBB6_1572:                             ;   in Loop: Header=BB6_126 Depth=2
	s_or_b64 exec, exec, s[30:31]
                                        ; implicit-def: $vgpr2
.LBB6_1573:                             ;   in Loop: Header=BB6_126 Depth=2
	s_andn2_saveexec_b64 s[22:23], s[94:95]
; %bb.1574:                             ;   in Loop: Header=BB6_126 Depth=2
	v_or_b32_e32 v35, 0x7e, v2
; %bb.1575:                             ;   in Loop: Header=BB6_126 Depth=2
	s_or_b64 exec, exec, s[22:23]
                                        ; implicit-def: $vgpr3
.LBB6_1576:                             ;   in Loop: Header=BB6_126 Depth=2
	s_andn2_saveexec_b64 s[22:23], s[92:93]
; %bb.1577:                             ;   in Loop: Header=BB6_126 Depth=2
	v_or_b32_sdwa v35, v3, s54 dst_sel:DWORD dst_unused:UNUSED_PAD src0_sel:BYTE_3 src1_sel:DWORD
; %bb.1578:                             ;   in Loop: Header=BB6_126 Depth=2
	s_or_b64 exec, exec, s[22:23]
	v_lshrrev_b16_e32 v27, 8, v22
	s_waitcnt vmcnt(12)
	v_lshrrev_b16_e32 v26, 8, v18
	v_cmp_ne_u16_e64 s[22:23], 0, v27
	s_and_b64 vcc, exec, s[20:21]
	s_mov_b64 s[92:93], -1
                                        ; implicit-def: $vgpr3
	s_cbranch_vccnz .LBB6_1592
; %bb.1579:                             ;   in Loop: Header=BB6_126 Depth=2
	v_mov_b32_e32 v3, 0
	v_mov_b32_e32 v2, 0
	s_and_saveexec_b64 s[92:93], s[22:23]
	s_cbranch_execz .LBB6_1585
; %bb.1580:                             ;   in Loop: Header=BB6_126 Depth=2
	v_cmp_ne_u16_e32 vcc, s53, v27
	v_bfrev_b32_e32 v2, 1
	s_and_saveexec_b64 s[94:95], vcc
	s_cbranch_execz .LBB6_1584
; %bb.1581:                             ;   in Loop: Header=BB6_126 Depth=2
	v_and_b32_e32 v4, 0x7f, v27
	v_cmp_ne_u32_e32 vcc, s54, v4
	v_mov_b32_e32 v2, 0x7f800001
	s_and_saveexec_b64 s[30:31], vcc
	s_cbranch_execz .LBB6_1583
; %bb.1582:                             ;   in Loop: Header=BB6_126 Depth=2
	v_and_b32_e32 v2, 7, v27
	v_lshrrev_b32_e32 v8, 3, v4
	v_cmp_gt_u32_e32 vcc, 8, v4
	v_ffbh_u32_e32 v4, v2
	v_min_u32_e32 v4, 32, v4
	v_subrev_u32_e32 v6, 28, v4
	v_lshlrev_b64 v[6:7], v6, v[27:28]
	v_sub_u32_e32 v4, 29, v4
	v_and_b32_e32 v6, 7, v6
	v_cndmask_b32_e32 v4, v8, v4, vcc
	v_cndmask_b32_e32 v2, v2, v6, vcc
	v_lshlrev_b32_e32 v6, 16, v22
	v_lshlrev_b32_e32 v2, 20, v2
	v_and_b32_e32 v6, 0x80000000, v6
	v_lshl_add_u32 v4, v4, 23, v62
	v_or3_b32 v2, v6, v4, v2
.LBB6_1583:                             ;   in Loop: Header=BB6_126 Depth=2
	s_or_b64 exec, exec, s[30:31]
.LBB6_1584:                             ;   in Loop: Header=BB6_126 Depth=2
	s_or_b64 exec, exec, s[94:95]
.LBB6_1585:                             ;   in Loop: Header=BB6_126 Depth=2
	s_or_b64 exec, exec, s[92:93]
	v_cmp_ne_u16_e32 vcc, 0, v26
	s_and_saveexec_b64 s[92:93], vcc
	s_cbranch_execz .LBB6_1591
; %bb.1586:                             ;   in Loop: Header=BB6_126 Depth=2
	v_cmp_ne_u16_e32 vcc, s53, v26
	v_bfrev_b32_e32 v3, 1
	s_and_saveexec_b64 s[94:95], vcc
	s_cbranch_execz .LBB6_1590
; %bb.1587:                             ;   in Loop: Header=BB6_126 Depth=2
	v_and_b32_e32 v4, 0x7f, v26
	v_cmp_ne_u32_e32 vcc, s54, v4
	v_mov_b32_e32 v3, 0x7f800001
	s_and_saveexec_b64 s[30:31], vcc
	s_cbranch_execz .LBB6_1589
; %bb.1588:                             ;   in Loop: Header=BB6_126 Depth=2
	v_and_b32_e32 v6, 7, v26
	v_ffbh_u32_e32 v3, v6
	v_min_u32_e32 v8, 32, v3
	v_subrev_u32_e32 v3, 28, v8
	v_lshrrev_b32_e32 v7, 3, v4
	v_cmp_gt_u32_e32 vcc, 8, v4
	v_lshlrev_b64 v[3:4], v3, v[26:27]
	v_sub_u32_e32 v4, 29, v8
	v_and_b32_e32 v3, 7, v3
	v_cndmask_b32_e32 v4, v7, v4, vcc
	v_cndmask_b32_e32 v3, v6, v3, vcc
	v_lshlrev_b32_e32 v6, 16, v18
	v_lshlrev_b32_e32 v3, 20, v3
	v_and_b32_e32 v6, 0x80000000, v6
	v_lshl_add_u32 v4, v4, 23, v62
	v_or3_b32 v3, v6, v4, v3
.LBB6_1589:                             ;   in Loop: Header=BB6_126 Depth=2
	s_or_b64 exec, exec, s[30:31]
.LBB6_1590:                             ;   in Loop: Header=BB6_126 Depth=2
	s_or_b64 exec, exec, s[94:95]
.LBB6_1591:                             ;   in Loop: Header=BB6_126 Depth=2
	s_or_b64 exec, exec, s[92:93]
	v_max_f32_e32 v3, v3, v3
	v_max_f32_e32 v2, v2, v2
	;; [unrolled: 1-line block ×3, first 2 shown]
	s_mov_b64 s[92:93], 0
.LBB6_1592:                             ;   in Loop: Header=BB6_126 Depth=2
	s_and_b64 vcc, exec, s[92:93]
	s_cbranch_vccz .LBB6_1606
; %bb.1593:                             ;   in Loop: Header=BB6_126 Depth=2
	v_mov_b32_e32 v3, 0
	v_mov_b32_e32 v2, 0
	s_and_saveexec_b64 s[92:93], s[22:23]
	s_cbranch_execz .LBB6_1599
; %bb.1594:                             ;   in Loop: Header=BB6_126 Depth=2
	v_cmp_ne_u16_e32 vcc, s53, v27
	v_bfrev_b32_e32 v2, 1
	s_and_saveexec_b64 s[22:23], vcc
	s_cbranch_execz .LBB6_1598
; %bb.1595:                             ;   in Loop: Header=BB6_126 Depth=2
	v_and_b32_e32 v4, 0x7f, v27
	v_cmp_ne_u32_e32 vcc, s54, v4
	v_mov_b32_e32 v2, 0x7f800001
	s_and_saveexec_b64 s[94:95], vcc
	s_cbranch_execz .LBB6_1597
; %bb.1596:                             ;   in Loop: Header=BB6_126 Depth=2
	v_and_b32_e32 v2, 7, v27
	v_lshrrev_b32_e32 v8, 3, v4
	v_cmp_gt_u32_e32 vcc, 8, v4
	v_ffbh_u32_e32 v4, v2
	v_min_u32_e32 v4, 32, v4
	v_subrev_u32_e32 v6, 28, v4
	v_lshlrev_b64 v[6:7], v6, v[27:28]
	v_sub_u32_e32 v4, 29, v4
	v_and_b32_e32 v6, 7, v6
	v_cndmask_b32_e32 v4, v8, v4, vcc
	v_cndmask_b32_e32 v2, v2, v6, vcc
	v_lshlrev_b32_e32 v6, 16, v22
	v_lshlrev_b32_e32 v2, 20, v2
	v_and_b32_e32 v6, 0x80000000, v6
	v_lshl_add_u32 v4, v4, 23, v62
	v_or3_b32 v2, v6, v4, v2
.LBB6_1597:                             ;   in Loop: Header=BB6_126 Depth=2
	s_or_b64 exec, exec, s[94:95]
.LBB6_1598:                             ;   in Loop: Header=BB6_126 Depth=2
	s_or_b64 exec, exec, s[22:23]
.LBB6_1599:                             ;   in Loop: Header=BB6_126 Depth=2
	s_or_b64 exec, exec, s[92:93]
	v_cmp_ne_u16_e32 vcc, 0, v26
	s_and_saveexec_b64 s[22:23], vcc
	s_cbranch_execz .LBB6_1605
; %bb.1600:                             ;   in Loop: Header=BB6_126 Depth=2
	v_cmp_ne_u16_e32 vcc, s53, v26
	v_bfrev_b32_e32 v3, 1
	s_and_saveexec_b64 s[92:93], vcc
	s_cbranch_execz .LBB6_1604
; %bb.1601:                             ;   in Loop: Header=BB6_126 Depth=2
	v_and_b32_e32 v4, 0x7f, v26
	v_cmp_ne_u32_e32 vcc, s54, v4
	v_mov_b32_e32 v3, 0x7f800001
	s_and_saveexec_b64 s[94:95], vcc
	s_cbranch_execz .LBB6_1603
; %bb.1602:                             ;   in Loop: Header=BB6_126 Depth=2
	v_and_b32_e32 v6, 7, v26
	v_ffbh_u32_e32 v3, v6
	v_min_u32_e32 v8, 32, v3
	v_subrev_u32_e32 v3, 28, v8
	v_lshrrev_b32_e32 v7, 3, v4
	v_cmp_gt_u32_e32 vcc, 8, v4
	v_lshlrev_b64 v[3:4], v3, v[26:27]
	v_sub_u32_e32 v4, 29, v8
	v_and_b32_e32 v3, 7, v3
	v_cndmask_b32_e32 v4, v7, v4, vcc
	v_cndmask_b32_e32 v3, v6, v3, vcc
	v_lshlrev_b32_e32 v6, 16, v18
	v_lshlrev_b32_e32 v3, 20, v3
	v_and_b32_e32 v6, 0x80000000, v6
	v_lshl_add_u32 v4, v4, 23, v62
	v_or3_b32 v3, v6, v4, v3
.LBB6_1603:                             ;   in Loop: Header=BB6_126 Depth=2
	s_or_b64 exec, exec, s[94:95]
.LBB6_1604:                             ;   in Loop: Header=BB6_126 Depth=2
	s_or_b64 exec, exec, s[92:93]
.LBB6_1605:                             ;   in Loop: Header=BB6_126 Depth=2
	s_or_b64 exec, exec, s[22:23]
	v_max_f32_e32 v3, v3, v3
	v_max_f32_e32 v2, v2, v2
	v_min_f32_e32 v3, v2, v3
.LBB6_1606:                             ;   in Loop: Header=BB6_126 Depth=2
	v_and_b32_e32 v60, 0x7f800000, v3
	v_cmp_ne_u64_e32 vcc, s[72:73], v[60:61]
                                        ; implicit-def: $vgpr34
	s_and_saveexec_b64 s[22:23], vcc
	s_xor_b64 s[92:93], exec, s[22:23]
	s_cbranch_execz .LBB6_1620
; %bb.1607:                             ;   in Loop: Header=BB6_126 Depth=2
	v_and_b32_e32 v60, 0x7fffffff, v3
	v_cmp_gt_u64_e32 vcc, s[74:75], v[60:61]
	v_and_b32_sdwa v2, v3, s53 dst_sel:DWORD dst_unused:UNUSED_PAD src0_sel:BYTE_3 src1_sel:DWORD
                                        ; implicit-def: $vgpr34
	s_and_saveexec_b64 s[22:23], vcc
	s_xor_b64 s[94:95], exec, s[22:23]
	s_cbranch_execz .LBB6_1617
; %bb.1608:                             ;   in Loop: Header=BB6_126 Depth=2
	v_mov_b32_e32 v34, 0
	v_cmp_ne_u32_e32 vcc, 0, v3
	s_and_saveexec_b64 s[30:31], vcc
	s_cbranch_execz .LBB6_1616
; %bb.1609:                             ;   in Loop: Header=BB6_126 Depth=2
	v_and_b32_e32 v6, 0x7fffff, v3
	v_bfe_u32 v3, v3, 23, 8
	v_cmp_gt_u32_e64 s[22:23], s64, v3
	v_sub_u32_e32 v4, 0x79, v3
	v_cmp_eq_u32_e32 vcc, 0, v3
	v_cndmask_b32_e64 v4, 0, v4, s[22:23]
	v_mov_b32_e32 v8, 0x78
	v_or_b32_e32 v7, 0x800000, v6
	v_cndmask_b32_e32 v4, v4, v8, vcc
	v_cndmask_b32_e32 v60, v7, v6, vcc
	v_add_u32_e32 v6, 20, v4
	v_lshlrev_b64 v[6:7], v6, -1
	v_add_u32_e32 v8, 19, v4
	v_lshlrev_b64 v[8:9], v8, 1
	v_lshrrev_b64 v[26:27], v4, v[60:61]
	v_bfi_b32 v7, v7, 0, 0
	v_bfi_b32 v6, v6, 0, v60
	v_cmp_eq_u64_e64 s[22:23], v[6:7], v[8:9]
	v_mov_b32_e32 v28, v27
	v_mov_b32_e32 v27, v26
	s_and_saveexec_b64 s[34:35], s[22:23]
; %bb.1610:                             ;   in Loop: Header=BB6_126 Depth=2
	v_bfe_u32 v6, v26, 20, 1
	v_add_co_u32_e64 v6, s[22:23], v26, v6
	v_add_co_u32_e64 v27, s[22:23], -1, v6
; %bb.1611:                             ;   in Loop: Header=BB6_126 Depth=2
	s_or_b64 exec, exec, s[34:35]
	v_add_u32_e32 v3, 0xffffff81, v3
	v_cndmask_b32_e32 v3, v3, v41, vcc
	v_lshrrev_b32_e32 v6, 23, v26
	v_add3_u32 v6, v4, v3, v6
	v_add_u32_e32 v4, 6, v6
	v_and_b32_e32 v3, 0xfffff, v27
	v_add_u32_e32 v60, v3, v26
	v_cmp_ne_u32_e32 vcc, 0, v4
                                        ; implicit-def: $vgpr26_vgpr27
                                        ; implicit-def: $vgpr3
	s_and_saveexec_b64 s[22:23], vcc
	s_xor_b64 s[22:23], exec, s[22:23]
; %bb.1612:                             ;   in Loop: Header=BB6_126 Depth=2
	v_cmp_lt_u64_e32 vcc, s[76:77], v[60:61]
	v_add_u32_e32 v3, 7, v6
	v_cndmask_b32_e32 v3, v4, v3, vcc
	v_cndmask_b32_e64 v4, 0, 1, vcc
	v_lshrrev_b64 v[26:27], v4, v[60:61]
; %bb.1613:                             ;   in Loop: Header=BB6_126 Depth=2
	s_andn2_saveexec_b64 s[22:23], s[22:23]
; %bb.1614:                             ;   in Loop: Header=BB6_126 Depth=2
	v_mov_b32_e32 v26, v60
	v_bfe_u32 v3, v60, 23, 1
	v_mov_b32_e32 v27, v61
; %bb.1615:                             ;   in Loop: Header=BB6_126 Depth=2
	s_or_b64 exec, exec, s[22:23]
	v_lshrrev_b64 v[6:7], 20, v[26:27]
	v_cmp_gt_i32_e32 vcc, 16, v3
	v_cndmask_b32_e32 v7, 0, v7, vcc
	v_cndmask_b32_e32 v6, 7, v6, vcc
	v_cmp_eq_u32_e32 vcc, 0, v3
	v_min_i32_e32 v3, 15, v3
	v_cmp_eq_u64_e64 s[22:23], 0, v[6:7]
	v_lshlrev_b32_e32 v3, 3, v3
	v_and_b32_e32 v3, 0xf8, v3
	v_and_or_b32 v3, v6, 7, v3
	s_and_b64 s[22:23], vcc, s[22:23]
	v_cndmask_b32_e64 v3, v3, 0, s[22:23]
	v_or_b32_e32 v34, v3, v2
.LBB6_1616:                             ;   in Loop: Header=BB6_126 Depth=2
	s_or_b64 exec, exec, s[30:31]
                                        ; implicit-def: $vgpr2
.LBB6_1617:                             ;   in Loop: Header=BB6_126 Depth=2
	s_andn2_saveexec_b64 s[22:23], s[94:95]
; %bb.1618:                             ;   in Loop: Header=BB6_126 Depth=2
	v_or_b32_e32 v34, 0x7e, v2
; %bb.1619:                             ;   in Loop: Header=BB6_126 Depth=2
	s_or_b64 exec, exec, s[22:23]
                                        ; implicit-def: $vgpr3
.LBB6_1620:                             ;   in Loop: Header=BB6_126 Depth=2
	s_andn2_saveexec_b64 s[22:23], s[92:93]
; %bb.1621:                             ;   in Loop: Header=BB6_126 Depth=2
	v_or_b32_sdwa v34, v3, s54 dst_sel:DWORD dst_unused:UNUSED_PAD src0_sel:BYTE_3 src1_sel:DWORD
; %bb.1622:                             ;   in Loop: Header=BB6_126 Depth=2
	s_or_b64 exec, exec, s[22:23]
	v_lshrrev_b32_e32 v27, 16, v22
	v_lshrrev_b32_e32 v26, 16, v18
	v_cmp_ne_u16_sdwa s[22:23], v27, v61 src0_sel:BYTE_0 src1_sel:DWORD
	s_and_b64 vcc, exec, s[20:21]
	s_mov_b64 s[92:93], -1
                                        ; implicit-def: $vgpr3
	s_cbranch_vccnz .LBB6_1636
; %bb.1623:                             ;   in Loop: Header=BB6_126 Depth=2
	v_mov_b32_e32 v3, 0
	v_mov_b32_e32 v2, 0
	s_and_saveexec_b64 s[92:93], s[22:23]
	s_cbranch_execz .LBB6_1629
; %bb.1624:                             ;   in Loop: Header=BB6_126 Depth=2
	v_cmp_ne_u16_sdwa vcc, v27, s53 src0_sel:BYTE_0 src1_sel:DWORD
	v_bfrev_b32_e32 v2, 1
	s_and_saveexec_b64 s[94:95], vcc
	s_cbranch_execz .LBB6_1628
; %bb.1625:                             ;   in Loop: Header=BB6_126 Depth=2
	v_bfe_u32 v4, v22, 16, 7
	v_cmp_ne_u32_e32 vcc, s54, v4
	v_mov_b32_e32 v2, 0x7f800001
	s_and_saveexec_b64 s[30:31], vcc
	s_cbranch_execz .LBB6_1627
; %bb.1626:                             ;   in Loop: Header=BB6_126 Depth=2
	v_and_b32_e32 v2, 7, v27
	v_lshrrev_b32_e32 v8, 3, v4
	v_cmp_gt_u32_e32 vcc, 8, v4
	v_ffbh_u32_e32 v4, v2
	v_min_u32_e32 v4, 32, v4
	v_subrev_u32_e32 v6, 28, v4
	v_lshlrev_b64 v[6:7], v6, v[27:28]
	v_sub_u32_e32 v4, 29, v4
	v_and_b32_e32 v6, 7, v6
	v_cndmask_b32_e32 v4, v8, v4, vcc
	v_cndmask_b32_e32 v2, v2, v6, vcc
	v_lshlrev_b32_e32 v6, 24, v27
	v_lshlrev_b32_e32 v2, 20, v2
	v_and_b32_e32 v6, 0x80000000, v6
	v_lshl_add_u32 v4, v4, 23, v62
	v_or3_b32 v2, v6, v4, v2
.LBB6_1627:                             ;   in Loop: Header=BB6_126 Depth=2
	s_or_b64 exec, exec, s[30:31]
.LBB6_1628:                             ;   in Loop: Header=BB6_126 Depth=2
	s_or_b64 exec, exec, s[94:95]
.LBB6_1629:                             ;   in Loop: Header=BB6_126 Depth=2
	s_or_b64 exec, exec, s[92:93]
	v_cmp_ne_u16_sdwa s[94:95], v26, v61 src0_sel:BYTE_0 src1_sel:DWORD
	s_and_saveexec_b64 s[92:93], s[94:95]
	s_cbranch_execz .LBB6_1635
; %bb.1630:                             ;   in Loop: Header=BB6_126 Depth=2
	v_cmp_ne_u16_sdwa vcc, v26, s53 src0_sel:BYTE_0 src1_sel:DWORD
	v_bfrev_b32_e32 v3, 1
	s_and_saveexec_b64 s[94:95], vcc
	s_cbranch_execz .LBB6_1634
; %bb.1631:                             ;   in Loop: Header=BB6_126 Depth=2
	v_bfe_u32 v4, v18, 16, 7
	v_cmp_ne_u32_e32 vcc, s54, v4
	v_mov_b32_e32 v3, 0x7f800001
	s_and_saveexec_b64 s[30:31], vcc
	s_cbranch_execz .LBB6_1633
; %bb.1632:                             ;   in Loop: Header=BB6_126 Depth=2
	v_and_b32_e32 v6, 7, v26
	v_ffbh_u32_e32 v3, v6
	v_min_u32_e32 v8, 32, v3
	v_subrev_u32_e32 v3, 28, v8
	v_lshrrev_b32_e32 v7, 3, v4
	v_cmp_gt_u32_e32 vcc, 8, v4
	v_lshlrev_b64 v[3:4], v3, v[26:27]
	v_sub_u32_e32 v4, 29, v8
	v_and_b32_e32 v3, 7, v3
	v_cndmask_b32_e32 v4, v7, v4, vcc
	v_cndmask_b32_e32 v3, v6, v3, vcc
	v_lshlrev_b32_e32 v6, 24, v26
	v_lshlrev_b32_e32 v3, 20, v3
	v_and_b32_e32 v6, 0x80000000, v6
	v_lshl_add_u32 v4, v4, 23, v62
	v_or3_b32 v3, v6, v4, v3
.LBB6_1633:                             ;   in Loop: Header=BB6_126 Depth=2
	s_or_b64 exec, exec, s[30:31]
.LBB6_1634:                             ;   in Loop: Header=BB6_126 Depth=2
	s_or_b64 exec, exec, s[94:95]
.LBB6_1635:                             ;   in Loop: Header=BB6_126 Depth=2
	s_or_b64 exec, exec, s[92:93]
	v_max_f32_e32 v3, v3, v3
	v_max_f32_e32 v2, v2, v2
	;; [unrolled: 1-line block ×3, first 2 shown]
	s_mov_b64 s[92:93], 0
.LBB6_1636:                             ;   in Loop: Header=BB6_126 Depth=2
	s_and_b64 vcc, exec, s[92:93]
	s_cbranch_vccz .LBB6_1650
; %bb.1637:                             ;   in Loop: Header=BB6_126 Depth=2
	v_mov_b32_e32 v3, 0
	v_mov_b32_e32 v2, 0
	s_and_saveexec_b64 s[92:93], s[22:23]
	s_cbranch_execz .LBB6_1643
; %bb.1638:                             ;   in Loop: Header=BB6_126 Depth=2
	v_cmp_ne_u16_sdwa s[94:95], v27, s53 src0_sel:BYTE_0 src1_sel:DWORD
	v_bfrev_b32_e32 v2, 1
	s_and_saveexec_b64 s[22:23], s[94:95]
	s_cbranch_execz .LBB6_1642
; %bb.1639:                             ;   in Loop: Header=BB6_126 Depth=2
	v_bfe_u32 v4, v22, 16, 7
	v_cmp_ne_u32_e32 vcc, s54, v4
	v_mov_b32_e32 v2, 0x7f800001
	s_and_saveexec_b64 s[94:95], vcc
	s_cbranch_execz .LBB6_1641
; %bb.1640:                             ;   in Loop: Header=BB6_126 Depth=2
	v_and_b32_e32 v2, 7, v27
	v_lshrrev_b32_e32 v8, 3, v4
	v_cmp_gt_u32_e32 vcc, 8, v4
	v_ffbh_u32_e32 v4, v2
	v_min_u32_e32 v4, 32, v4
	v_subrev_u32_e32 v6, 28, v4
	v_lshlrev_b64 v[6:7], v6, v[27:28]
	v_sub_u32_e32 v4, 29, v4
	v_and_b32_e32 v6, 7, v6
	v_cndmask_b32_e32 v4, v8, v4, vcc
	v_cndmask_b32_e32 v2, v2, v6, vcc
	v_lshlrev_b32_e32 v6, 24, v27
	v_lshlrev_b32_e32 v2, 20, v2
	v_and_b32_e32 v6, 0x80000000, v6
	v_lshl_add_u32 v4, v4, 23, v62
	v_or3_b32 v2, v6, v4, v2
.LBB6_1641:                             ;   in Loop: Header=BB6_126 Depth=2
	s_or_b64 exec, exec, s[94:95]
.LBB6_1642:                             ;   in Loop: Header=BB6_126 Depth=2
	s_or_b64 exec, exec, s[22:23]
.LBB6_1643:                             ;   in Loop: Header=BB6_126 Depth=2
	s_or_b64 exec, exec, s[92:93]
	v_cmp_ne_u16_sdwa s[92:93], v26, v61 src0_sel:BYTE_0 src1_sel:DWORD
	s_and_saveexec_b64 s[22:23], s[92:93]
	s_cbranch_execz .LBB6_1649
; %bb.1644:                             ;   in Loop: Header=BB6_126 Depth=2
	v_cmp_ne_u16_sdwa s[94:95], v26, s53 src0_sel:BYTE_0 src1_sel:DWORD
	v_bfrev_b32_e32 v3, 1
	s_and_saveexec_b64 s[92:93], s[94:95]
	s_cbranch_execz .LBB6_1648
; %bb.1645:                             ;   in Loop: Header=BB6_126 Depth=2
	v_bfe_u32 v4, v18, 16, 7
	v_cmp_ne_u32_e32 vcc, s54, v4
	v_mov_b32_e32 v3, 0x7f800001
	s_and_saveexec_b64 s[94:95], vcc
	s_cbranch_execz .LBB6_1647
; %bb.1646:                             ;   in Loop: Header=BB6_126 Depth=2
	v_and_b32_e32 v6, 7, v26
	v_ffbh_u32_e32 v3, v6
	v_min_u32_e32 v8, 32, v3
	v_subrev_u32_e32 v3, 28, v8
	v_lshrrev_b32_e32 v7, 3, v4
	v_cmp_gt_u32_e32 vcc, 8, v4
	v_lshlrev_b64 v[3:4], v3, v[26:27]
	v_sub_u32_e32 v4, 29, v8
	v_and_b32_e32 v3, 7, v3
	v_cndmask_b32_e32 v4, v7, v4, vcc
	v_cndmask_b32_e32 v3, v6, v3, vcc
	v_lshlrev_b32_e32 v6, 24, v26
	v_lshlrev_b32_e32 v3, 20, v3
	v_and_b32_e32 v6, 0x80000000, v6
	v_lshl_add_u32 v4, v4, 23, v62
	v_or3_b32 v3, v6, v4, v3
.LBB6_1647:                             ;   in Loop: Header=BB6_126 Depth=2
	s_or_b64 exec, exec, s[94:95]
.LBB6_1648:                             ;   in Loop: Header=BB6_126 Depth=2
	s_or_b64 exec, exec, s[92:93]
.LBB6_1649:                             ;   in Loop: Header=BB6_126 Depth=2
	s_or_b64 exec, exec, s[22:23]
	v_max_f32_e32 v3, v3, v3
	v_max_f32_e32 v2, v2, v2
	v_min_f32_e32 v3, v2, v3
.LBB6_1650:                             ;   in Loop: Header=BB6_126 Depth=2
	v_and_b32_e32 v60, 0x7f800000, v3
	v_cmp_ne_u64_e32 vcc, s[72:73], v[60:61]
                                        ; implicit-def: $vgpr31
	s_and_saveexec_b64 s[22:23], vcc
	s_xor_b64 s[92:93], exec, s[22:23]
	s_cbranch_execz .LBB6_1664
; %bb.1651:                             ;   in Loop: Header=BB6_126 Depth=2
	v_and_b32_e32 v60, 0x7fffffff, v3
	v_cmp_gt_u64_e32 vcc, s[74:75], v[60:61]
	v_and_b32_sdwa v2, v3, s53 dst_sel:DWORD dst_unused:UNUSED_PAD src0_sel:BYTE_3 src1_sel:DWORD
                                        ; implicit-def: $vgpr31
	s_and_saveexec_b64 s[22:23], vcc
	s_xor_b64 s[94:95], exec, s[22:23]
	s_cbranch_execz .LBB6_1661
; %bb.1652:                             ;   in Loop: Header=BB6_126 Depth=2
	v_mov_b32_e32 v31, 0
	v_cmp_ne_u32_e32 vcc, 0, v3
	s_and_saveexec_b64 s[30:31], vcc
	s_cbranch_execz .LBB6_1660
; %bb.1653:                             ;   in Loop: Header=BB6_126 Depth=2
	v_and_b32_e32 v6, 0x7fffff, v3
	v_bfe_u32 v3, v3, 23, 8
	v_cmp_gt_u32_e64 s[22:23], s64, v3
	v_sub_u32_e32 v4, 0x79, v3
	v_cmp_eq_u32_e32 vcc, 0, v3
	v_cndmask_b32_e64 v4, 0, v4, s[22:23]
	v_mov_b32_e32 v8, 0x78
	v_or_b32_e32 v7, 0x800000, v6
	v_cndmask_b32_e32 v4, v4, v8, vcc
	v_cndmask_b32_e32 v60, v7, v6, vcc
	v_add_u32_e32 v6, 20, v4
	v_lshlrev_b64 v[6:7], v6, -1
	v_add_u32_e32 v8, 19, v4
	v_lshlrev_b64 v[8:9], v8, 1
	v_lshrrev_b64 v[26:27], v4, v[60:61]
	v_bfi_b32 v7, v7, 0, 0
	v_bfi_b32 v6, v6, 0, v60
	v_cmp_eq_u64_e64 s[22:23], v[6:7], v[8:9]
	v_mov_b32_e32 v28, v27
	v_mov_b32_e32 v27, v26
	s_and_saveexec_b64 s[34:35], s[22:23]
; %bb.1654:                             ;   in Loop: Header=BB6_126 Depth=2
	v_bfe_u32 v6, v26, 20, 1
	v_add_co_u32_e64 v6, s[22:23], v26, v6
	v_add_co_u32_e64 v27, s[22:23], -1, v6
; %bb.1655:                             ;   in Loop: Header=BB6_126 Depth=2
	s_or_b64 exec, exec, s[34:35]
	v_add_u32_e32 v3, 0xffffff81, v3
	v_cndmask_b32_e32 v3, v3, v41, vcc
	v_lshrrev_b32_e32 v6, 23, v26
	v_add3_u32 v6, v4, v3, v6
	v_add_u32_e32 v4, 6, v6
	v_and_b32_e32 v3, 0xfffff, v27
	v_add_u32_e32 v60, v3, v26
	v_cmp_ne_u32_e32 vcc, 0, v4
                                        ; implicit-def: $vgpr26_vgpr27
                                        ; implicit-def: $vgpr3
	s_and_saveexec_b64 s[22:23], vcc
	s_xor_b64 s[22:23], exec, s[22:23]
; %bb.1656:                             ;   in Loop: Header=BB6_126 Depth=2
	v_cmp_lt_u64_e32 vcc, s[76:77], v[60:61]
	v_add_u32_e32 v3, 7, v6
	v_cndmask_b32_e32 v3, v4, v3, vcc
	v_cndmask_b32_e64 v4, 0, 1, vcc
	v_lshrrev_b64 v[26:27], v4, v[60:61]
; %bb.1657:                             ;   in Loop: Header=BB6_126 Depth=2
	s_andn2_saveexec_b64 s[22:23], s[22:23]
; %bb.1658:                             ;   in Loop: Header=BB6_126 Depth=2
	v_mov_b32_e32 v26, v60
	v_bfe_u32 v3, v60, 23, 1
	v_mov_b32_e32 v27, v61
; %bb.1659:                             ;   in Loop: Header=BB6_126 Depth=2
	s_or_b64 exec, exec, s[22:23]
	v_lshrrev_b64 v[6:7], 20, v[26:27]
	v_cmp_gt_i32_e32 vcc, 16, v3
	v_cndmask_b32_e32 v7, 0, v7, vcc
	v_cndmask_b32_e32 v6, 7, v6, vcc
	v_cmp_eq_u32_e32 vcc, 0, v3
	v_min_i32_e32 v3, 15, v3
	v_cmp_eq_u64_e64 s[22:23], 0, v[6:7]
	v_lshlrev_b32_e32 v3, 3, v3
	v_and_b32_e32 v3, 0xf8, v3
	v_and_or_b32 v3, v6, 7, v3
	s_and_b64 s[22:23], vcc, s[22:23]
	v_cndmask_b32_e64 v3, v3, 0, s[22:23]
	v_or_b32_e32 v31, v3, v2
.LBB6_1660:                             ;   in Loop: Header=BB6_126 Depth=2
	s_or_b64 exec, exec, s[30:31]
                                        ; implicit-def: $vgpr2
.LBB6_1661:                             ;   in Loop: Header=BB6_126 Depth=2
	s_andn2_saveexec_b64 s[22:23], s[94:95]
; %bb.1662:                             ;   in Loop: Header=BB6_126 Depth=2
	v_or_b32_e32 v31, 0x7e, v2
; %bb.1663:                             ;   in Loop: Header=BB6_126 Depth=2
	s_or_b64 exec, exec, s[22:23]
                                        ; implicit-def: $vgpr3
.LBB6_1664:                             ;   in Loop: Header=BB6_126 Depth=2
	s_andn2_saveexec_b64 s[22:23], s[92:93]
; %bb.1665:                             ;   in Loop: Header=BB6_126 Depth=2
	v_or_b32_sdwa v31, v3, s54 dst_sel:DWORD dst_unused:UNUSED_PAD src0_sel:BYTE_3 src1_sel:DWORD
; %bb.1666:                             ;   in Loop: Header=BB6_126 Depth=2
	s_or_b64 exec, exec, s[22:23]
	v_lshrrev_b32_e32 v27, 24, v22
	v_lshrrev_b32_e32 v26, 24, v18
	v_cmp_lt_u32_e64 s[22:23], s79, v22
	s_and_b64 vcc, exec, s[20:21]
	s_mov_b64 s[92:93], -1
                                        ; implicit-def: $vgpr3
	s_cbranch_vccnz .LBB6_1680
; %bb.1667:                             ;   in Loop: Header=BB6_126 Depth=2
	v_mov_b32_e32 v3, 0
	v_mov_b32_e32 v2, 0
	s_and_saveexec_b64 s[92:93], s[22:23]
	s_cbranch_execz .LBB6_1673
; %bb.1668:                             ;   in Loop: Header=BB6_126 Depth=2
	v_cmp_ne_u32_e32 vcc, s53, v27
	v_bfrev_b32_e32 v2, 1
	s_and_saveexec_b64 s[94:95], vcc
	s_cbranch_execz .LBB6_1672
; %bb.1669:                             ;   in Loop: Header=BB6_126 Depth=2
	v_bfe_u32 v4, v22, 24, 7
	v_cmp_ne_u32_e32 vcc, s54, v4
	v_mov_b32_e32 v2, 0x7f800001
	s_and_saveexec_b64 s[30:31], vcc
	s_cbranch_execz .LBB6_1671
; %bb.1670:                             ;   in Loop: Header=BB6_126 Depth=2
	v_and_b32_e32 v2, 7, v27
	v_lshrrev_b32_e32 v8, 3, v4
	v_cmp_gt_u32_e32 vcc, 8, v4
	v_ffbh_u32_e32 v4, v2
	v_min_u32_e32 v4, 32, v4
	v_subrev_u32_e32 v6, 28, v4
	v_lshlrev_b64 v[6:7], v6, v[27:28]
	v_sub_u32_e32 v4, 29, v4
	v_and_b32_e32 v6, 7, v6
	v_cndmask_b32_e32 v4, v8, v4, vcc
	v_cndmask_b32_e32 v2, v2, v6, vcc
	v_lshlrev_b32_e32 v6, 24, v27
	v_lshlrev_b32_e32 v2, 20, v2
	v_and_b32_e32 v6, 0x80000000, v6
	v_lshl_add_u32 v4, v4, 23, v62
	v_or3_b32 v2, v6, v4, v2
.LBB6_1671:                             ;   in Loop: Header=BB6_126 Depth=2
	s_or_b64 exec, exec, s[30:31]
.LBB6_1672:                             ;   in Loop: Header=BB6_126 Depth=2
	s_or_b64 exec, exec, s[94:95]
.LBB6_1673:                             ;   in Loop: Header=BB6_126 Depth=2
	s_or_b64 exec, exec, s[92:93]
	v_cmp_lt_u32_e32 vcc, s79, v18
	s_and_saveexec_b64 s[92:93], vcc
	s_cbranch_execz .LBB6_1679
; %bb.1674:                             ;   in Loop: Header=BB6_126 Depth=2
	v_cmp_ne_u32_e32 vcc, s53, v26
	v_bfrev_b32_e32 v3, 1
	s_and_saveexec_b64 s[94:95], vcc
	s_cbranch_execz .LBB6_1678
; %bb.1675:                             ;   in Loop: Header=BB6_126 Depth=2
	v_bfe_u32 v4, v18, 24, 7
	v_cmp_ne_u32_e32 vcc, s54, v4
	v_mov_b32_e32 v3, 0x7f800001
	s_and_saveexec_b64 s[30:31], vcc
	s_cbranch_execz .LBB6_1677
; %bb.1676:                             ;   in Loop: Header=BB6_126 Depth=2
	v_and_b32_e32 v6, 7, v26
	v_ffbh_u32_e32 v3, v6
	v_min_u32_e32 v8, 32, v3
	v_subrev_u32_e32 v3, 28, v8
	v_lshrrev_b32_e32 v7, 3, v4
	v_cmp_gt_u32_e32 vcc, 8, v4
	v_lshlrev_b64 v[3:4], v3, v[26:27]
	v_sub_u32_e32 v4, 29, v8
	v_and_b32_e32 v3, 7, v3
	v_cndmask_b32_e32 v4, v7, v4, vcc
	v_cndmask_b32_e32 v3, v6, v3, vcc
	v_lshlrev_b32_e32 v6, 24, v26
	v_lshlrev_b32_e32 v3, 20, v3
	v_and_b32_e32 v6, 0x80000000, v6
	v_lshl_add_u32 v4, v4, 23, v62
	v_or3_b32 v3, v6, v4, v3
.LBB6_1677:                             ;   in Loop: Header=BB6_126 Depth=2
	s_or_b64 exec, exec, s[30:31]
.LBB6_1678:                             ;   in Loop: Header=BB6_126 Depth=2
	s_or_b64 exec, exec, s[94:95]
.LBB6_1679:                             ;   in Loop: Header=BB6_126 Depth=2
	s_or_b64 exec, exec, s[92:93]
	v_max_f32_e32 v3, v3, v3
	v_max_f32_e32 v2, v2, v2
	;; [unrolled: 1-line block ×3, first 2 shown]
	s_mov_b64 s[92:93], 0
.LBB6_1680:                             ;   in Loop: Header=BB6_126 Depth=2
	s_and_b64 vcc, exec, s[92:93]
	s_cbranch_vccz .LBB6_1694
; %bb.1681:                             ;   in Loop: Header=BB6_126 Depth=2
	v_mov_b32_e32 v3, 0
	v_mov_b32_e32 v2, 0
	s_and_saveexec_b64 s[92:93], s[22:23]
	s_cbranch_execz .LBB6_1687
; %bb.1682:                             ;   in Loop: Header=BB6_126 Depth=2
	v_cmp_ne_u32_e32 vcc, s53, v27
	v_bfrev_b32_e32 v2, 1
	s_and_saveexec_b64 s[22:23], vcc
	s_cbranch_execz .LBB6_1686
; %bb.1683:                             ;   in Loop: Header=BB6_126 Depth=2
	v_bfe_u32 v4, v22, 24, 7
	v_cmp_ne_u32_e32 vcc, s54, v4
	v_mov_b32_e32 v2, 0x7f800001
	s_and_saveexec_b64 s[94:95], vcc
	s_cbranch_execz .LBB6_1685
; %bb.1684:                             ;   in Loop: Header=BB6_126 Depth=2
	v_and_b32_e32 v2, 7, v27
	v_lshrrev_b32_e32 v8, 3, v4
	v_cmp_gt_u32_e32 vcc, 8, v4
	v_ffbh_u32_e32 v4, v2
	v_min_u32_e32 v4, 32, v4
	v_subrev_u32_e32 v6, 28, v4
	v_lshlrev_b64 v[6:7], v6, v[27:28]
	v_sub_u32_e32 v4, 29, v4
	v_and_b32_e32 v6, 7, v6
	v_cndmask_b32_e32 v4, v8, v4, vcc
	v_cndmask_b32_e32 v2, v2, v6, vcc
	v_lshlrev_b32_e32 v6, 24, v27
	v_lshlrev_b32_e32 v2, 20, v2
	v_and_b32_e32 v6, 0x80000000, v6
	v_lshl_add_u32 v4, v4, 23, v62
	v_or3_b32 v2, v6, v4, v2
.LBB6_1685:                             ;   in Loop: Header=BB6_126 Depth=2
	s_or_b64 exec, exec, s[94:95]
.LBB6_1686:                             ;   in Loop: Header=BB6_126 Depth=2
	s_or_b64 exec, exec, s[22:23]
.LBB6_1687:                             ;   in Loop: Header=BB6_126 Depth=2
	s_or_b64 exec, exec, s[92:93]
	v_cmp_lt_u32_e32 vcc, s79, v18
	s_and_saveexec_b64 s[22:23], vcc
	s_cbranch_execz .LBB6_1693
; %bb.1688:                             ;   in Loop: Header=BB6_126 Depth=2
	v_cmp_ne_u32_e32 vcc, s53, v26
	v_bfrev_b32_e32 v3, 1
	s_and_saveexec_b64 s[92:93], vcc
	s_cbranch_execz .LBB6_1692
; %bb.1689:                             ;   in Loop: Header=BB6_126 Depth=2
	v_bfe_u32 v4, v18, 24, 7
	v_cmp_ne_u32_e32 vcc, s54, v4
	v_mov_b32_e32 v3, 0x7f800001
	s_and_saveexec_b64 s[94:95], vcc
	s_cbranch_execz .LBB6_1691
; %bb.1690:                             ;   in Loop: Header=BB6_126 Depth=2
	v_and_b32_e32 v6, 7, v26
	v_ffbh_u32_e32 v3, v6
	v_min_u32_e32 v8, 32, v3
	v_subrev_u32_e32 v3, 28, v8
	v_lshrrev_b32_e32 v7, 3, v4
	v_cmp_gt_u32_e32 vcc, 8, v4
	v_lshlrev_b64 v[3:4], v3, v[26:27]
	v_sub_u32_e32 v4, 29, v8
	v_and_b32_e32 v3, 7, v3
	v_cndmask_b32_e32 v4, v7, v4, vcc
	v_cndmask_b32_e32 v3, v6, v3, vcc
	v_lshlrev_b32_e32 v6, 24, v26
	v_lshlrev_b32_e32 v3, 20, v3
	v_and_b32_e32 v6, 0x80000000, v6
	v_lshl_add_u32 v4, v4, 23, v62
	v_or3_b32 v3, v6, v4, v3
.LBB6_1691:                             ;   in Loop: Header=BB6_126 Depth=2
	s_or_b64 exec, exec, s[94:95]
.LBB6_1692:                             ;   in Loop: Header=BB6_126 Depth=2
	s_or_b64 exec, exec, s[92:93]
.LBB6_1693:                             ;   in Loop: Header=BB6_126 Depth=2
	s_or_b64 exec, exec, s[22:23]
	v_max_f32_e32 v3, v3, v3
	v_max_f32_e32 v2, v2, v2
	v_min_f32_e32 v3, v2, v3
.LBB6_1694:                             ;   in Loop: Header=BB6_126 Depth=2
	v_and_b32_e32 v60, 0x7f800000, v3
	v_cmp_ne_u64_e32 vcc, s[72:73], v[60:61]
                                        ; implicit-def: $vgpr2
                                        ; kill: killed $vgpr2
	s_and_saveexec_b64 s[22:23], vcc
	s_xor_b64 s[92:93], exec, s[22:23]
	s_cbranch_execz .LBB6_1708
; %bb.1695:                             ;   in Loop: Header=BB6_126 Depth=2
	v_and_b32_e32 v60, 0x7fffffff, v3
	v_cmp_gt_u64_e32 vcc, s[74:75], v[60:61]
	v_and_b32_sdwa v2, v3, s53 dst_sel:DWORD dst_unused:UNUSED_PAD src0_sel:BYTE_3 src1_sel:DWORD
                                        ; implicit-def: $vgpr4
                                        ; kill: killed $vgpr4
	s_and_saveexec_b64 s[22:23], vcc
	s_xor_b64 s[94:95], exec, s[22:23]
	s_cbranch_execz .LBB6_1705
; %bb.1696:                             ;   in Loop: Header=BB6_126 Depth=2
	v_mov_b32_e32 v4, 0
	v_cmp_ne_u32_e32 vcc, 0, v3
	buffer_store_dword v4, off, s[0:3], s33 offset:112 ; 4-byte Folded Spill
	s_and_saveexec_b64 s[30:31], vcc
	s_cbranch_execz .LBB6_1704
; %bb.1697:                             ;   in Loop: Header=BB6_126 Depth=2
	v_and_b32_e32 v6, 0x7fffff, v3
	v_bfe_u32 v3, v3, 23, 8
	v_cmp_gt_u32_e64 s[22:23], s64, v3
	v_sub_u32_e32 v4, 0x79, v3
	v_cmp_eq_u32_e32 vcc, 0, v3
	v_cndmask_b32_e64 v4, 0, v4, s[22:23]
	v_mov_b32_e32 v8, 0x78
	v_or_b32_e32 v7, 0x800000, v6
	v_cndmask_b32_e32 v4, v4, v8, vcc
	v_cndmask_b32_e32 v60, v7, v6, vcc
	v_add_u32_e32 v6, 20, v4
	v_lshlrev_b64 v[6:7], v6, -1
	v_add_u32_e32 v8, 19, v4
	v_lshlrev_b64 v[8:9], v8, 1
	v_lshrrev_b64 v[26:27], v4, v[60:61]
	v_bfi_b32 v7, v7, 0, 0
	v_bfi_b32 v6, v6, 0, v60
	v_cmp_eq_u64_e64 s[22:23], v[6:7], v[8:9]
	v_mov_b32_e32 v28, v27
	v_mov_b32_e32 v27, v26
	s_and_saveexec_b64 s[34:35], s[22:23]
; %bb.1698:                             ;   in Loop: Header=BB6_126 Depth=2
	v_bfe_u32 v6, v26, 20, 1
	v_add_co_u32_e64 v6, s[22:23], v26, v6
	v_add_co_u32_e64 v27, s[22:23], -1, v6
; %bb.1699:                             ;   in Loop: Header=BB6_126 Depth=2
	s_or_b64 exec, exec, s[34:35]
	v_add_u32_e32 v3, 0xffffff81, v3
	v_cndmask_b32_e32 v3, v3, v41, vcc
	v_lshrrev_b32_e32 v6, 23, v26
	v_add3_u32 v6, v4, v3, v6
	v_add_u32_e32 v4, 6, v6
	v_and_b32_e32 v3, 0xfffff, v27
	v_add_u32_e32 v60, v3, v26
	v_cmp_ne_u32_e32 vcc, 0, v4
                                        ; implicit-def: $vgpr26_vgpr27
                                        ; implicit-def: $vgpr3
	s_and_saveexec_b64 s[22:23], vcc
	s_xor_b64 s[22:23], exec, s[22:23]
; %bb.1700:                             ;   in Loop: Header=BB6_126 Depth=2
	v_cmp_lt_u64_e32 vcc, s[76:77], v[60:61]
	v_add_u32_e32 v3, 7, v6
	v_cndmask_b32_e32 v3, v4, v3, vcc
	v_cndmask_b32_e64 v4, 0, 1, vcc
	v_lshrrev_b64 v[26:27], v4, v[60:61]
; %bb.1701:                             ;   in Loop: Header=BB6_126 Depth=2
	s_andn2_saveexec_b64 s[22:23], s[22:23]
; %bb.1702:                             ;   in Loop: Header=BB6_126 Depth=2
	v_mov_b32_e32 v26, v60
	v_bfe_u32 v3, v60, 23, 1
	v_mov_b32_e32 v27, v61
; %bb.1703:                             ;   in Loop: Header=BB6_126 Depth=2
	s_or_b64 exec, exec, s[22:23]
	v_lshrrev_b64 v[6:7], 20, v[26:27]
	v_cmp_gt_i32_e32 vcc, 16, v3
	v_cndmask_b32_e32 v7, 0, v7, vcc
	v_cndmask_b32_e32 v6, 7, v6, vcc
	v_cmp_eq_u32_e32 vcc, 0, v3
	v_min_i32_e32 v3, 15, v3
	v_cmp_eq_u64_e64 s[22:23], 0, v[6:7]
	v_lshlrev_b32_e32 v3, 3, v3
	v_and_b32_e32 v3, 0xf8, v3
	v_and_or_b32 v3, v6, 7, v3
	s_and_b64 s[22:23], vcc, s[22:23]
	v_cndmask_b32_e64 v3, v3, 0, s[22:23]
	v_or_b32_e32 v2, v3, v2
	buffer_store_dword v2, off, s[0:3], s33 offset:112 ; 4-byte Folded Spill
.LBB6_1704:                             ;   in Loop: Header=BB6_126 Depth=2
	s_or_b64 exec, exec, s[30:31]
                                        ; implicit-def: $vgpr2
.LBB6_1705:                             ;   in Loop: Header=BB6_126 Depth=2
	s_andn2_saveexec_b64 s[22:23], s[94:95]
	s_cbranch_execz .LBB6_1707
; %bb.1706:                             ;   in Loop: Header=BB6_126 Depth=2
	v_or_b32_e32 v2, 0x7e, v2
	buffer_store_dword v2, off, s[0:3], s33 offset:112 ; 4-byte Folded Spill
.LBB6_1707:                             ;   in Loop: Header=BB6_126 Depth=2
	s_or_b64 exec, exec, s[22:23]
                                        ; implicit-def: $vgpr3
.LBB6_1708:                             ;   in Loop: Header=BB6_126 Depth=2
	s_andn2_saveexec_b64 s[22:23], s[92:93]
	s_cbranch_execz .LBB6_1710
; %bb.1709:                             ;   in Loop: Header=BB6_126 Depth=2
	v_or_b32_sdwa v2, v3, s54 dst_sel:DWORD dst_unused:UNUSED_PAD src0_sel:BYTE_3 src1_sel:DWORD
	buffer_store_dword v2, off, s[0:3], s33 offset:112 ; 4-byte Folded Spill
.LBB6_1710:                             ;   in Loop: Header=BB6_126 Depth=2
	s_or_b64 exec, exec, s[22:23]
	v_mov_b32_e32 v60, v23
	v_mov_b32_e32 v26, v19
	;; [unrolled: 1-line block ×3, first 2 shown]
	v_cmp_ne_u16_sdwa s[22:23], v23, v61 src0_sel:BYTE_0 src1_sel:DWORD
	s_and_b64 vcc, exec, s[20:21]
	s_mov_b64 s[92:93], -1
                                        ; implicit-def: $vgpr3
	s_cbranch_vccnz .LBB6_1724
; %bb.1711:                             ;   in Loop: Header=BB6_126 Depth=2
	v_mov_b32_e32 v3, 0
	v_mov_b32_e32 v2, 0
	s_and_saveexec_b64 s[92:93], s[22:23]
	s_cbranch_execz .LBB6_1717
; %bb.1712:                             ;   in Loop: Header=BB6_126 Depth=2
	v_cmp_ne_u16_sdwa vcc, v23, s53 src0_sel:BYTE_0 src1_sel:DWORD
	v_bfrev_b32_e32 v2, 1
	s_and_saveexec_b64 s[94:95], vcc
	s_cbranch_execz .LBB6_1716
; %bb.1713:                             ;   in Loop: Header=BB6_126 Depth=2
	v_and_b32_e32 v4, 0x7f, v23
	v_cmp_ne_u32_e32 vcc, s54, v4
	v_mov_b32_e32 v2, 0x7f800001
	s_and_saveexec_b64 s[30:31], vcc
	s_cbranch_execz .LBB6_1715
; %bb.1714:                             ;   in Loop: Header=BB6_126 Depth=2
	v_and_b32_e32 v2, 7, v23
	v_ffbh_u32_e32 v2, v2
	v_min_u32_e32 v2, 32, v2
	v_lshrrev_b32_e32 v6, 3, v4
	v_cmp_gt_u32_e32 vcc, 8, v4
	v_subrev_u32_e32 v4, 28, v2
	v_sub_u32_e32 v2, 29, v2
	v_cndmask_b32_e32 v4, 0, v4, vcc
	v_cndmask_b32_e32 v2, v6, v2, vcc
	v_lshlrev_b64 v[6:7], v4, v[60:61]
	v_lshl_add_u32 v2, v2, 23, v62
	v_lshlrev_b32_e32 v4, 20, v6
	v_lshlrev_b32_e32 v6, 24, v60
	v_and_b32_e32 v4, 0x700000, v4
	v_and_b32_e32 v6, 0x80000000, v6
	v_or3_b32 v2, v6, v2, v4
.LBB6_1715:                             ;   in Loop: Header=BB6_126 Depth=2
	s_or_b64 exec, exec, s[30:31]
.LBB6_1716:                             ;   in Loop: Header=BB6_126 Depth=2
	s_or_b64 exec, exec, s[94:95]
.LBB6_1717:                             ;   in Loop: Header=BB6_126 Depth=2
	s_or_b64 exec, exec, s[92:93]
	v_cmp_ne_u16_sdwa s[94:95], v19, v61 src0_sel:BYTE_0 src1_sel:DWORD
	s_and_saveexec_b64 s[92:93], s[94:95]
	s_cbranch_execz .LBB6_1723
; %bb.1718:                             ;   in Loop: Header=BB6_126 Depth=2
	v_cmp_ne_u16_sdwa vcc, v19, s53 src0_sel:BYTE_0 src1_sel:DWORD
	v_bfrev_b32_e32 v3, 1
	s_and_saveexec_b64 s[94:95], vcc
	s_cbranch_execz .LBB6_1722
; %bb.1719:                             ;   in Loop: Header=BB6_126 Depth=2
	v_and_b32_e32 v4, 0x7f, v19
	v_cmp_ne_u32_e32 vcc, s54, v4
	v_mov_b32_e32 v3, 0x7f800001
	s_and_saveexec_b64 s[30:31], vcc
	s_cbranch_execz .LBB6_1721
; %bb.1720:                             ;   in Loop: Header=BB6_126 Depth=2
	v_and_b32_e32 v3, 7, v19
	v_ffbh_u32_e32 v3, v3
	v_min_u32_e32 v3, 32, v3
	v_lshrrev_b32_e32 v6, 3, v4
	v_cmp_gt_u32_e32 vcc, 8, v4
	v_subrev_u32_e32 v4, 28, v3
	v_sub_u32_e32 v3, 29, v3
	v_cndmask_b32_e32 v6, v6, v3, vcc
	v_cndmask_b32_e32 v3, 0, v4, vcc
	v_lshlrev_b64 v[3:4], v3, v[26:27]
	v_lshlrev_b32_e32 v4, 24, v26
	v_lshlrev_b32_e32 v3, 20, v3
	v_and_b32_e32 v3, 0x700000, v3
	v_and_b32_e32 v4, 0x80000000, v4
	v_lshl_add_u32 v6, v6, 23, v62
	v_or3_b32 v3, v4, v6, v3
.LBB6_1721:                             ;   in Loop: Header=BB6_126 Depth=2
	s_or_b64 exec, exec, s[30:31]
.LBB6_1722:                             ;   in Loop: Header=BB6_126 Depth=2
	s_or_b64 exec, exec, s[94:95]
.LBB6_1723:                             ;   in Loop: Header=BB6_126 Depth=2
	s_or_b64 exec, exec, s[92:93]
	v_max_f32_e32 v3, v3, v3
	v_max_f32_e32 v2, v2, v2
	;; [unrolled: 1-line block ×3, first 2 shown]
	s_mov_b64 s[92:93], 0
.LBB6_1724:                             ;   in Loop: Header=BB6_126 Depth=2
	s_and_b64 vcc, exec, s[92:93]
	s_cbranch_vccz .LBB6_1738
; %bb.1725:                             ;   in Loop: Header=BB6_126 Depth=2
	v_mov_b32_e32 v3, 0
	v_mov_b32_e32 v2, 0
	s_and_saveexec_b64 s[92:93], s[22:23]
	s_cbranch_execz .LBB6_1731
; %bb.1726:                             ;   in Loop: Header=BB6_126 Depth=2
	v_cmp_ne_u16_sdwa s[94:95], v23, s53 src0_sel:BYTE_0 src1_sel:DWORD
	v_bfrev_b32_e32 v2, 1
	s_and_saveexec_b64 s[22:23], s[94:95]
	s_cbranch_execz .LBB6_1730
; %bb.1727:                             ;   in Loop: Header=BB6_126 Depth=2
	v_and_b32_e32 v4, 0x7f, v23
	v_cmp_ne_u32_e32 vcc, s54, v4
	v_mov_b32_e32 v2, 0x7f800001
	s_and_saveexec_b64 s[94:95], vcc
	s_cbranch_execz .LBB6_1729
; %bb.1728:                             ;   in Loop: Header=BB6_126 Depth=2
	v_and_b32_e32 v2, 7, v23
	v_ffbh_u32_e32 v2, v2
	v_min_u32_e32 v2, 32, v2
	v_lshrrev_b32_e32 v6, 3, v4
	v_cmp_gt_u32_e32 vcc, 8, v4
	v_subrev_u32_e32 v4, 28, v2
	v_sub_u32_e32 v2, 29, v2
	v_cndmask_b32_e32 v4, 0, v4, vcc
	v_cndmask_b32_e32 v2, v6, v2, vcc
	v_lshlrev_b64 v[6:7], v4, v[60:61]
	v_lshl_add_u32 v2, v2, 23, v62
	v_lshlrev_b32_e32 v4, 20, v6
	v_lshlrev_b32_e32 v6, 24, v60
	v_and_b32_e32 v4, 0x700000, v4
	v_and_b32_e32 v6, 0x80000000, v6
	v_or3_b32 v2, v6, v2, v4
.LBB6_1729:                             ;   in Loop: Header=BB6_126 Depth=2
	s_or_b64 exec, exec, s[94:95]
.LBB6_1730:                             ;   in Loop: Header=BB6_126 Depth=2
	s_or_b64 exec, exec, s[22:23]
.LBB6_1731:                             ;   in Loop: Header=BB6_126 Depth=2
	s_or_b64 exec, exec, s[92:93]
	v_cmp_ne_u16_sdwa s[92:93], v19, v61 src0_sel:BYTE_0 src1_sel:DWORD
	s_and_saveexec_b64 s[22:23], s[92:93]
	s_cbranch_execz .LBB6_1737
; %bb.1732:                             ;   in Loop: Header=BB6_126 Depth=2
	v_cmp_ne_u16_sdwa s[94:95], v19, s53 src0_sel:BYTE_0 src1_sel:DWORD
	v_bfrev_b32_e32 v3, 1
	s_and_saveexec_b64 s[92:93], s[94:95]
	s_cbranch_execz .LBB6_1736
; %bb.1733:                             ;   in Loop: Header=BB6_126 Depth=2
	v_and_b32_e32 v4, 0x7f, v19
	v_cmp_ne_u32_e32 vcc, s54, v4
	v_mov_b32_e32 v3, 0x7f800001
	s_and_saveexec_b64 s[94:95], vcc
	s_cbranch_execz .LBB6_1735
; %bb.1734:                             ;   in Loop: Header=BB6_126 Depth=2
	v_and_b32_e32 v3, 7, v19
	v_ffbh_u32_e32 v3, v3
	v_min_u32_e32 v3, 32, v3
	v_lshrrev_b32_e32 v6, 3, v4
	v_cmp_gt_u32_e32 vcc, 8, v4
	v_subrev_u32_e32 v4, 28, v3
	v_sub_u32_e32 v3, 29, v3
	v_cndmask_b32_e32 v6, v6, v3, vcc
	v_cndmask_b32_e32 v3, 0, v4, vcc
	v_lshlrev_b64 v[3:4], v3, v[26:27]
	v_lshlrev_b32_e32 v4, 24, v26
	v_lshlrev_b32_e32 v3, 20, v3
	v_and_b32_e32 v3, 0x700000, v3
	v_and_b32_e32 v4, 0x80000000, v4
	v_lshl_add_u32 v6, v6, 23, v62
	v_or3_b32 v3, v4, v6, v3
.LBB6_1735:                             ;   in Loop: Header=BB6_126 Depth=2
	s_or_b64 exec, exec, s[94:95]
.LBB6_1736:                             ;   in Loop: Header=BB6_126 Depth=2
	s_or_b64 exec, exec, s[92:93]
.LBB6_1737:                             ;   in Loop: Header=BB6_126 Depth=2
	s_or_b64 exec, exec, s[22:23]
	v_max_f32_e32 v3, v3, v3
	v_max_f32_e32 v2, v2, v2
	v_min_f32_e32 v3, v2, v3
.LBB6_1738:                             ;   in Loop: Header=BB6_126 Depth=2
	v_and_b32_e32 v6, 0x7f800000, v3
	v_mov_b32_e32 v7, v61
	v_cmp_ne_u64_e32 vcc, s[72:73], v[6:7]
                                        ; implicit-def: $vgpr29
	s_and_saveexec_b64 s[22:23], vcc
	s_xor_b64 s[92:93], exec, s[22:23]
	s_cbranch_execz .LBB6_1752
; %bb.1739:                             ;   in Loop: Header=BB6_126 Depth=2
	v_and_b32_e32 v6, 0x7fffffff, v3
	v_mov_b32_e32 v7, v61
	v_cmp_gt_u64_e32 vcc, s[74:75], v[6:7]
	v_and_b32_sdwa v2, v3, s53 dst_sel:DWORD dst_unused:UNUSED_PAD src0_sel:BYTE_3 src1_sel:DWORD
                                        ; implicit-def: $vgpr29
	s_and_saveexec_b64 s[22:23], vcc
	s_xor_b64 s[94:95], exec, s[22:23]
	s_cbranch_execz .LBB6_1749
; %bb.1740:                             ;   in Loop: Header=BB6_126 Depth=2
	v_mov_b32_e32 v29, 0
	v_cmp_ne_u32_e32 vcc, 0, v3
	s_and_saveexec_b64 s[30:31], vcc
	s_cbranch_execz .LBB6_1748
; %bb.1741:                             ;   in Loop: Header=BB6_126 Depth=2
	v_and_b32_e32 v6, 0x7fffff, v3
	v_bfe_u32 v3, v3, 23, 8
	v_cmp_gt_u32_e64 s[22:23], s64, v3
	v_sub_u32_e32 v4, 0x79, v3
	v_cmp_eq_u32_e32 vcc, 0, v3
	v_cndmask_b32_e64 v4, 0, v4, s[22:23]
	v_mov_b32_e32 v8, 0x78
	v_cndmask_b32_e32 v4, v4, v8, vcc
	v_add_u32_e32 v8, 20, v4
	v_or_b32_e32 v7, 0x800000, v6
	v_lshlrev_b64 v[8:9], v8, -1
	v_add_u32_e32 v27, 19, v4
	v_cndmask_b32_e32 v6, v7, v6, vcc
	v_lshlrev_b64 v[27:28], v27, 1
	v_mov_b32_e32 v7, v61
	v_bfi_b32 v9, v9, 0, 0
	v_bfi_b32 v8, v8, 0, v6
	v_cmp_eq_u64_e64 s[22:23], v[8:9], v[27:28]
	v_lshrrev_b64 v[27:28], v4, v[6:7]
	v_mov_b32_e32 v29, v28
	v_mov_b32_e32 v28, v27
	s_and_saveexec_b64 s[34:35], s[22:23]
; %bb.1742:                             ;   in Loop: Header=BB6_126 Depth=2
	v_bfe_u32 v6, v27, 20, 1
	v_add_co_u32_e64 v6, s[22:23], v27, v6
	v_add_co_u32_e64 v28, s[22:23], -1, v6
; %bb.1743:                             ;   in Loop: Header=BB6_126 Depth=2
	s_or_b64 exec, exec, s[34:35]
	v_add_u32_e32 v3, 0xffffff81, v3
	v_cndmask_b32_e32 v3, v3, v41, vcc
	v_lshrrev_b32_e32 v6, 23, v27
	v_add3_u32 v6, v4, v3, v6
	v_add_u32_e32 v4, 6, v6
	v_and_b32_e32 v3, 0xfffff, v28
	v_add_u32_e32 v27, v3, v27
	v_mov_b32_e32 v28, v61
	v_cmp_ne_u32_e32 vcc, 0, v4
                                        ; implicit-def: $vgpr3
	s_and_saveexec_b64 s[22:23], vcc
	s_xor_b64 s[22:23], exec, s[22:23]
; %bb.1744:                             ;   in Loop: Header=BB6_126 Depth=2
	v_cmp_lt_u64_e32 vcc, s[76:77], v[27:28]
	v_add_u32_e32 v3, 7, v6
	v_cndmask_b32_e32 v3, v4, v3, vcc
	v_cndmask_b32_e64 v4, 0, 1, vcc
	v_lshrrev_b64 v[27:28], v4, v[27:28]
; %bb.1745:                             ;   in Loop: Header=BB6_126 Depth=2
	s_andn2_saveexec_b64 s[22:23], s[22:23]
; %bb.1746:                             ;   in Loop: Header=BB6_126 Depth=2
	v_bfe_u32 v3, v27, 23, 1
; %bb.1747:                             ;   in Loop: Header=BB6_126 Depth=2
	s_or_b64 exec, exec, s[22:23]
	v_lshrrev_b64 v[6:7], 20, v[27:28]
	v_cmp_gt_i32_e32 vcc, 16, v3
	v_cndmask_b32_e32 v7, 0, v7, vcc
	v_cndmask_b32_e32 v6, 7, v6, vcc
	v_cmp_eq_u32_e32 vcc, 0, v3
	v_min_i32_e32 v3, 15, v3
	v_cmp_eq_u64_e64 s[22:23], 0, v[6:7]
	v_lshlrev_b32_e32 v3, 3, v3
	v_and_b32_e32 v3, 0xf8, v3
	v_and_or_b32 v3, v6, 7, v3
	s_and_b64 s[22:23], vcc, s[22:23]
	v_cndmask_b32_e64 v3, v3, 0, s[22:23]
	v_or_b32_e32 v29, v3, v2
.LBB6_1748:                             ;   in Loop: Header=BB6_126 Depth=2
	s_or_b64 exec, exec, s[30:31]
                                        ; implicit-def: $vgpr2
.LBB6_1749:                             ;   in Loop: Header=BB6_126 Depth=2
	s_andn2_saveexec_b64 s[22:23], s[94:95]
; %bb.1750:                             ;   in Loop: Header=BB6_126 Depth=2
	v_or_b32_e32 v29, 0x7e, v2
; %bb.1751:                             ;   in Loop: Header=BB6_126 Depth=2
	s_or_b64 exec, exec, s[22:23]
                                        ; implicit-def: $vgpr3
.LBB6_1752:                             ;   in Loop: Header=BB6_126 Depth=2
	s_andn2_saveexec_b64 s[22:23], s[92:93]
; %bb.1753:                             ;   in Loop: Header=BB6_126 Depth=2
	v_or_b32_sdwa v29, v3, s54 dst_sel:DWORD dst_unused:UNUSED_PAD src0_sel:BYTE_3 src1_sel:DWORD
; %bb.1754:                             ;   in Loop: Header=BB6_126 Depth=2
	s_or_b64 exec, exec, s[22:23]
	v_lshrrev_b16_e32 v28, 8, v60
	v_lshrrev_b16_e32 v27, 8, v26
	v_cmp_ne_u16_e64 s[22:23], 0, v28
	s_and_b64 vcc, exec, s[20:21]
	s_mov_b64 s[92:93], -1
                                        ; implicit-def: $vgpr3
	s_cbranch_vccnz .LBB6_1768
; %bb.1755:                             ;   in Loop: Header=BB6_126 Depth=2
	v_mov_b32_e32 v3, 0
	v_mov_b32_e32 v2, 0
	s_and_saveexec_b64 s[92:93], s[22:23]
	s_cbranch_execz .LBB6_1761
; %bb.1756:                             ;   in Loop: Header=BB6_126 Depth=2
	v_cmp_ne_u16_e32 vcc, s53, v28
	v_bfrev_b32_e32 v2, 1
	s_and_saveexec_b64 s[94:95], vcc
	s_cbranch_execz .LBB6_1760
; %bb.1757:                             ;   in Loop: Header=BB6_126 Depth=2
	v_and_b32_e32 v4, 0x7f, v28
	v_cmp_ne_u32_e32 vcc, s54, v4
	v_mov_b32_e32 v2, 0x7f800001
	s_and_saveexec_b64 s[30:31], vcc
	s_cbranch_execz .LBB6_1759
; %bb.1758:                             ;   in Loop: Header=BB6_126 Depth=2
	v_and_b32_e32 v2, 7, v28
	v_lshrrev_b32_e32 v8, 3, v4
	v_cmp_gt_u32_e32 vcc, 8, v4
	v_ffbh_u32_e32 v4, v2
	v_min_u32_e32 v4, 32, v4
	v_subrev_u32_e32 v6, 28, v4
	v_lshlrev_b64 v[6:7], v6, v[28:29]
	v_sub_u32_e32 v4, 29, v4
	v_and_b32_e32 v6, 7, v6
	v_cndmask_b32_e32 v4, v8, v4, vcc
	v_cndmask_b32_e32 v2, v2, v6, vcc
	v_lshlrev_b32_e32 v6, 16, v60
	v_lshlrev_b32_e32 v2, 20, v2
	v_and_b32_e32 v6, 0x80000000, v6
	v_lshl_add_u32 v4, v4, 23, v62
	v_or3_b32 v2, v6, v4, v2
.LBB6_1759:                             ;   in Loop: Header=BB6_126 Depth=2
	s_or_b64 exec, exec, s[30:31]
.LBB6_1760:                             ;   in Loop: Header=BB6_126 Depth=2
	s_or_b64 exec, exec, s[94:95]
.LBB6_1761:                             ;   in Loop: Header=BB6_126 Depth=2
	s_or_b64 exec, exec, s[92:93]
	v_cmp_ne_u16_e32 vcc, 0, v27
	s_and_saveexec_b64 s[92:93], vcc
	s_cbranch_execz .LBB6_1767
; %bb.1762:                             ;   in Loop: Header=BB6_126 Depth=2
	v_cmp_ne_u16_e32 vcc, s53, v27
	v_bfrev_b32_e32 v3, 1
	s_and_saveexec_b64 s[94:95], vcc
	s_cbranch_execz .LBB6_1766
; %bb.1763:                             ;   in Loop: Header=BB6_126 Depth=2
	v_and_b32_e32 v4, 0x7f, v27
	v_cmp_ne_u32_e32 vcc, s54, v4
	v_mov_b32_e32 v3, 0x7f800001
	s_and_saveexec_b64 s[30:31], vcc
	s_cbranch_execz .LBB6_1765
; %bb.1764:                             ;   in Loop: Header=BB6_126 Depth=2
	v_and_b32_e32 v6, 7, v27
	v_ffbh_u32_e32 v3, v6
	v_min_u32_e32 v8, 32, v3
	v_subrev_u32_e32 v3, 28, v8
	v_lshrrev_b32_e32 v7, 3, v4
	v_cmp_gt_u32_e32 vcc, 8, v4
	v_lshlrev_b64 v[3:4], v3, v[27:28]
	v_sub_u32_e32 v4, 29, v8
	v_and_b32_e32 v3, 7, v3
	v_cndmask_b32_e32 v4, v7, v4, vcc
	v_cndmask_b32_e32 v3, v6, v3, vcc
	v_lshlrev_b32_e32 v6, 16, v26
	v_lshlrev_b32_e32 v3, 20, v3
	v_and_b32_e32 v6, 0x80000000, v6
	v_lshl_add_u32 v4, v4, 23, v62
	v_or3_b32 v3, v6, v4, v3
.LBB6_1765:                             ;   in Loop: Header=BB6_126 Depth=2
	s_or_b64 exec, exec, s[30:31]
.LBB6_1766:                             ;   in Loop: Header=BB6_126 Depth=2
	s_or_b64 exec, exec, s[94:95]
.LBB6_1767:                             ;   in Loop: Header=BB6_126 Depth=2
	s_or_b64 exec, exec, s[92:93]
	v_max_f32_e32 v3, v3, v3
	v_max_f32_e32 v2, v2, v2
	;; [unrolled: 1-line block ×3, first 2 shown]
	s_mov_b64 s[92:93], 0
.LBB6_1768:                             ;   in Loop: Header=BB6_126 Depth=2
	s_and_b64 vcc, exec, s[92:93]
	s_cbranch_vccz .LBB6_1782
; %bb.1769:                             ;   in Loop: Header=BB6_126 Depth=2
	v_mov_b32_e32 v3, 0
	v_mov_b32_e32 v2, 0
	s_and_saveexec_b64 s[92:93], s[22:23]
	s_cbranch_execz .LBB6_1775
; %bb.1770:                             ;   in Loop: Header=BB6_126 Depth=2
	v_cmp_ne_u16_e32 vcc, s53, v28
	v_bfrev_b32_e32 v2, 1
	s_and_saveexec_b64 s[22:23], vcc
	s_cbranch_execz .LBB6_1774
; %bb.1771:                             ;   in Loop: Header=BB6_126 Depth=2
	v_and_b32_e32 v4, 0x7f, v28
	v_cmp_ne_u32_e32 vcc, s54, v4
	v_mov_b32_e32 v2, 0x7f800001
	s_and_saveexec_b64 s[94:95], vcc
	s_cbranch_execz .LBB6_1773
; %bb.1772:                             ;   in Loop: Header=BB6_126 Depth=2
	v_and_b32_e32 v2, 7, v28
	v_lshrrev_b32_e32 v8, 3, v4
	v_cmp_gt_u32_e32 vcc, 8, v4
	v_ffbh_u32_e32 v4, v2
	v_min_u32_e32 v4, 32, v4
	v_subrev_u32_e32 v6, 28, v4
	v_lshlrev_b64 v[6:7], v6, v[28:29]
	v_sub_u32_e32 v4, 29, v4
	v_and_b32_e32 v6, 7, v6
	v_cndmask_b32_e32 v4, v8, v4, vcc
	v_cndmask_b32_e32 v2, v2, v6, vcc
	v_lshlrev_b32_e32 v6, 16, v60
	v_lshlrev_b32_e32 v2, 20, v2
	v_and_b32_e32 v6, 0x80000000, v6
	v_lshl_add_u32 v4, v4, 23, v62
	v_or3_b32 v2, v6, v4, v2
.LBB6_1773:                             ;   in Loop: Header=BB6_126 Depth=2
	s_or_b64 exec, exec, s[94:95]
.LBB6_1774:                             ;   in Loop: Header=BB6_126 Depth=2
	s_or_b64 exec, exec, s[22:23]
.LBB6_1775:                             ;   in Loop: Header=BB6_126 Depth=2
	s_or_b64 exec, exec, s[92:93]
	v_cmp_ne_u16_e32 vcc, 0, v27
	s_and_saveexec_b64 s[22:23], vcc
	s_cbranch_execz .LBB6_1781
; %bb.1776:                             ;   in Loop: Header=BB6_126 Depth=2
	v_cmp_ne_u16_e32 vcc, s53, v27
	v_bfrev_b32_e32 v3, 1
	s_and_saveexec_b64 s[92:93], vcc
	s_cbranch_execz .LBB6_1780
; %bb.1777:                             ;   in Loop: Header=BB6_126 Depth=2
	v_and_b32_e32 v4, 0x7f, v27
	v_cmp_ne_u32_e32 vcc, s54, v4
	v_mov_b32_e32 v3, 0x7f800001
	s_and_saveexec_b64 s[94:95], vcc
	s_cbranch_execz .LBB6_1779
; %bb.1778:                             ;   in Loop: Header=BB6_126 Depth=2
	v_and_b32_e32 v6, 7, v27
	v_ffbh_u32_e32 v3, v6
	v_min_u32_e32 v8, 32, v3
	v_subrev_u32_e32 v3, 28, v8
	v_lshrrev_b32_e32 v7, 3, v4
	v_cmp_gt_u32_e32 vcc, 8, v4
	v_lshlrev_b64 v[3:4], v3, v[27:28]
	v_sub_u32_e32 v4, 29, v8
	v_and_b32_e32 v3, 7, v3
	v_cndmask_b32_e32 v4, v7, v4, vcc
	v_cndmask_b32_e32 v3, v6, v3, vcc
	v_lshlrev_b32_e32 v6, 16, v26
	v_lshlrev_b32_e32 v3, 20, v3
	v_and_b32_e32 v6, 0x80000000, v6
	v_lshl_add_u32 v4, v4, 23, v62
	v_or3_b32 v3, v6, v4, v3
.LBB6_1779:                             ;   in Loop: Header=BB6_126 Depth=2
	s_or_b64 exec, exec, s[94:95]
.LBB6_1780:                             ;   in Loop: Header=BB6_126 Depth=2
	s_or_b64 exec, exec, s[92:93]
.LBB6_1781:                             ;   in Loop: Header=BB6_126 Depth=2
	s_or_b64 exec, exec, s[22:23]
	v_max_f32_e32 v3, v3, v3
	v_max_f32_e32 v2, v2, v2
	v_min_f32_e32 v3, v2, v3
.LBB6_1782:                             ;   in Loop: Header=BB6_126 Depth=2
	v_and_b32_e32 v60, 0x7f800000, v3
	v_cmp_ne_u64_e32 vcc, s[72:73], v[60:61]
	buffer_store_dword v49, off, s[0:3], s33 offset:124 ; 4-byte Folded Spill
	buffer_store_dword v48, off, s[0:3], s33 offset:132 ; 4-byte Folded Spill
	;; [unrolled: 1-line block ×4, first 2 shown]
                                        ; implicit-def: $vgpr9
	s_and_saveexec_b64 s[22:23], vcc
	s_xor_b64 s[92:93], exec, s[22:23]
	s_cbranch_execz .LBB6_1796
; %bb.1783:                             ;   in Loop: Header=BB6_126 Depth=2
	v_and_b32_e32 v60, 0x7fffffff, v3
	v_cmp_gt_u64_e32 vcc, s[74:75], v[60:61]
	v_and_b32_sdwa v2, v3, s53 dst_sel:DWORD dst_unused:UNUSED_PAD src0_sel:BYTE_3 src1_sel:DWORD
                                        ; implicit-def: $vgpr9
	s_and_saveexec_b64 s[22:23], vcc
	s_xor_b64 s[94:95], exec, s[22:23]
	s_cbranch_execz .LBB6_1793
; %bb.1784:                             ;   in Loop: Header=BB6_126 Depth=2
	v_mov_b32_e32 v9, 0
	v_cmp_ne_u32_e32 vcc, 0, v3
	s_and_saveexec_b64 s[30:31], vcc
	s_cbranch_execz .LBB6_1792
; %bb.1785:                             ;   in Loop: Header=BB6_126 Depth=2
	v_and_b32_e32 v6, 0x7fffff, v3
	v_bfe_u32 v3, v3, 23, 8
	v_cmp_gt_u32_e64 s[22:23], s64, v3
	v_sub_u32_e32 v4, 0x79, v3
	v_cmp_eq_u32_e32 vcc, 0, v3
	v_cndmask_b32_e64 v4, 0, v4, s[22:23]
	v_mov_b32_e32 v8, 0x78
	v_or_b32_e32 v7, 0x800000, v6
	v_cndmask_b32_e32 v4, v4, v8, vcc
	v_cndmask_b32_e32 v60, v7, v6, vcc
	v_add_u32_e32 v6, 20, v4
	v_lshlrev_b64 v[6:7], v6, -1
	v_add_u32_e32 v8, 19, v4
	v_lshlrev_b64 v[8:9], v8, 1
	v_lshrrev_b64 v[26:27], v4, v[60:61]
	v_bfi_b32 v7, v7, 0, 0
	v_bfi_b32 v6, v6, 0, v60
	v_cmp_eq_u64_e64 s[22:23], v[6:7], v[8:9]
	v_mov_b32_e32 v28, v27
	v_mov_b32_e32 v27, v26
	s_and_saveexec_b64 s[34:35], s[22:23]
; %bb.1786:                             ;   in Loop: Header=BB6_126 Depth=2
	v_bfe_u32 v6, v26, 20, 1
	v_add_co_u32_e64 v6, s[22:23], v26, v6
	v_add_co_u32_e64 v27, s[22:23], -1, v6
; %bb.1787:                             ;   in Loop: Header=BB6_126 Depth=2
	s_or_b64 exec, exec, s[34:35]
	v_add_u32_e32 v3, 0xffffff81, v3
	v_cndmask_b32_e32 v3, v3, v41, vcc
	v_lshrrev_b32_e32 v6, 23, v26
	v_add3_u32 v6, v4, v3, v6
	v_add_u32_e32 v4, 6, v6
	v_and_b32_e32 v3, 0xfffff, v27
	v_add_u32_e32 v60, v3, v26
	v_cmp_ne_u32_e32 vcc, 0, v4
                                        ; implicit-def: $vgpr26_vgpr27
                                        ; implicit-def: $vgpr3
	s_and_saveexec_b64 s[22:23], vcc
	s_xor_b64 s[22:23], exec, s[22:23]
; %bb.1788:                             ;   in Loop: Header=BB6_126 Depth=2
	v_cmp_lt_u64_e32 vcc, s[76:77], v[60:61]
	v_add_u32_e32 v3, 7, v6
	v_cndmask_b32_e32 v3, v4, v3, vcc
	v_cndmask_b32_e64 v4, 0, 1, vcc
	v_lshrrev_b64 v[26:27], v4, v[60:61]
; %bb.1789:                             ;   in Loop: Header=BB6_126 Depth=2
	s_andn2_saveexec_b64 s[22:23], s[22:23]
; %bb.1790:                             ;   in Loop: Header=BB6_126 Depth=2
	v_mov_b32_e32 v26, v60
	v_bfe_u32 v3, v60, 23, 1
	v_mov_b32_e32 v27, v61
; %bb.1791:                             ;   in Loop: Header=BB6_126 Depth=2
	s_or_b64 exec, exec, s[22:23]
	v_lshrrev_b64 v[6:7], 20, v[26:27]
	v_cmp_gt_i32_e32 vcc, 16, v3
	v_cndmask_b32_e32 v7, 0, v7, vcc
	v_cndmask_b32_e32 v6, 7, v6, vcc
	v_cmp_eq_u32_e32 vcc, 0, v3
	v_min_i32_e32 v3, 15, v3
	v_cmp_eq_u64_e64 s[22:23], 0, v[6:7]
	v_lshlrev_b32_e32 v3, 3, v3
	v_and_b32_e32 v3, 0xf8, v3
	v_and_or_b32 v3, v6, 7, v3
	s_and_b64 s[22:23], vcc, s[22:23]
	v_cndmask_b32_e64 v3, v3, 0, s[22:23]
	v_or_b32_e32 v9, v3, v2
.LBB6_1792:                             ;   in Loop: Header=BB6_126 Depth=2
	s_or_b64 exec, exec, s[30:31]
                                        ; implicit-def: $vgpr2
.LBB6_1793:                             ;   in Loop: Header=BB6_126 Depth=2
	s_andn2_saveexec_b64 s[22:23], s[94:95]
; %bb.1794:                             ;   in Loop: Header=BB6_126 Depth=2
	v_or_b32_e32 v9, 0x7e, v2
; %bb.1795:                             ;   in Loop: Header=BB6_126 Depth=2
	s_or_b64 exec, exec, s[22:23]
                                        ; implicit-def: $vgpr3
.LBB6_1796:                             ;   in Loop: Header=BB6_126 Depth=2
	s_andn2_saveexec_b64 s[22:23], s[92:93]
; %bb.1797:                             ;   in Loop: Header=BB6_126 Depth=2
	v_or_b32_sdwa v9, v3, s54 dst_sel:DWORD dst_unused:UNUSED_PAD src0_sel:BYTE_3 src1_sel:DWORD
; %bb.1798:                             ;   in Loop: Header=BB6_126 Depth=2
	s_or_b64 exec, exec, s[22:23]
	v_lshrrev_b32_e32 v27, 16, v23
	v_lshrrev_b32_e32 v26, 16, v19
	v_cmp_ne_u16_sdwa s[22:23], v27, v61 src0_sel:BYTE_0 src1_sel:DWORD
	s_and_b64 vcc, exec, s[20:21]
	s_mov_b64 s[92:93], -1
                                        ; implicit-def: $vgpr3
	s_cbranch_vccnz .LBB6_1812
; %bb.1799:                             ;   in Loop: Header=BB6_126 Depth=2
	v_mov_b32_e32 v3, 0
	v_mov_b32_e32 v2, 0
	s_and_saveexec_b64 s[92:93], s[22:23]
	s_cbranch_execz .LBB6_1805
; %bb.1800:                             ;   in Loop: Header=BB6_126 Depth=2
	v_cmp_ne_u16_sdwa vcc, v27, s53 src0_sel:BYTE_0 src1_sel:DWORD
	v_bfrev_b32_e32 v2, 1
	s_and_saveexec_b64 s[94:95], vcc
	s_cbranch_execz .LBB6_1804
; %bb.1801:                             ;   in Loop: Header=BB6_126 Depth=2
	v_bfe_u32 v4, v23, 16, 7
	v_cmp_ne_u32_e32 vcc, s54, v4
	v_mov_b32_e32 v2, 0x7f800001
	s_and_saveexec_b64 s[30:31], vcc
	s_cbranch_execz .LBB6_1803
; %bb.1802:                             ;   in Loop: Header=BB6_126 Depth=2
	v_and_b32_e32 v2, 7, v27
	v_lshrrev_b32_e32 v8, 3, v4
	v_cmp_gt_u32_e32 vcc, 8, v4
	v_ffbh_u32_e32 v4, v2
	v_min_u32_e32 v4, 32, v4
	v_subrev_u32_e32 v6, 28, v4
	v_lshlrev_b64 v[6:7], v6, v[27:28]
	v_sub_u32_e32 v4, 29, v4
	v_and_b32_e32 v6, 7, v6
	v_cndmask_b32_e32 v4, v8, v4, vcc
	v_cndmask_b32_e32 v2, v2, v6, vcc
	v_lshlrev_b32_e32 v6, 24, v27
	v_lshlrev_b32_e32 v2, 20, v2
	v_and_b32_e32 v6, 0x80000000, v6
	v_lshl_add_u32 v4, v4, 23, v62
	v_or3_b32 v2, v6, v4, v2
.LBB6_1803:                             ;   in Loop: Header=BB6_126 Depth=2
	s_or_b64 exec, exec, s[30:31]
.LBB6_1804:                             ;   in Loop: Header=BB6_126 Depth=2
	s_or_b64 exec, exec, s[94:95]
.LBB6_1805:                             ;   in Loop: Header=BB6_126 Depth=2
	s_or_b64 exec, exec, s[92:93]
	v_cmp_ne_u16_sdwa s[94:95], v26, v61 src0_sel:BYTE_0 src1_sel:DWORD
	s_and_saveexec_b64 s[92:93], s[94:95]
	s_cbranch_execz .LBB6_1811
; %bb.1806:                             ;   in Loop: Header=BB6_126 Depth=2
	v_cmp_ne_u16_sdwa vcc, v26, s53 src0_sel:BYTE_0 src1_sel:DWORD
	v_bfrev_b32_e32 v3, 1
	s_and_saveexec_b64 s[94:95], vcc
	s_cbranch_execz .LBB6_1810
; %bb.1807:                             ;   in Loop: Header=BB6_126 Depth=2
	v_bfe_u32 v4, v19, 16, 7
	v_cmp_ne_u32_e32 vcc, s54, v4
	v_mov_b32_e32 v3, 0x7f800001
	s_and_saveexec_b64 s[30:31], vcc
	s_cbranch_execz .LBB6_1809
; %bb.1808:                             ;   in Loop: Header=BB6_126 Depth=2
	v_and_b32_e32 v6, 7, v26
	v_ffbh_u32_e32 v3, v6
	v_min_u32_e32 v8, 32, v3
	v_subrev_u32_e32 v3, 28, v8
	v_lshrrev_b32_e32 v7, 3, v4
	v_cmp_gt_u32_e32 vcc, 8, v4
	v_lshlrev_b64 v[3:4], v3, v[26:27]
	v_sub_u32_e32 v4, 29, v8
	v_and_b32_e32 v3, 7, v3
	v_cndmask_b32_e32 v4, v7, v4, vcc
	v_cndmask_b32_e32 v3, v6, v3, vcc
	v_lshlrev_b32_e32 v6, 24, v26
	v_lshlrev_b32_e32 v3, 20, v3
	v_and_b32_e32 v6, 0x80000000, v6
	v_lshl_add_u32 v4, v4, 23, v62
	v_or3_b32 v3, v6, v4, v3
.LBB6_1809:                             ;   in Loop: Header=BB6_126 Depth=2
	s_or_b64 exec, exec, s[30:31]
.LBB6_1810:                             ;   in Loop: Header=BB6_126 Depth=2
	s_or_b64 exec, exec, s[94:95]
.LBB6_1811:                             ;   in Loop: Header=BB6_126 Depth=2
	s_or_b64 exec, exec, s[92:93]
	v_max_f32_e32 v3, v3, v3
	v_max_f32_e32 v2, v2, v2
	;; [unrolled: 1-line block ×3, first 2 shown]
	s_mov_b64 s[92:93], 0
.LBB6_1812:                             ;   in Loop: Header=BB6_126 Depth=2
	s_and_b64 vcc, exec, s[92:93]
	s_cbranch_vccz .LBB6_1826
; %bb.1813:                             ;   in Loop: Header=BB6_126 Depth=2
	v_mov_b32_e32 v3, 0
	v_mov_b32_e32 v2, 0
	s_and_saveexec_b64 s[92:93], s[22:23]
	s_cbranch_execz .LBB6_1819
; %bb.1814:                             ;   in Loop: Header=BB6_126 Depth=2
	v_cmp_ne_u16_sdwa s[94:95], v27, s53 src0_sel:BYTE_0 src1_sel:DWORD
	v_bfrev_b32_e32 v2, 1
	s_and_saveexec_b64 s[22:23], s[94:95]
	s_cbranch_execz .LBB6_1818
; %bb.1815:                             ;   in Loop: Header=BB6_126 Depth=2
	v_bfe_u32 v4, v23, 16, 7
	v_cmp_ne_u32_e32 vcc, s54, v4
	v_mov_b32_e32 v2, 0x7f800001
	s_and_saveexec_b64 s[94:95], vcc
	s_cbranch_execz .LBB6_1817
; %bb.1816:                             ;   in Loop: Header=BB6_126 Depth=2
	v_and_b32_e32 v2, 7, v27
	v_lshrrev_b32_e32 v8, 3, v4
	v_cmp_gt_u32_e32 vcc, 8, v4
	v_ffbh_u32_e32 v4, v2
	v_min_u32_e32 v4, 32, v4
	v_subrev_u32_e32 v6, 28, v4
	v_lshlrev_b64 v[6:7], v6, v[27:28]
	v_sub_u32_e32 v4, 29, v4
	v_and_b32_e32 v6, 7, v6
	v_cndmask_b32_e32 v4, v8, v4, vcc
	v_cndmask_b32_e32 v2, v2, v6, vcc
	v_lshlrev_b32_e32 v6, 24, v27
	v_lshlrev_b32_e32 v2, 20, v2
	v_and_b32_e32 v6, 0x80000000, v6
	v_lshl_add_u32 v4, v4, 23, v62
	v_or3_b32 v2, v6, v4, v2
.LBB6_1817:                             ;   in Loop: Header=BB6_126 Depth=2
	s_or_b64 exec, exec, s[94:95]
.LBB6_1818:                             ;   in Loop: Header=BB6_126 Depth=2
	s_or_b64 exec, exec, s[22:23]
.LBB6_1819:                             ;   in Loop: Header=BB6_126 Depth=2
	s_or_b64 exec, exec, s[92:93]
	v_cmp_ne_u16_sdwa s[92:93], v26, v61 src0_sel:BYTE_0 src1_sel:DWORD
	s_and_saveexec_b64 s[22:23], s[92:93]
	s_cbranch_execz .LBB6_1825
; %bb.1820:                             ;   in Loop: Header=BB6_126 Depth=2
	v_cmp_ne_u16_sdwa s[94:95], v26, s53 src0_sel:BYTE_0 src1_sel:DWORD
	v_bfrev_b32_e32 v3, 1
	s_and_saveexec_b64 s[92:93], s[94:95]
	s_cbranch_execz .LBB6_1824
; %bb.1821:                             ;   in Loop: Header=BB6_126 Depth=2
	v_bfe_u32 v4, v19, 16, 7
	v_cmp_ne_u32_e32 vcc, s54, v4
	v_mov_b32_e32 v3, 0x7f800001
	s_and_saveexec_b64 s[94:95], vcc
	s_cbranch_execz .LBB6_1823
; %bb.1822:                             ;   in Loop: Header=BB6_126 Depth=2
	v_and_b32_e32 v6, 7, v26
	v_ffbh_u32_e32 v3, v6
	v_min_u32_e32 v8, 32, v3
	v_subrev_u32_e32 v3, 28, v8
	v_lshrrev_b32_e32 v7, 3, v4
	v_cmp_gt_u32_e32 vcc, 8, v4
	v_lshlrev_b64 v[3:4], v3, v[26:27]
	v_sub_u32_e32 v4, 29, v8
	v_and_b32_e32 v3, 7, v3
	v_cndmask_b32_e32 v4, v7, v4, vcc
	v_cndmask_b32_e32 v3, v6, v3, vcc
	v_lshlrev_b32_e32 v6, 24, v26
	v_lshlrev_b32_e32 v3, 20, v3
	v_and_b32_e32 v6, 0x80000000, v6
	v_lshl_add_u32 v4, v4, 23, v62
	v_or3_b32 v3, v6, v4, v3
.LBB6_1823:                             ;   in Loop: Header=BB6_126 Depth=2
	s_or_b64 exec, exec, s[94:95]
.LBB6_1824:                             ;   in Loop: Header=BB6_126 Depth=2
	s_or_b64 exec, exec, s[92:93]
.LBB6_1825:                             ;   in Loop: Header=BB6_126 Depth=2
	s_or_b64 exec, exec, s[22:23]
	v_max_f32_e32 v3, v3, v3
	v_max_f32_e32 v2, v2, v2
	v_min_f32_e32 v3, v2, v3
.LBB6_1826:                             ;   in Loop: Header=BB6_126 Depth=2
	v_and_b32_e32 v60, 0x7f800000, v3
	v_cmp_ne_u64_e32 vcc, s[72:73], v[60:61]
	buffer_store_dword v9, off, s[0:3], s33 offset:204 ; 4-byte Folded Spill
                                        ; implicit-def: $vgpr28
	s_and_saveexec_b64 s[22:23], vcc
	s_xor_b64 s[92:93], exec, s[22:23]
	s_cbranch_execz .LBB6_1840
; %bb.1827:                             ;   in Loop: Header=BB6_126 Depth=2
	v_and_b32_e32 v60, 0x7fffffff, v3
	v_cmp_gt_u64_e32 vcc, s[74:75], v[60:61]
	v_and_b32_sdwa v2, v3, s53 dst_sel:DWORD dst_unused:UNUSED_PAD src0_sel:BYTE_3 src1_sel:DWORD
                                        ; implicit-def: $vgpr28
	s_and_saveexec_b64 s[22:23], vcc
	s_xor_b64 s[94:95], exec, s[22:23]
	s_cbranch_execz .LBB6_1837
; %bb.1828:                             ;   in Loop: Header=BB6_126 Depth=2
	v_mov_b32_e32 v28, 0
	v_cmp_ne_u32_e32 vcc, 0, v3
	s_and_saveexec_b64 s[30:31], vcc
	s_cbranch_execz .LBB6_1836
; %bb.1829:                             ;   in Loop: Header=BB6_126 Depth=2
	v_and_b32_e32 v6, 0x7fffff, v3
	v_bfe_u32 v3, v3, 23, 8
	v_cmp_gt_u32_e64 s[22:23], s64, v3
	v_sub_u32_e32 v4, 0x79, v3
	v_cmp_eq_u32_e32 vcc, 0, v3
	v_cndmask_b32_e64 v4, 0, v4, s[22:23]
	v_mov_b32_e32 v8, 0x78
	v_or_b32_e32 v7, 0x800000, v6
	v_cndmask_b32_e32 v4, v4, v8, vcc
	v_cndmask_b32_e32 v60, v7, v6, vcc
	v_add_u32_e32 v6, 20, v4
	v_lshlrev_b64 v[6:7], v6, -1
	v_add_u32_e32 v8, 19, v4
	v_lshlrev_b64 v[8:9], v8, 1
	v_lshrrev_b64 v[26:27], v4, v[60:61]
	v_bfi_b32 v7, v7, 0, 0
	v_bfi_b32 v6, v6, 0, v60
	v_cmp_eq_u64_e64 s[22:23], v[6:7], v[8:9]
	v_mov_b32_e32 v28, v27
	v_mov_b32_e32 v27, v26
	s_and_saveexec_b64 s[34:35], s[22:23]
; %bb.1830:                             ;   in Loop: Header=BB6_126 Depth=2
	v_bfe_u32 v6, v26, 20, 1
	v_add_co_u32_e64 v6, s[22:23], v26, v6
	v_add_co_u32_e64 v27, s[22:23], -1, v6
; %bb.1831:                             ;   in Loop: Header=BB6_126 Depth=2
	s_or_b64 exec, exec, s[34:35]
	v_add_u32_e32 v3, 0xffffff81, v3
	v_cndmask_b32_e32 v3, v3, v41, vcc
	v_lshrrev_b32_e32 v6, 23, v26
	v_add3_u32 v6, v4, v3, v6
	v_add_u32_e32 v4, 6, v6
	v_and_b32_e32 v3, 0xfffff, v27
	v_add_u32_e32 v60, v3, v26
	v_cmp_ne_u32_e32 vcc, 0, v4
                                        ; implicit-def: $vgpr26_vgpr27
                                        ; implicit-def: $vgpr3
	s_and_saveexec_b64 s[22:23], vcc
	s_xor_b64 s[22:23], exec, s[22:23]
; %bb.1832:                             ;   in Loop: Header=BB6_126 Depth=2
	v_cmp_lt_u64_e32 vcc, s[76:77], v[60:61]
	v_add_u32_e32 v3, 7, v6
	v_cndmask_b32_e32 v3, v4, v3, vcc
	v_cndmask_b32_e64 v4, 0, 1, vcc
	v_lshrrev_b64 v[26:27], v4, v[60:61]
; %bb.1833:                             ;   in Loop: Header=BB6_126 Depth=2
	s_andn2_saveexec_b64 s[22:23], s[22:23]
; %bb.1834:                             ;   in Loop: Header=BB6_126 Depth=2
	v_mov_b32_e32 v26, v60
	v_bfe_u32 v3, v60, 23, 1
	v_mov_b32_e32 v27, v61
; %bb.1835:                             ;   in Loop: Header=BB6_126 Depth=2
	s_or_b64 exec, exec, s[22:23]
	v_lshrrev_b64 v[6:7], 20, v[26:27]
	v_cmp_gt_i32_e32 vcc, 16, v3
	v_cndmask_b32_e32 v7, 0, v7, vcc
	v_cndmask_b32_e32 v6, 7, v6, vcc
	v_cmp_eq_u32_e32 vcc, 0, v3
	v_min_i32_e32 v3, 15, v3
	v_cmp_eq_u64_e64 s[22:23], 0, v[6:7]
	v_lshlrev_b32_e32 v3, 3, v3
	v_and_b32_e32 v3, 0xf8, v3
	v_and_or_b32 v3, v6, 7, v3
	s_and_b64 s[22:23], vcc, s[22:23]
	v_cndmask_b32_e64 v3, v3, 0, s[22:23]
	v_or_b32_e32 v28, v3, v2
.LBB6_1836:                             ;   in Loop: Header=BB6_126 Depth=2
	s_or_b64 exec, exec, s[30:31]
                                        ; implicit-def: $vgpr2
.LBB6_1837:                             ;   in Loop: Header=BB6_126 Depth=2
	s_andn2_saveexec_b64 s[22:23], s[94:95]
; %bb.1838:                             ;   in Loop: Header=BB6_126 Depth=2
	v_or_b32_e32 v28, 0x7e, v2
; %bb.1839:                             ;   in Loop: Header=BB6_126 Depth=2
	s_or_b64 exec, exec, s[22:23]
                                        ; implicit-def: $vgpr3
.LBB6_1840:                             ;   in Loop: Header=BB6_126 Depth=2
	s_andn2_saveexec_b64 s[22:23], s[92:93]
; %bb.1841:                             ;   in Loop: Header=BB6_126 Depth=2
	v_or_b32_sdwa v28, v3, s54 dst_sel:DWORD dst_unused:UNUSED_PAD src0_sel:BYTE_3 src1_sel:DWORD
; %bb.1842:                             ;   in Loop: Header=BB6_126 Depth=2
	s_or_b64 exec, exec, s[22:23]
	v_cmp_lt_u64_e64 s[22:23], s[78:79], v[22:23]
	v_lshrrev_b32_e32 v27, 24, v23
	v_lshrrev_b32_e32 v26, 24, v19
	s_and_b64 vcc, exec, s[20:21]
	s_mov_b64 s[92:93], -1
                                        ; implicit-def: $vgpr3
	s_cbranch_vccnz .LBB6_1856
; %bb.1843:                             ;   in Loop: Header=BB6_126 Depth=2
	v_mov_b32_e32 v3, 0
	v_mov_b32_e32 v2, 0
	s_and_saveexec_b64 s[92:93], s[22:23]
	s_cbranch_execz .LBB6_1849
; %bb.1844:                             ;   in Loop: Header=BB6_126 Depth=2
	v_cmp_ne_u32_e32 vcc, s53, v27
	v_bfrev_b32_e32 v2, 1
	s_and_saveexec_b64 s[94:95], vcc
	s_cbranch_execz .LBB6_1848
; %bb.1845:                             ;   in Loop: Header=BB6_126 Depth=2
	v_bfe_u32 v4, v23, 24, 7
	v_cmp_ne_u32_e32 vcc, s54, v4
	v_mov_b32_e32 v2, 0x7f800001
	s_and_saveexec_b64 s[30:31], vcc
	s_cbranch_execz .LBB6_1847
; %bb.1846:                             ;   in Loop: Header=BB6_126 Depth=2
	v_and_b32_e32 v2, 7, v27
	v_lshrrev_b32_e32 v8, 3, v4
	v_cmp_gt_u32_e32 vcc, 8, v4
	v_ffbh_u32_e32 v4, v2
	v_min_u32_e32 v4, 32, v4
	v_subrev_u32_e32 v6, 28, v4
	v_lshlrev_b64 v[6:7], v6, v[27:28]
	v_sub_u32_e32 v4, 29, v4
	v_and_b32_e32 v6, 7, v6
	v_cndmask_b32_e32 v4, v8, v4, vcc
	v_cndmask_b32_e32 v2, v2, v6, vcc
	v_lshlrev_b32_e32 v6, 24, v27
	v_lshlrev_b32_e32 v2, 20, v2
	v_and_b32_e32 v6, 0x80000000, v6
	v_lshl_add_u32 v4, v4, 23, v62
	v_or3_b32 v2, v6, v4, v2
.LBB6_1847:                             ;   in Loop: Header=BB6_126 Depth=2
	s_or_b64 exec, exec, s[30:31]
.LBB6_1848:                             ;   in Loop: Header=BB6_126 Depth=2
	s_or_b64 exec, exec, s[94:95]
.LBB6_1849:                             ;   in Loop: Header=BB6_126 Depth=2
	s_or_b64 exec, exec, s[92:93]
	v_cmp_lt_u64_e32 vcc, s[78:79], v[18:19]
	s_and_saveexec_b64 s[92:93], vcc
	s_cbranch_execz .LBB6_1855
; %bb.1850:                             ;   in Loop: Header=BB6_126 Depth=2
	v_cmp_ne_u32_e32 vcc, s53, v26
	v_bfrev_b32_e32 v3, 1
	s_and_saveexec_b64 s[94:95], vcc
	s_cbranch_execz .LBB6_1854
; %bb.1851:                             ;   in Loop: Header=BB6_126 Depth=2
	v_bfe_u32 v4, v19, 24, 7
	v_cmp_ne_u32_e32 vcc, s54, v4
	v_mov_b32_e32 v3, 0x7f800001
	s_and_saveexec_b64 s[30:31], vcc
	s_cbranch_execz .LBB6_1853
; %bb.1852:                             ;   in Loop: Header=BB6_126 Depth=2
	v_and_b32_e32 v6, 7, v26
	v_ffbh_u32_e32 v3, v6
	v_min_u32_e32 v8, 32, v3
	v_subrev_u32_e32 v3, 28, v8
	v_lshrrev_b32_e32 v7, 3, v4
	v_cmp_gt_u32_e32 vcc, 8, v4
	v_lshlrev_b64 v[3:4], v3, v[26:27]
	v_sub_u32_e32 v4, 29, v8
	v_and_b32_e32 v3, 7, v3
	v_cndmask_b32_e32 v4, v7, v4, vcc
	v_cndmask_b32_e32 v3, v6, v3, vcc
	v_lshlrev_b32_e32 v6, 24, v26
	v_lshlrev_b32_e32 v3, 20, v3
	v_and_b32_e32 v6, 0x80000000, v6
	v_lshl_add_u32 v4, v4, 23, v62
	v_or3_b32 v3, v6, v4, v3
.LBB6_1853:                             ;   in Loop: Header=BB6_126 Depth=2
	s_or_b64 exec, exec, s[30:31]
.LBB6_1854:                             ;   in Loop: Header=BB6_126 Depth=2
	s_or_b64 exec, exec, s[94:95]
.LBB6_1855:                             ;   in Loop: Header=BB6_126 Depth=2
	s_or_b64 exec, exec, s[92:93]
	v_max_f32_e32 v3, v3, v3
	v_max_f32_e32 v2, v2, v2
	;; [unrolled: 1-line block ×3, first 2 shown]
	s_mov_b64 s[92:93], 0
.LBB6_1856:                             ;   in Loop: Header=BB6_126 Depth=2
	s_and_b64 vcc, exec, s[92:93]
	s_cbranch_vccz .LBB6_1870
; %bb.1857:                             ;   in Loop: Header=BB6_126 Depth=2
	v_mov_b32_e32 v3, 0
	v_mov_b32_e32 v2, 0
	s_and_saveexec_b64 s[92:93], s[22:23]
	s_cbranch_execz .LBB6_1863
; %bb.1858:                             ;   in Loop: Header=BB6_126 Depth=2
	v_cmp_ne_u32_e32 vcc, s53, v27
	v_bfrev_b32_e32 v2, 1
	s_and_saveexec_b64 s[22:23], vcc
	s_cbranch_execz .LBB6_1862
; %bb.1859:                             ;   in Loop: Header=BB6_126 Depth=2
	v_bfe_u32 v4, v23, 24, 7
	v_cmp_ne_u32_e32 vcc, s54, v4
	v_mov_b32_e32 v2, 0x7f800001
	s_and_saveexec_b64 s[94:95], vcc
	s_cbranch_execz .LBB6_1861
; %bb.1860:                             ;   in Loop: Header=BB6_126 Depth=2
	v_and_b32_e32 v2, 7, v27
	v_lshrrev_b32_e32 v8, 3, v4
	v_cmp_gt_u32_e32 vcc, 8, v4
	v_ffbh_u32_e32 v4, v2
	v_min_u32_e32 v4, 32, v4
	v_subrev_u32_e32 v6, 28, v4
	v_lshlrev_b64 v[6:7], v6, v[27:28]
	v_sub_u32_e32 v4, 29, v4
	v_and_b32_e32 v6, 7, v6
	v_cndmask_b32_e32 v4, v8, v4, vcc
	v_cndmask_b32_e32 v2, v2, v6, vcc
	v_lshlrev_b32_e32 v6, 24, v27
	v_lshlrev_b32_e32 v2, 20, v2
	v_and_b32_e32 v6, 0x80000000, v6
	v_lshl_add_u32 v4, v4, 23, v62
	v_or3_b32 v2, v6, v4, v2
.LBB6_1861:                             ;   in Loop: Header=BB6_126 Depth=2
	s_or_b64 exec, exec, s[94:95]
.LBB6_1862:                             ;   in Loop: Header=BB6_126 Depth=2
	s_or_b64 exec, exec, s[22:23]
.LBB6_1863:                             ;   in Loop: Header=BB6_126 Depth=2
	s_or_b64 exec, exec, s[92:93]
	v_cmp_lt_u64_e32 vcc, s[78:79], v[18:19]
	s_and_saveexec_b64 s[22:23], vcc
	s_cbranch_execz .LBB6_1869
; %bb.1864:                             ;   in Loop: Header=BB6_126 Depth=2
	v_cmp_ne_u32_e32 vcc, s53, v26
	v_bfrev_b32_e32 v3, 1
	s_and_saveexec_b64 s[92:93], vcc
	s_cbranch_execz .LBB6_1868
; %bb.1865:                             ;   in Loop: Header=BB6_126 Depth=2
	v_bfe_u32 v4, v19, 24, 7
	v_cmp_ne_u32_e32 vcc, s54, v4
	v_mov_b32_e32 v3, 0x7f800001
	s_and_saveexec_b64 s[94:95], vcc
	s_cbranch_execz .LBB6_1867
; %bb.1866:                             ;   in Loop: Header=BB6_126 Depth=2
	v_and_b32_e32 v6, 7, v26
	v_ffbh_u32_e32 v3, v6
	v_min_u32_e32 v8, 32, v3
	v_subrev_u32_e32 v3, 28, v8
	v_lshrrev_b32_e32 v7, 3, v4
	v_cmp_gt_u32_e32 vcc, 8, v4
	v_lshlrev_b64 v[3:4], v3, v[26:27]
	v_sub_u32_e32 v4, 29, v8
	v_and_b32_e32 v3, 7, v3
	v_cndmask_b32_e32 v4, v7, v4, vcc
	v_cndmask_b32_e32 v3, v6, v3, vcc
	v_lshlrev_b32_e32 v6, 24, v26
	v_lshlrev_b32_e32 v3, 20, v3
	v_and_b32_e32 v6, 0x80000000, v6
	v_lshl_add_u32 v4, v4, 23, v62
	v_or3_b32 v3, v6, v4, v3
.LBB6_1867:                             ;   in Loop: Header=BB6_126 Depth=2
	s_or_b64 exec, exec, s[94:95]
.LBB6_1868:                             ;   in Loop: Header=BB6_126 Depth=2
	s_or_b64 exec, exec, s[92:93]
.LBB6_1869:                             ;   in Loop: Header=BB6_126 Depth=2
	s_or_b64 exec, exec, s[22:23]
	v_max_f32_e32 v3, v3, v3
	v_max_f32_e32 v2, v2, v2
	v_min_f32_e32 v3, v2, v3
.LBB6_1870:                             ;   in Loop: Header=BB6_126 Depth=2
	v_and_b32_e32 v60, 0x7f800000, v3
	v_cmp_ne_u64_e32 vcc, s[72:73], v[60:61]
	v_mov_b32_e32 v49, v50
	buffer_store_dword v47, off, s[0:3], s33 offset:192 ; 4-byte Folded Spill
	buffer_store_dword v55, off, s[0:3], s33 offset:200 ; 4-byte Folded Spill
	;; [unrolled: 1-line block ×3, first 2 shown]
                                        ; implicit-def: $vgpr45
	s_and_saveexec_b64 s[22:23], vcc
	s_xor_b64 s[92:93], exec, s[22:23]
	s_cbranch_execz .LBB6_1884
; %bb.1871:                             ;   in Loop: Header=BB6_126 Depth=2
	v_and_b32_e32 v60, 0x7fffffff, v3
	v_cmp_gt_u64_e32 vcc, s[74:75], v[60:61]
	v_and_b32_sdwa v2, v3, s53 dst_sel:DWORD dst_unused:UNUSED_PAD src0_sel:BYTE_3 src1_sel:DWORD
                                        ; implicit-def: $vgpr45
	s_and_saveexec_b64 s[22:23], vcc
	s_xor_b64 s[94:95], exec, s[22:23]
	s_cbranch_execz .LBB6_1881
; %bb.1872:                             ;   in Loop: Header=BB6_126 Depth=2
	v_mov_b32_e32 v45, 0
	v_cmp_ne_u32_e32 vcc, 0, v3
	s_and_saveexec_b64 s[30:31], vcc
	s_cbranch_execz .LBB6_1880
; %bb.1873:                             ;   in Loop: Header=BB6_126 Depth=2
	v_and_b32_e32 v6, 0x7fffff, v3
	v_bfe_u32 v3, v3, 23, 8
	v_cmp_gt_u32_e64 s[22:23], s64, v3
	v_sub_u32_e32 v4, 0x79, v3
	v_cmp_eq_u32_e32 vcc, 0, v3
	v_cndmask_b32_e64 v4, 0, v4, s[22:23]
	v_mov_b32_e32 v8, 0x78
	v_or_b32_e32 v7, 0x800000, v6
	v_cndmask_b32_e32 v4, v4, v8, vcc
	v_cndmask_b32_e32 v60, v7, v6, vcc
	v_add_u32_e32 v6, 20, v4
	v_lshlrev_b64 v[6:7], v6, -1
	v_add_u32_e32 v8, 19, v4
	v_lshlrev_b64 v[8:9], v8, 1
	v_lshrrev_b64 v[18:19], v4, v[60:61]
	v_bfi_b32 v7, v7, 0, 0
	v_bfi_b32 v6, v6, 0, v60
	v_cmp_eq_u64_e64 s[22:23], v[6:7], v[8:9]
	v_mov_b32_e32 v23, v19
	v_mov_b32_e32 v22, v18
	s_and_saveexec_b64 s[34:35], s[22:23]
; %bb.1874:                             ;   in Loop: Header=BB6_126 Depth=2
	v_bfe_u32 v6, v18, 20, 1
	v_add_co_u32_e64 v6, s[22:23], v18, v6
	v_add_co_u32_e64 v22, s[22:23], -1, v6
; %bb.1875:                             ;   in Loop: Header=BB6_126 Depth=2
	s_or_b64 exec, exec, s[34:35]
	v_add_u32_e32 v3, 0xffffff81, v3
	v_cndmask_b32_e32 v3, v3, v41, vcc
	v_lshrrev_b32_e32 v6, 23, v18
	v_add3_u32 v6, v4, v3, v6
	v_add_u32_e32 v4, 6, v6
	v_and_b32_e32 v3, 0xfffff, v22
	v_add_u32_e32 v60, v3, v18
	v_cmp_ne_u32_e32 vcc, 0, v4
                                        ; implicit-def: $vgpr18_vgpr19
                                        ; implicit-def: $vgpr3
	s_and_saveexec_b64 s[22:23], vcc
	s_xor_b64 s[22:23], exec, s[22:23]
; %bb.1876:                             ;   in Loop: Header=BB6_126 Depth=2
	v_cmp_lt_u64_e32 vcc, s[76:77], v[60:61]
	v_add_u32_e32 v3, 7, v6
	v_cndmask_b32_e32 v3, v4, v3, vcc
	v_cndmask_b32_e64 v4, 0, 1, vcc
	v_lshrrev_b64 v[18:19], v4, v[60:61]
; %bb.1877:                             ;   in Loop: Header=BB6_126 Depth=2
	s_andn2_saveexec_b64 s[22:23], s[22:23]
; %bb.1878:                             ;   in Loop: Header=BB6_126 Depth=2
	v_mov_b32_e32 v18, v60
	v_bfe_u32 v3, v60, 23, 1
	v_mov_b32_e32 v19, v61
; %bb.1879:                             ;   in Loop: Header=BB6_126 Depth=2
	s_or_b64 exec, exec, s[22:23]
	v_lshrrev_b64 v[6:7], 20, v[18:19]
	v_cmp_gt_i32_e32 vcc, 16, v3
	v_cndmask_b32_e32 v7, 0, v7, vcc
	v_cndmask_b32_e32 v6, 7, v6, vcc
	v_cmp_eq_u32_e32 vcc, 0, v3
	v_min_i32_e32 v3, 15, v3
	v_cmp_eq_u64_e64 s[22:23], 0, v[6:7]
	v_lshlrev_b32_e32 v3, 3, v3
	v_and_b32_e32 v3, 0xf8, v3
	v_and_or_b32 v3, v6, 7, v3
	s_and_b64 s[22:23], vcc, s[22:23]
	v_cndmask_b32_e64 v3, v3, 0, s[22:23]
	v_or_b32_e32 v45, v3, v2
.LBB6_1880:                             ;   in Loop: Header=BB6_126 Depth=2
	s_or_b64 exec, exec, s[30:31]
                                        ; implicit-def: $vgpr2
.LBB6_1881:                             ;   in Loop: Header=BB6_126 Depth=2
	s_andn2_saveexec_b64 s[22:23], s[94:95]
; %bb.1882:                             ;   in Loop: Header=BB6_126 Depth=2
	v_or_b32_e32 v45, 0x7e, v2
; %bb.1883:                             ;   in Loop: Header=BB6_126 Depth=2
	s_or_b64 exec, exec, s[22:23]
                                        ; implicit-def: $vgpr3
.LBB6_1884:                             ;   in Loop: Header=BB6_126 Depth=2
	s_andn2_saveexec_b64 s[22:23], s[92:93]
; %bb.1885:                             ;   in Loop: Header=BB6_126 Depth=2
	v_or_b32_sdwa v45, v3, s54 dst_sel:DWORD dst_unused:UNUSED_PAD src0_sel:BYTE_3 src1_sel:DWORD
; %bb.1886:                             ;   in Loop: Header=BB6_126 Depth=2
	s_or_b64 exec, exec, s[22:23]
	v_cmp_ne_u16_sdwa s[22:23], v24, v61 src0_sel:BYTE_0 src1_sel:DWORD
	s_and_b64 vcc, exec, s[20:21]
	s_mov_b64 s[92:93], -1
                                        ; implicit-def: $vgpr3
	s_cbranch_vccnz .LBB6_1900
; %bb.1887:                             ;   in Loop: Header=BB6_126 Depth=2
	v_mov_b32_e32 v3, 0
	v_mov_b32_e32 v2, 0
	s_and_saveexec_b64 s[92:93], s[22:23]
	s_cbranch_execz .LBB6_1893
; %bb.1888:                             ;   in Loop: Header=BB6_126 Depth=2
	v_cmp_ne_u16_sdwa vcc, v24, s53 src0_sel:BYTE_0 src1_sel:DWORD
	v_bfrev_b32_e32 v2, 1
	s_and_saveexec_b64 s[94:95], vcc
	s_cbranch_execz .LBB6_1892
; %bb.1889:                             ;   in Loop: Header=BB6_126 Depth=2
	v_and_b32_e32 v4, 0x7f, v24
	v_cmp_ne_u32_e32 vcc, s54, v4
	v_mov_b32_e32 v2, 0x7f800001
	s_and_saveexec_b64 s[30:31], vcc
	s_cbranch_execz .LBB6_1891
; %bb.1890:                             ;   in Loop: Header=BB6_126 Depth=2
	v_and_b32_e32 v2, 7, v24
	v_ffbh_u32_e32 v2, v2
	v_min_u32_e32 v2, 32, v2
	v_lshrrev_b32_e32 v6, 3, v4
	v_cmp_gt_u32_e32 vcc, 8, v4
	v_subrev_u32_e32 v4, 28, v2
	v_sub_u32_e32 v2, 29, v2
	v_cndmask_b32_e32 v4, 0, v4, vcc
	v_cndmask_b32_e32 v2, v6, v2, vcc
	v_lshlrev_b64 v[6:7], v4, v[24:25]
	v_lshl_add_u32 v2, v2, 23, v62
	v_lshlrev_b32_e32 v4, 20, v6
	v_lshlrev_b32_e32 v6, 24, v24
	v_and_b32_e32 v4, 0x700000, v4
	v_and_b32_e32 v6, 0x80000000, v6
	v_or3_b32 v2, v6, v2, v4
.LBB6_1891:                             ;   in Loop: Header=BB6_126 Depth=2
	s_or_b64 exec, exec, s[30:31]
.LBB6_1892:                             ;   in Loop: Header=BB6_126 Depth=2
	s_or_b64 exec, exec, s[94:95]
.LBB6_1893:                             ;   in Loop: Header=BB6_126 Depth=2
	s_or_b64 exec, exec, s[92:93]
	v_cmp_ne_u16_sdwa s[94:95], v20, v61 src0_sel:BYTE_0 src1_sel:DWORD
	s_and_saveexec_b64 s[92:93], s[94:95]
	s_cbranch_execz .LBB6_1899
; %bb.1894:                             ;   in Loop: Header=BB6_126 Depth=2
	v_cmp_ne_u16_sdwa vcc, v20, s53 src0_sel:BYTE_0 src1_sel:DWORD
	v_bfrev_b32_e32 v3, 1
	s_and_saveexec_b64 s[94:95], vcc
	s_cbranch_execz .LBB6_1898
; %bb.1895:                             ;   in Loop: Header=BB6_126 Depth=2
	v_and_b32_e32 v4, 0x7f, v20
	v_cmp_ne_u32_e32 vcc, s54, v4
	v_mov_b32_e32 v3, 0x7f800001
	s_and_saveexec_b64 s[30:31], vcc
	s_cbranch_execz .LBB6_1897
; %bb.1896:                             ;   in Loop: Header=BB6_126 Depth=2
	v_and_b32_e32 v3, 7, v20
	v_ffbh_u32_e32 v3, v3
	v_min_u32_e32 v3, 32, v3
	v_lshrrev_b32_e32 v6, 3, v4
	v_cmp_gt_u32_e32 vcc, 8, v4
	v_subrev_u32_e32 v4, 28, v3
	v_sub_u32_e32 v3, 29, v3
	v_cndmask_b32_e32 v6, v6, v3, vcc
	v_cndmask_b32_e32 v3, 0, v4, vcc
	v_lshlrev_b64 v[3:4], v3, v[20:21]
	v_lshlrev_b32_e32 v4, 24, v20
	v_lshlrev_b32_e32 v3, 20, v3
	v_and_b32_e32 v3, 0x700000, v3
	v_and_b32_e32 v4, 0x80000000, v4
	v_lshl_add_u32 v6, v6, 23, v62
	v_or3_b32 v3, v4, v6, v3
.LBB6_1897:                             ;   in Loop: Header=BB6_126 Depth=2
	s_or_b64 exec, exec, s[30:31]
.LBB6_1898:                             ;   in Loop: Header=BB6_126 Depth=2
	s_or_b64 exec, exec, s[94:95]
.LBB6_1899:                             ;   in Loop: Header=BB6_126 Depth=2
	s_or_b64 exec, exec, s[92:93]
	v_max_f32_e32 v3, v3, v3
	v_max_f32_e32 v2, v2, v2
	v_max_f32_e32 v3, v2, v3
	s_mov_b64 s[92:93], 0
.LBB6_1900:                             ;   in Loop: Header=BB6_126 Depth=2
	s_and_b64 vcc, exec, s[92:93]
	s_cbranch_vccz .LBB6_1914
; %bb.1901:                             ;   in Loop: Header=BB6_126 Depth=2
	v_mov_b32_e32 v3, 0
	v_mov_b32_e32 v2, 0
	s_and_saveexec_b64 s[92:93], s[22:23]
	s_cbranch_execz .LBB6_1907
; %bb.1902:                             ;   in Loop: Header=BB6_126 Depth=2
	v_cmp_ne_u16_sdwa s[94:95], v24, s53 src0_sel:BYTE_0 src1_sel:DWORD
	v_bfrev_b32_e32 v2, 1
	s_and_saveexec_b64 s[22:23], s[94:95]
	s_cbranch_execz .LBB6_1906
; %bb.1903:                             ;   in Loop: Header=BB6_126 Depth=2
	v_and_b32_e32 v4, 0x7f, v24
	v_cmp_ne_u32_e32 vcc, s54, v4
	v_mov_b32_e32 v2, 0x7f800001
	s_and_saveexec_b64 s[94:95], vcc
	s_cbranch_execz .LBB6_1905
; %bb.1904:                             ;   in Loop: Header=BB6_126 Depth=2
	v_and_b32_e32 v2, 7, v24
	v_ffbh_u32_e32 v2, v2
	v_min_u32_e32 v2, 32, v2
	v_lshrrev_b32_e32 v6, 3, v4
	v_cmp_gt_u32_e32 vcc, 8, v4
	v_subrev_u32_e32 v4, 28, v2
	v_sub_u32_e32 v2, 29, v2
	v_cndmask_b32_e32 v4, 0, v4, vcc
	v_cndmask_b32_e32 v2, v6, v2, vcc
	v_lshlrev_b64 v[6:7], v4, v[24:25]
	v_lshl_add_u32 v2, v2, 23, v62
	v_lshlrev_b32_e32 v4, 20, v6
	v_lshlrev_b32_e32 v6, 24, v24
	v_and_b32_e32 v4, 0x700000, v4
	v_and_b32_e32 v6, 0x80000000, v6
	v_or3_b32 v2, v6, v2, v4
.LBB6_1905:                             ;   in Loop: Header=BB6_126 Depth=2
	s_or_b64 exec, exec, s[94:95]
.LBB6_1906:                             ;   in Loop: Header=BB6_126 Depth=2
	s_or_b64 exec, exec, s[22:23]
.LBB6_1907:                             ;   in Loop: Header=BB6_126 Depth=2
	s_or_b64 exec, exec, s[92:93]
	v_cmp_ne_u16_sdwa s[92:93], v20, v61 src0_sel:BYTE_0 src1_sel:DWORD
	s_and_saveexec_b64 s[22:23], s[92:93]
	s_cbranch_execz .LBB6_1913
; %bb.1908:                             ;   in Loop: Header=BB6_126 Depth=2
	v_cmp_ne_u16_sdwa s[94:95], v20, s53 src0_sel:BYTE_0 src1_sel:DWORD
	v_bfrev_b32_e32 v3, 1
	s_and_saveexec_b64 s[92:93], s[94:95]
	s_cbranch_execz .LBB6_1912
; %bb.1909:                             ;   in Loop: Header=BB6_126 Depth=2
	v_and_b32_e32 v4, 0x7f, v20
	v_cmp_ne_u32_e32 vcc, s54, v4
	v_mov_b32_e32 v3, 0x7f800001
	s_and_saveexec_b64 s[94:95], vcc
	s_cbranch_execz .LBB6_1911
; %bb.1910:                             ;   in Loop: Header=BB6_126 Depth=2
	v_and_b32_e32 v3, 7, v20
	v_ffbh_u32_e32 v3, v3
	v_min_u32_e32 v3, 32, v3
	v_lshrrev_b32_e32 v6, 3, v4
	v_cmp_gt_u32_e32 vcc, 8, v4
	v_subrev_u32_e32 v4, 28, v3
	v_sub_u32_e32 v3, 29, v3
	v_cndmask_b32_e32 v6, v6, v3, vcc
	v_cndmask_b32_e32 v3, 0, v4, vcc
	v_lshlrev_b64 v[3:4], v3, v[20:21]
	v_lshlrev_b32_e32 v4, 24, v20
	v_lshlrev_b32_e32 v3, 20, v3
	v_and_b32_e32 v3, 0x700000, v3
	v_and_b32_e32 v4, 0x80000000, v4
	v_lshl_add_u32 v6, v6, 23, v62
	v_or3_b32 v3, v4, v6, v3
.LBB6_1911:                             ;   in Loop: Header=BB6_126 Depth=2
	s_or_b64 exec, exec, s[94:95]
.LBB6_1912:                             ;   in Loop: Header=BB6_126 Depth=2
	s_or_b64 exec, exec, s[92:93]
.LBB6_1913:                             ;   in Loop: Header=BB6_126 Depth=2
	s_or_b64 exec, exec, s[22:23]
	v_max_f32_e32 v3, v3, v3
	v_max_f32_e32 v2, v2, v2
	v_min_f32_e32 v3, v2, v3
.LBB6_1914:                             ;   in Loop: Header=BB6_126 Depth=2
	v_and_b32_e32 v60, 0x7f800000, v3
	v_cmp_ne_u64_e32 vcc, s[72:73], v[60:61]
	v_mov_b32_e32 v48, v39
	v_mov_b32_e32 v39, v43
                                        ; implicit-def: $vgpr43
	s_and_saveexec_b64 s[22:23], vcc
	s_xor_b64 s[92:93], exec, s[22:23]
	s_cbranch_execz .LBB6_1928
; %bb.1915:                             ;   in Loop: Header=BB6_126 Depth=2
	v_and_b32_e32 v60, 0x7fffffff, v3
	v_cmp_gt_u64_e32 vcc, s[74:75], v[60:61]
	v_and_b32_sdwa v2, v3, s53 dst_sel:DWORD dst_unused:UNUSED_PAD src0_sel:BYTE_3 src1_sel:DWORD
                                        ; implicit-def: $vgpr43
	s_and_saveexec_b64 s[22:23], vcc
	s_xor_b64 s[94:95], exec, s[22:23]
	s_cbranch_execz .LBB6_1925
; %bb.1916:                             ;   in Loop: Header=BB6_126 Depth=2
	v_mov_b32_e32 v43, 0
	v_cmp_ne_u32_e32 vcc, 0, v3
	s_and_saveexec_b64 s[30:31], vcc
	s_cbranch_execz .LBB6_1924
; %bb.1917:                             ;   in Loop: Header=BB6_126 Depth=2
	v_and_b32_e32 v6, 0x7fffff, v3
	v_bfe_u32 v3, v3, 23, 8
	v_cmp_gt_u32_e64 s[22:23], s64, v3
	v_sub_u32_e32 v4, 0x79, v3
	v_cmp_eq_u32_e32 vcc, 0, v3
	v_cndmask_b32_e64 v4, 0, v4, s[22:23]
	v_mov_b32_e32 v8, 0x78
	v_or_b32_e32 v7, 0x800000, v6
	v_cndmask_b32_e32 v4, v4, v8, vcc
	v_cndmask_b32_e32 v60, v7, v6, vcc
	v_add_u32_e32 v6, 20, v4
	v_lshlrev_b64 v[6:7], v6, -1
	v_add_u32_e32 v8, 19, v4
	v_lshlrev_b64 v[8:9], v8, 1
	v_lshrrev_b64 v[18:19], v4, v[60:61]
	v_bfi_b32 v7, v7, 0, 0
	v_bfi_b32 v6, v6, 0, v60
	v_cmp_eq_u64_e64 s[22:23], v[6:7], v[8:9]
	v_mov_b32_e32 v23, v19
	v_mov_b32_e32 v22, v18
	s_and_saveexec_b64 s[34:35], s[22:23]
; %bb.1918:                             ;   in Loop: Header=BB6_126 Depth=2
	v_bfe_u32 v6, v18, 20, 1
	v_add_co_u32_e64 v6, s[22:23], v18, v6
	v_add_co_u32_e64 v22, s[22:23], -1, v6
; %bb.1919:                             ;   in Loop: Header=BB6_126 Depth=2
	s_or_b64 exec, exec, s[34:35]
	v_add_u32_e32 v3, 0xffffff81, v3
	v_cndmask_b32_e32 v3, v3, v41, vcc
	v_lshrrev_b32_e32 v6, 23, v18
	v_add3_u32 v6, v4, v3, v6
	v_add_u32_e32 v4, 6, v6
	v_and_b32_e32 v3, 0xfffff, v22
	v_add_u32_e32 v60, v3, v18
	v_cmp_ne_u32_e32 vcc, 0, v4
                                        ; implicit-def: $vgpr18_vgpr19
                                        ; implicit-def: $vgpr3
	s_and_saveexec_b64 s[22:23], vcc
	s_xor_b64 s[22:23], exec, s[22:23]
; %bb.1920:                             ;   in Loop: Header=BB6_126 Depth=2
	v_cmp_lt_u64_e32 vcc, s[76:77], v[60:61]
	v_add_u32_e32 v3, 7, v6
	v_cndmask_b32_e32 v3, v4, v3, vcc
	v_cndmask_b32_e64 v4, 0, 1, vcc
	v_lshrrev_b64 v[18:19], v4, v[60:61]
; %bb.1921:                             ;   in Loop: Header=BB6_126 Depth=2
	s_andn2_saveexec_b64 s[22:23], s[22:23]
; %bb.1922:                             ;   in Loop: Header=BB6_126 Depth=2
	v_mov_b32_e32 v18, v60
	v_bfe_u32 v3, v60, 23, 1
	v_mov_b32_e32 v19, v61
; %bb.1923:                             ;   in Loop: Header=BB6_126 Depth=2
	s_or_b64 exec, exec, s[22:23]
	v_lshrrev_b64 v[6:7], 20, v[18:19]
	v_cmp_gt_i32_e32 vcc, 16, v3
	v_cndmask_b32_e32 v7, 0, v7, vcc
	v_cndmask_b32_e32 v6, 7, v6, vcc
	v_cmp_eq_u32_e32 vcc, 0, v3
	v_min_i32_e32 v3, 15, v3
	v_cmp_eq_u64_e64 s[22:23], 0, v[6:7]
	v_lshlrev_b32_e32 v3, 3, v3
	v_and_b32_e32 v3, 0xf8, v3
	v_and_or_b32 v3, v6, 7, v3
	s_and_b64 s[22:23], vcc, s[22:23]
	v_cndmask_b32_e64 v3, v3, 0, s[22:23]
	v_or_b32_e32 v43, v3, v2
.LBB6_1924:                             ;   in Loop: Header=BB6_126 Depth=2
	s_or_b64 exec, exec, s[30:31]
                                        ; implicit-def: $vgpr2
.LBB6_1925:                             ;   in Loop: Header=BB6_126 Depth=2
	s_andn2_saveexec_b64 s[22:23], s[94:95]
; %bb.1926:                             ;   in Loop: Header=BB6_126 Depth=2
	v_or_b32_e32 v43, 0x7e, v2
; %bb.1927:                             ;   in Loop: Header=BB6_126 Depth=2
	s_or_b64 exec, exec, s[22:23]
                                        ; implicit-def: $vgpr3
.LBB6_1928:                             ;   in Loop: Header=BB6_126 Depth=2
	s_andn2_saveexec_b64 s[22:23], s[92:93]
; %bb.1929:                             ;   in Loop: Header=BB6_126 Depth=2
	v_or_b32_sdwa v43, v3, s54 dst_sel:DWORD dst_unused:UNUSED_PAD src0_sel:BYTE_3 src1_sel:DWORD
; %bb.1930:                             ;   in Loop: Header=BB6_126 Depth=2
	s_or_b64 exec, exec, s[22:23]
	v_lshrrev_b16_e32 v19, 8, v24
	v_lshrrev_b16_e32 v18, 8, v20
	v_cmp_ne_u16_e64 s[22:23], 0, v19
	s_and_b64 vcc, exec, s[20:21]
	s_mov_b64 s[92:93], -1
                                        ; implicit-def: $vgpr3
	s_cbranch_vccnz .LBB6_1944
; %bb.1931:                             ;   in Loop: Header=BB6_126 Depth=2
	v_mov_b32_e32 v3, 0
	v_mov_b32_e32 v2, 0
	s_and_saveexec_b64 s[92:93], s[22:23]
	s_cbranch_execz .LBB6_1937
; %bb.1932:                             ;   in Loop: Header=BB6_126 Depth=2
	v_cmp_ne_u16_e32 vcc, s53, v19
	v_bfrev_b32_e32 v2, 1
	s_and_saveexec_b64 s[94:95], vcc
	s_cbranch_execz .LBB6_1936
; %bb.1933:                             ;   in Loop: Header=BB6_126 Depth=2
	v_and_b32_e32 v4, 0x7f, v19
	v_cmp_ne_u32_e32 vcc, s54, v4
	v_mov_b32_e32 v2, 0x7f800001
	s_and_saveexec_b64 s[30:31], vcc
	s_cbranch_execz .LBB6_1935
; %bb.1934:                             ;   in Loop: Header=BB6_126 Depth=2
	v_and_b32_e32 v2, 7, v19
	v_lshrrev_b32_e32 v8, 3, v4
	v_cmp_gt_u32_e32 vcc, 8, v4
	v_ffbh_u32_e32 v4, v2
	v_min_u32_e32 v4, 32, v4
	v_subrev_u32_e32 v6, 28, v4
	v_lshlrev_b64 v[6:7], v6, v[19:20]
	v_sub_u32_e32 v4, 29, v4
	v_and_b32_e32 v6, 7, v6
	v_cndmask_b32_e32 v4, v8, v4, vcc
	v_cndmask_b32_e32 v2, v2, v6, vcc
	v_lshlrev_b32_e32 v6, 16, v24
	v_lshlrev_b32_e32 v2, 20, v2
	v_and_b32_e32 v6, 0x80000000, v6
	v_lshl_add_u32 v4, v4, 23, v62
	v_or3_b32 v2, v6, v4, v2
.LBB6_1935:                             ;   in Loop: Header=BB6_126 Depth=2
	s_or_b64 exec, exec, s[30:31]
.LBB6_1936:                             ;   in Loop: Header=BB6_126 Depth=2
	s_or_b64 exec, exec, s[94:95]
.LBB6_1937:                             ;   in Loop: Header=BB6_126 Depth=2
	s_or_b64 exec, exec, s[92:93]
	v_cmp_ne_u16_e32 vcc, 0, v18
	s_and_saveexec_b64 s[92:93], vcc
	s_cbranch_execz .LBB6_1943
; %bb.1938:                             ;   in Loop: Header=BB6_126 Depth=2
	v_cmp_ne_u16_e32 vcc, s53, v18
	v_bfrev_b32_e32 v3, 1
	s_and_saveexec_b64 s[94:95], vcc
	s_cbranch_execz .LBB6_1942
; %bb.1939:                             ;   in Loop: Header=BB6_126 Depth=2
	v_and_b32_e32 v4, 0x7f, v18
	v_cmp_ne_u32_e32 vcc, s54, v4
	v_mov_b32_e32 v3, 0x7f800001
	s_and_saveexec_b64 s[30:31], vcc
	s_cbranch_execz .LBB6_1941
; %bb.1940:                             ;   in Loop: Header=BB6_126 Depth=2
	v_and_b32_e32 v6, 7, v18
	v_ffbh_u32_e32 v3, v6
	v_min_u32_e32 v8, 32, v3
	v_subrev_u32_e32 v3, 28, v8
	v_lshrrev_b32_e32 v7, 3, v4
	v_cmp_gt_u32_e32 vcc, 8, v4
	v_lshlrev_b64 v[3:4], v3, v[18:19]
	v_sub_u32_e32 v4, 29, v8
	v_and_b32_e32 v3, 7, v3
	v_cndmask_b32_e32 v4, v7, v4, vcc
	v_cndmask_b32_e32 v3, v6, v3, vcc
	v_lshlrev_b32_e32 v6, 16, v20
	v_lshlrev_b32_e32 v3, 20, v3
	v_and_b32_e32 v6, 0x80000000, v6
	v_lshl_add_u32 v4, v4, 23, v62
	v_or3_b32 v3, v6, v4, v3
.LBB6_1941:                             ;   in Loop: Header=BB6_126 Depth=2
	s_or_b64 exec, exec, s[30:31]
.LBB6_1942:                             ;   in Loop: Header=BB6_126 Depth=2
	s_or_b64 exec, exec, s[94:95]
.LBB6_1943:                             ;   in Loop: Header=BB6_126 Depth=2
	s_or_b64 exec, exec, s[92:93]
	v_max_f32_e32 v3, v3, v3
	v_max_f32_e32 v2, v2, v2
	;; [unrolled: 1-line block ×3, first 2 shown]
	s_mov_b64 s[92:93], 0
.LBB6_1944:                             ;   in Loop: Header=BB6_126 Depth=2
	s_and_b64 vcc, exec, s[92:93]
	s_cbranch_vccz .LBB6_1958
; %bb.1945:                             ;   in Loop: Header=BB6_126 Depth=2
	v_mov_b32_e32 v3, 0
	v_mov_b32_e32 v2, 0
	s_and_saveexec_b64 s[92:93], s[22:23]
	s_cbranch_execz .LBB6_1951
; %bb.1946:                             ;   in Loop: Header=BB6_126 Depth=2
	v_cmp_ne_u16_e32 vcc, s53, v19
	v_bfrev_b32_e32 v2, 1
	s_and_saveexec_b64 s[22:23], vcc
	s_cbranch_execz .LBB6_1950
; %bb.1947:                             ;   in Loop: Header=BB6_126 Depth=2
	v_and_b32_e32 v4, 0x7f, v19
	v_cmp_ne_u32_e32 vcc, s54, v4
	v_mov_b32_e32 v2, 0x7f800001
	s_and_saveexec_b64 s[94:95], vcc
	s_cbranch_execz .LBB6_1949
; %bb.1948:                             ;   in Loop: Header=BB6_126 Depth=2
	v_and_b32_e32 v2, 7, v19
	v_lshrrev_b32_e32 v8, 3, v4
	v_cmp_gt_u32_e32 vcc, 8, v4
	v_ffbh_u32_e32 v4, v2
	v_min_u32_e32 v4, 32, v4
	v_subrev_u32_e32 v6, 28, v4
	v_lshlrev_b64 v[6:7], v6, v[19:20]
	v_sub_u32_e32 v4, 29, v4
	v_and_b32_e32 v6, 7, v6
	v_cndmask_b32_e32 v4, v8, v4, vcc
	v_cndmask_b32_e32 v2, v2, v6, vcc
	v_lshlrev_b32_e32 v6, 16, v24
	v_lshlrev_b32_e32 v2, 20, v2
	v_and_b32_e32 v6, 0x80000000, v6
	v_lshl_add_u32 v4, v4, 23, v62
	v_or3_b32 v2, v6, v4, v2
.LBB6_1949:                             ;   in Loop: Header=BB6_126 Depth=2
	s_or_b64 exec, exec, s[94:95]
.LBB6_1950:                             ;   in Loop: Header=BB6_126 Depth=2
	s_or_b64 exec, exec, s[22:23]
.LBB6_1951:                             ;   in Loop: Header=BB6_126 Depth=2
	s_or_b64 exec, exec, s[92:93]
	v_cmp_ne_u16_e32 vcc, 0, v18
	s_and_saveexec_b64 s[22:23], vcc
	s_cbranch_execz .LBB6_1957
; %bb.1952:                             ;   in Loop: Header=BB6_126 Depth=2
	v_cmp_ne_u16_e32 vcc, s53, v18
	v_bfrev_b32_e32 v3, 1
	s_and_saveexec_b64 s[92:93], vcc
	s_cbranch_execz .LBB6_1956
; %bb.1953:                             ;   in Loop: Header=BB6_126 Depth=2
	v_and_b32_e32 v4, 0x7f, v18
	v_cmp_ne_u32_e32 vcc, s54, v4
	v_mov_b32_e32 v3, 0x7f800001
	s_and_saveexec_b64 s[94:95], vcc
	s_cbranch_execz .LBB6_1955
; %bb.1954:                             ;   in Loop: Header=BB6_126 Depth=2
	v_and_b32_e32 v6, 7, v18
	v_ffbh_u32_e32 v3, v6
	v_min_u32_e32 v8, 32, v3
	v_subrev_u32_e32 v3, 28, v8
	v_lshrrev_b32_e32 v7, 3, v4
	v_cmp_gt_u32_e32 vcc, 8, v4
	v_lshlrev_b64 v[3:4], v3, v[18:19]
	v_sub_u32_e32 v4, 29, v8
	v_and_b32_e32 v3, 7, v3
	v_cndmask_b32_e32 v4, v7, v4, vcc
	v_cndmask_b32_e32 v3, v6, v3, vcc
	v_lshlrev_b32_e32 v6, 16, v20
	v_lshlrev_b32_e32 v3, 20, v3
	v_and_b32_e32 v6, 0x80000000, v6
	v_lshl_add_u32 v4, v4, 23, v62
	v_or3_b32 v3, v6, v4, v3
.LBB6_1955:                             ;   in Loop: Header=BB6_126 Depth=2
	s_or_b64 exec, exec, s[94:95]
.LBB6_1956:                             ;   in Loop: Header=BB6_126 Depth=2
	s_or_b64 exec, exec, s[92:93]
.LBB6_1957:                             ;   in Loop: Header=BB6_126 Depth=2
	s_or_b64 exec, exec, s[22:23]
	v_max_f32_e32 v3, v3, v3
	v_max_f32_e32 v2, v2, v2
	v_min_f32_e32 v3, v2, v3
.LBB6_1958:                             ;   in Loop: Header=BB6_126 Depth=2
	v_and_b32_e32 v60, 0x7f800000, v3
	v_cmp_ne_u64_e32 vcc, s[72:73], v[60:61]
	v_mov_b32_e32 v50, v29
	v_mov_b32_e32 v29, v30
	;; [unrolled: 1-line block ×3, first 2 shown]
                                        ; implicit-def: $vgpr54
	s_and_saveexec_b64 s[22:23], vcc
	s_xor_b64 s[92:93], exec, s[22:23]
	s_cbranch_execz .LBB6_1972
; %bb.1959:                             ;   in Loop: Header=BB6_126 Depth=2
	v_and_b32_e32 v60, 0x7fffffff, v3
	v_cmp_gt_u64_e32 vcc, s[74:75], v[60:61]
	v_and_b32_sdwa v2, v3, s53 dst_sel:DWORD dst_unused:UNUSED_PAD src0_sel:BYTE_3 src1_sel:DWORD
                                        ; implicit-def: $vgpr54
	s_and_saveexec_b64 s[22:23], vcc
	s_xor_b64 s[94:95], exec, s[22:23]
	s_cbranch_execz .LBB6_1969
; %bb.1960:                             ;   in Loop: Header=BB6_126 Depth=2
	v_mov_b32_e32 v54, 0
	v_cmp_ne_u32_e32 vcc, 0, v3
	s_and_saveexec_b64 s[30:31], vcc
	s_cbranch_execz .LBB6_1968
; %bb.1961:                             ;   in Loop: Header=BB6_126 Depth=2
	v_and_b32_e32 v6, 0x7fffff, v3
	v_bfe_u32 v3, v3, 23, 8
	v_cmp_gt_u32_e64 s[22:23], s64, v3
	v_sub_u32_e32 v4, 0x79, v3
	v_cmp_eq_u32_e32 vcc, 0, v3
	v_cndmask_b32_e64 v4, 0, v4, s[22:23]
	v_mov_b32_e32 v8, 0x78
	v_or_b32_e32 v7, 0x800000, v6
	v_cndmask_b32_e32 v4, v4, v8, vcc
	v_cndmask_b32_e32 v60, v7, v6, vcc
	v_add_u32_e32 v6, 20, v4
	v_lshlrev_b64 v[6:7], v6, -1
	v_add_u32_e32 v8, 19, v4
	v_lshlrev_b64 v[8:9], v8, 1
	v_lshrrev_b64 v[18:19], v4, v[60:61]
	v_bfi_b32 v7, v7, 0, 0
	v_bfi_b32 v6, v6, 0, v60
	v_cmp_eq_u64_e64 s[22:23], v[6:7], v[8:9]
	v_mov_b32_e32 v23, v19
	v_mov_b32_e32 v22, v18
	s_and_saveexec_b64 s[34:35], s[22:23]
; %bb.1962:                             ;   in Loop: Header=BB6_126 Depth=2
	v_bfe_u32 v6, v18, 20, 1
	v_add_co_u32_e64 v6, s[22:23], v18, v6
	v_add_co_u32_e64 v22, s[22:23], -1, v6
; %bb.1963:                             ;   in Loop: Header=BB6_126 Depth=2
	s_or_b64 exec, exec, s[34:35]
	v_add_u32_e32 v3, 0xffffff81, v3
	v_cndmask_b32_e32 v3, v3, v41, vcc
	v_lshrrev_b32_e32 v6, 23, v18
	v_add3_u32 v6, v4, v3, v6
	v_add_u32_e32 v4, 6, v6
	v_and_b32_e32 v3, 0xfffff, v22
	v_add_u32_e32 v60, v3, v18
	v_cmp_ne_u32_e32 vcc, 0, v4
                                        ; implicit-def: $vgpr18_vgpr19
                                        ; implicit-def: $vgpr3
	s_and_saveexec_b64 s[22:23], vcc
	s_xor_b64 s[22:23], exec, s[22:23]
; %bb.1964:                             ;   in Loop: Header=BB6_126 Depth=2
	v_cmp_lt_u64_e32 vcc, s[76:77], v[60:61]
	v_add_u32_e32 v3, 7, v6
	v_cndmask_b32_e32 v3, v4, v3, vcc
	v_cndmask_b32_e64 v4, 0, 1, vcc
	v_lshrrev_b64 v[18:19], v4, v[60:61]
; %bb.1965:                             ;   in Loop: Header=BB6_126 Depth=2
	s_andn2_saveexec_b64 s[22:23], s[22:23]
; %bb.1966:                             ;   in Loop: Header=BB6_126 Depth=2
	v_mov_b32_e32 v18, v60
	v_bfe_u32 v3, v60, 23, 1
	v_mov_b32_e32 v19, v61
; %bb.1967:                             ;   in Loop: Header=BB6_126 Depth=2
	s_or_b64 exec, exec, s[22:23]
	v_lshrrev_b64 v[6:7], 20, v[18:19]
	v_cmp_gt_i32_e32 vcc, 16, v3
	v_cndmask_b32_e32 v7, 0, v7, vcc
	v_cndmask_b32_e32 v6, 7, v6, vcc
	v_cmp_eq_u32_e32 vcc, 0, v3
	v_min_i32_e32 v3, 15, v3
	v_cmp_eq_u64_e64 s[22:23], 0, v[6:7]
	v_lshlrev_b32_e32 v3, 3, v3
	v_and_b32_e32 v3, 0xf8, v3
	v_and_or_b32 v3, v6, 7, v3
	s_and_b64 s[22:23], vcc, s[22:23]
	v_cndmask_b32_e64 v3, v3, 0, s[22:23]
	v_or_b32_e32 v54, v3, v2
.LBB6_1968:                             ;   in Loop: Header=BB6_126 Depth=2
	s_or_b64 exec, exec, s[30:31]
                                        ; implicit-def: $vgpr2
.LBB6_1969:                             ;   in Loop: Header=BB6_126 Depth=2
	s_andn2_saveexec_b64 s[22:23], s[94:95]
; %bb.1970:                             ;   in Loop: Header=BB6_126 Depth=2
	v_or_b32_e32 v54, 0x7e, v2
; %bb.1971:                             ;   in Loop: Header=BB6_126 Depth=2
	s_or_b64 exec, exec, s[22:23]
                                        ; implicit-def: $vgpr3
.LBB6_1972:                             ;   in Loop: Header=BB6_126 Depth=2
	s_andn2_saveexec_b64 s[22:23], s[92:93]
; %bb.1973:                             ;   in Loop: Header=BB6_126 Depth=2
	v_or_b32_sdwa v54, v3, s54 dst_sel:DWORD dst_unused:UNUSED_PAD src0_sel:BYTE_3 src1_sel:DWORD
; %bb.1974:                             ;   in Loop: Header=BB6_126 Depth=2
	s_or_b64 exec, exec, s[22:23]
	v_lshrrev_b32_e32 v19, 16, v24
	v_lshrrev_b32_e32 v18, 16, v20
	v_cmp_ne_u16_sdwa s[22:23], v19, v61 src0_sel:BYTE_0 src1_sel:DWORD
	s_and_b64 vcc, exec, s[20:21]
	s_mov_b64 s[92:93], -1
                                        ; implicit-def: $vgpr3
	s_cbranch_vccnz .LBB6_1988
; %bb.1975:                             ;   in Loop: Header=BB6_126 Depth=2
	v_mov_b32_e32 v3, 0
	v_mov_b32_e32 v2, 0
	s_and_saveexec_b64 s[92:93], s[22:23]
	s_cbranch_execz .LBB6_1981
; %bb.1976:                             ;   in Loop: Header=BB6_126 Depth=2
	v_cmp_ne_u16_sdwa vcc, v19, s53 src0_sel:BYTE_0 src1_sel:DWORD
	v_bfrev_b32_e32 v2, 1
	s_and_saveexec_b64 s[94:95], vcc
	s_cbranch_execz .LBB6_1980
; %bb.1977:                             ;   in Loop: Header=BB6_126 Depth=2
	v_bfe_u32 v4, v24, 16, 7
	v_cmp_ne_u32_e32 vcc, s54, v4
	v_mov_b32_e32 v2, 0x7f800001
	s_and_saveexec_b64 s[30:31], vcc
	s_cbranch_execz .LBB6_1979
; %bb.1978:                             ;   in Loop: Header=BB6_126 Depth=2
	v_and_b32_e32 v2, 7, v19
	v_lshrrev_b32_e32 v8, 3, v4
	v_cmp_gt_u32_e32 vcc, 8, v4
	v_ffbh_u32_e32 v4, v2
	v_min_u32_e32 v4, 32, v4
	v_subrev_u32_e32 v6, 28, v4
	v_lshlrev_b64 v[6:7], v6, v[19:20]
	v_sub_u32_e32 v4, 29, v4
	v_and_b32_e32 v6, 7, v6
	v_cndmask_b32_e32 v4, v8, v4, vcc
	v_cndmask_b32_e32 v2, v2, v6, vcc
	v_lshlrev_b32_e32 v6, 24, v19
	v_lshlrev_b32_e32 v2, 20, v2
	v_and_b32_e32 v6, 0x80000000, v6
	v_lshl_add_u32 v4, v4, 23, v62
	v_or3_b32 v2, v6, v4, v2
.LBB6_1979:                             ;   in Loop: Header=BB6_126 Depth=2
	s_or_b64 exec, exec, s[30:31]
.LBB6_1980:                             ;   in Loop: Header=BB6_126 Depth=2
	s_or_b64 exec, exec, s[94:95]
.LBB6_1981:                             ;   in Loop: Header=BB6_126 Depth=2
	s_or_b64 exec, exec, s[92:93]
	v_cmp_ne_u16_sdwa s[94:95], v18, v61 src0_sel:BYTE_0 src1_sel:DWORD
	s_and_saveexec_b64 s[92:93], s[94:95]
	s_cbranch_execz .LBB6_1987
; %bb.1982:                             ;   in Loop: Header=BB6_126 Depth=2
	v_cmp_ne_u16_sdwa vcc, v18, s53 src0_sel:BYTE_0 src1_sel:DWORD
	v_bfrev_b32_e32 v3, 1
	s_and_saveexec_b64 s[94:95], vcc
	s_cbranch_execz .LBB6_1986
; %bb.1983:                             ;   in Loop: Header=BB6_126 Depth=2
	v_bfe_u32 v4, v20, 16, 7
	v_cmp_ne_u32_e32 vcc, s54, v4
	v_mov_b32_e32 v3, 0x7f800001
	s_and_saveexec_b64 s[30:31], vcc
	s_cbranch_execz .LBB6_1985
; %bb.1984:                             ;   in Loop: Header=BB6_126 Depth=2
	v_and_b32_e32 v6, 7, v18
	v_ffbh_u32_e32 v3, v6
	v_min_u32_e32 v8, 32, v3
	v_subrev_u32_e32 v3, 28, v8
	v_lshrrev_b32_e32 v7, 3, v4
	v_cmp_gt_u32_e32 vcc, 8, v4
	v_lshlrev_b64 v[3:4], v3, v[18:19]
	v_sub_u32_e32 v4, 29, v8
	v_and_b32_e32 v3, 7, v3
	v_cndmask_b32_e32 v4, v7, v4, vcc
	v_cndmask_b32_e32 v3, v6, v3, vcc
	v_lshlrev_b32_e32 v6, 24, v18
	v_lshlrev_b32_e32 v3, 20, v3
	v_and_b32_e32 v6, 0x80000000, v6
	v_lshl_add_u32 v4, v4, 23, v62
	v_or3_b32 v3, v6, v4, v3
.LBB6_1985:                             ;   in Loop: Header=BB6_126 Depth=2
	s_or_b64 exec, exec, s[30:31]
.LBB6_1986:                             ;   in Loop: Header=BB6_126 Depth=2
	s_or_b64 exec, exec, s[94:95]
.LBB6_1987:                             ;   in Loop: Header=BB6_126 Depth=2
	s_or_b64 exec, exec, s[92:93]
	v_max_f32_e32 v3, v3, v3
	v_max_f32_e32 v2, v2, v2
	;; [unrolled: 1-line block ×3, first 2 shown]
	s_mov_b64 s[92:93], 0
.LBB6_1988:                             ;   in Loop: Header=BB6_126 Depth=2
	s_and_b64 vcc, exec, s[92:93]
	s_cbranch_vccz .LBB6_2002
; %bb.1989:                             ;   in Loop: Header=BB6_126 Depth=2
	v_mov_b32_e32 v3, 0
	v_mov_b32_e32 v2, 0
	s_and_saveexec_b64 s[92:93], s[22:23]
	s_cbranch_execz .LBB6_1995
; %bb.1990:                             ;   in Loop: Header=BB6_126 Depth=2
	v_cmp_ne_u16_sdwa s[94:95], v19, s53 src0_sel:BYTE_0 src1_sel:DWORD
	v_bfrev_b32_e32 v2, 1
	s_and_saveexec_b64 s[22:23], s[94:95]
	s_cbranch_execz .LBB6_1994
; %bb.1991:                             ;   in Loop: Header=BB6_126 Depth=2
	v_bfe_u32 v4, v24, 16, 7
	v_cmp_ne_u32_e32 vcc, s54, v4
	v_mov_b32_e32 v2, 0x7f800001
	s_and_saveexec_b64 s[94:95], vcc
	s_cbranch_execz .LBB6_1993
; %bb.1992:                             ;   in Loop: Header=BB6_126 Depth=2
	v_and_b32_e32 v2, 7, v19
	v_lshrrev_b32_e32 v8, 3, v4
	v_cmp_gt_u32_e32 vcc, 8, v4
	v_ffbh_u32_e32 v4, v2
	v_min_u32_e32 v4, 32, v4
	v_subrev_u32_e32 v6, 28, v4
	v_lshlrev_b64 v[6:7], v6, v[19:20]
	v_sub_u32_e32 v4, 29, v4
	v_and_b32_e32 v6, 7, v6
	v_cndmask_b32_e32 v4, v8, v4, vcc
	v_cndmask_b32_e32 v2, v2, v6, vcc
	v_lshlrev_b32_e32 v6, 24, v19
	v_lshlrev_b32_e32 v2, 20, v2
	v_and_b32_e32 v6, 0x80000000, v6
	v_lshl_add_u32 v4, v4, 23, v62
	v_or3_b32 v2, v6, v4, v2
.LBB6_1993:                             ;   in Loop: Header=BB6_126 Depth=2
	s_or_b64 exec, exec, s[94:95]
.LBB6_1994:                             ;   in Loop: Header=BB6_126 Depth=2
	s_or_b64 exec, exec, s[22:23]
.LBB6_1995:                             ;   in Loop: Header=BB6_126 Depth=2
	s_or_b64 exec, exec, s[92:93]
	v_cmp_ne_u16_sdwa s[92:93], v18, v61 src0_sel:BYTE_0 src1_sel:DWORD
	s_and_saveexec_b64 s[22:23], s[92:93]
	s_cbranch_execz .LBB6_2001
; %bb.1996:                             ;   in Loop: Header=BB6_126 Depth=2
	v_cmp_ne_u16_sdwa s[94:95], v18, s53 src0_sel:BYTE_0 src1_sel:DWORD
	v_bfrev_b32_e32 v3, 1
	s_and_saveexec_b64 s[92:93], s[94:95]
	s_cbranch_execz .LBB6_2000
; %bb.1997:                             ;   in Loop: Header=BB6_126 Depth=2
	v_bfe_u32 v4, v20, 16, 7
	v_cmp_ne_u32_e32 vcc, s54, v4
	v_mov_b32_e32 v3, 0x7f800001
	s_and_saveexec_b64 s[94:95], vcc
	s_cbranch_execz .LBB6_1999
; %bb.1998:                             ;   in Loop: Header=BB6_126 Depth=2
	v_and_b32_e32 v6, 7, v18
	v_ffbh_u32_e32 v3, v6
	v_min_u32_e32 v8, 32, v3
	v_subrev_u32_e32 v3, 28, v8
	v_lshrrev_b32_e32 v7, 3, v4
	v_cmp_gt_u32_e32 vcc, 8, v4
	v_lshlrev_b64 v[3:4], v3, v[18:19]
	v_sub_u32_e32 v4, 29, v8
	v_and_b32_e32 v3, 7, v3
	v_cndmask_b32_e32 v4, v7, v4, vcc
	v_cndmask_b32_e32 v3, v6, v3, vcc
	v_lshlrev_b32_e32 v6, 24, v18
	v_lshlrev_b32_e32 v3, 20, v3
	v_and_b32_e32 v6, 0x80000000, v6
	v_lshl_add_u32 v4, v4, 23, v62
	v_or3_b32 v3, v6, v4, v3
.LBB6_1999:                             ;   in Loop: Header=BB6_126 Depth=2
	s_or_b64 exec, exec, s[94:95]
.LBB6_2000:                             ;   in Loop: Header=BB6_126 Depth=2
	s_or_b64 exec, exec, s[92:93]
.LBB6_2001:                             ;   in Loop: Header=BB6_126 Depth=2
	s_or_b64 exec, exec, s[22:23]
	v_max_f32_e32 v3, v3, v3
	v_max_f32_e32 v2, v2, v2
	v_min_f32_e32 v3, v2, v3
.LBB6_2002:                             ;   in Loop: Header=BB6_126 Depth=2
	v_and_b32_e32 v60, 0x7f800000, v3
	v_cmp_ne_u64_e32 vcc, s[72:73], v[60:61]
	v_mov_b32_e32 v47, v38
                                        ; implicit-def: $vgpr38
	s_and_saveexec_b64 s[22:23], vcc
	s_xor_b64 s[92:93], exec, s[22:23]
	s_cbranch_execz .LBB6_2016
; %bb.2003:                             ;   in Loop: Header=BB6_126 Depth=2
	v_and_b32_e32 v60, 0x7fffffff, v3
	v_cmp_gt_u64_e32 vcc, s[74:75], v[60:61]
	v_and_b32_sdwa v2, v3, s53 dst_sel:DWORD dst_unused:UNUSED_PAD src0_sel:BYTE_3 src1_sel:DWORD
                                        ; implicit-def: $vgpr38
	s_and_saveexec_b64 s[22:23], vcc
	s_xor_b64 s[94:95], exec, s[22:23]
	s_cbranch_execz .LBB6_2013
; %bb.2004:                             ;   in Loop: Header=BB6_126 Depth=2
	v_mov_b32_e32 v38, 0
	v_cmp_ne_u32_e32 vcc, 0, v3
	s_and_saveexec_b64 s[30:31], vcc
	s_cbranch_execz .LBB6_2012
; %bb.2005:                             ;   in Loop: Header=BB6_126 Depth=2
	v_and_b32_e32 v6, 0x7fffff, v3
	v_bfe_u32 v3, v3, 23, 8
	v_cmp_gt_u32_e64 s[22:23], s64, v3
	v_sub_u32_e32 v4, 0x79, v3
	v_cmp_eq_u32_e32 vcc, 0, v3
	v_cndmask_b32_e64 v4, 0, v4, s[22:23]
	v_mov_b32_e32 v8, 0x78
	v_or_b32_e32 v7, 0x800000, v6
	v_cndmask_b32_e32 v4, v4, v8, vcc
	v_cndmask_b32_e32 v60, v7, v6, vcc
	v_add_u32_e32 v6, 20, v4
	v_lshlrev_b64 v[6:7], v6, -1
	v_add_u32_e32 v8, 19, v4
	v_lshlrev_b64 v[8:9], v8, 1
	v_lshrrev_b64 v[18:19], v4, v[60:61]
	v_bfi_b32 v7, v7, 0, 0
	v_bfi_b32 v6, v6, 0, v60
	v_cmp_eq_u64_e64 s[22:23], v[6:7], v[8:9]
	v_mov_b32_e32 v23, v19
	v_mov_b32_e32 v22, v18
	s_and_saveexec_b64 s[34:35], s[22:23]
; %bb.2006:                             ;   in Loop: Header=BB6_126 Depth=2
	v_bfe_u32 v6, v18, 20, 1
	v_add_co_u32_e64 v6, s[22:23], v18, v6
	v_add_co_u32_e64 v22, s[22:23], -1, v6
; %bb.2007:                             ;   in Loop: Header=BB6_126 Depth=2
	s_or_b64 exec, exec, s[34:35]
	v_add_u32_e32 v3, 0xffffff81, v3
	v_cndmask_b32_e32 v3, v3, v41, vcc
	v_lshrrev_b32_e32 v6, 23, v18
	v_add3_u32 v6, v4, v3, v6
	v_add_u32_e32 v4, 6, v6
	v_and_b32_e32 v3, 0xfffff, v22
	v_add_u32_e32 v60, v3, v18
	v_cmp_ne_u32_e32 vcc, 0, v4
                                        ; implicit-def: $vgpr18_vgpr19
                                        ; implicit-def: $vgpr3
	s_and_saveexec_b64 s[22:23], vcc
	s_xor_b64 s[22:23], exec, s[22:23]
; %bb.2008:                             ;   in Loop: Header=BB6_126 Depth=2
	v_cmp_lt_u64_e32 vcc, s[76:77], v[60:61]
	v_add_u32_e32 v3, 7, v6
	v_cndmask_b32_e32 v3, v4, v3, vcc
	v_cndmask_b32_e64 v4, 0, 1, vcc
	v_lshrrev_b64 v[18:19], v4, v[60:61]
; %bb.2009:                             ;   in Loop: Header=BB6_126 Depth=2
	s_andn2_saveexec_b64 s[22:23], s[22:23]
; %bb.2010:                             ;   in Loop: Header=BB6_126 Depth=2
	v_mov_b32_e32 v18, v60
	v_bfe_u32 v3, v60, 23, 1
	v_mov_b32_e32 v19, v61
; %bb.2011:                             ;   in Loop: Header=BB6_126 Depth=2
	s_or_b64 exec, exec, s[22:23]
	v_lshrrev_b64 v[6:7], 20, v[18:19]
	v_cmp_gt_i32_e32 vcc, 16, v3
	v_cndmask_b32_e32 v7, 0, v7, vcc
	v_cndmask_b32_e32 v6, 7, v6, vcc
	v_cmp_eq_u32_e32 vcc, 0, v3
	v_min_i32_e32 v3, 15, v3
	v_cmp_eq_u64_e64 s[22:23], 0, v[6:7]
	v_lshlrev_b32_e32 v3, 3, v3
	v_and_b32_e32 v3, 0xf8, v3
	v_and_or_b32 v3, v6, 7, v3
	s_and_b64 s[22:23], vcc, s[22:23]
	v_cndmask_b32_e64 v3, v3, 0, s[22:23]
	v_or_b32_e32 v38, v3, v2
.LBB6_2012:                             ;   in Loop: Header=BB6_126 Depth=2
	s_or_b64 exec, exec, s[30:31]
                                        ; implicit-def: $vgpr2
.LBB6_2013:                             ;   in Loop: Header=BB6_126 Depth=2
	s_andn2_saveexec_b64 s[22:23], s[94:95]
; %bb.2014:                             ;   in Loop: Header=BB6_126 Depth=2
	v_or_b32_e32 v38, 0x7e, v2
; %bb.2015:                             ;   in Loop: Header=BB6_126 Depth=2
	s_or_b64 exec, exec, s[22:23]
                                        ; implicit-def: $vgpr3
.LBB6_2016:                             ;   in Loop: Header=BB6_126 Depth=2
	s_andn2_saveexec_b64 s[22:23], s[92:93]
; %bb.2017:                             ;   in Loop: Header=BB6_126 Depth=2
	v_or_b32_sdwa v38, v3, s54 dst_sel:DWORD dst_unused:UNUSED_PAD src0_sel:BYTE_3 src1_sel:DWORD
; %bb.2018:                             ;   in Loop: Header=BB6_126 Depth=2
	s_or_b64 exec, exec, s[22:23]
	v_lshrrev_b32_e32 v19, 24, v24
	v_lshrrev_b32_e32 v18, 24, v20
	v_cmp_lt_u32_e64 s[22:23], s79, v24
	s_and_b64 vcc, exec, s[20:21]
	s_mov_b64 s[92:93], -1
                                        ; implicit-def: $vgpr3
	s_cbranch_vccnz .LBB6_2032
; %bb.2019:                             ;   in Loop: Header=BB6_126 Depth=2
	v_mov_b32_e32 v3, 0
	v_mov_b32_e32 v2, 0
	s_and_saveexec_b64 s[92:93], s[22:23]
	s_cbranch_execz .LBB6_2025
; %bb.2020:                             ;   in Loop: Header=BB6_126 Depth=2
	v_cmp_ne_u32_e32 vcc, s53, v19
	v_bfrev_b32_e32 v2, 1
	s_and_saveexec_b64 s[94:95], vcc
	s_cbranch_execz .LBB6_2024
; %bb.2021:                             ;   in Loop: Header=BB6_126 Depth=2
	v_bfe_u32 v4, v24, 24, 7
	v_cmp_ne_u32_e32 vcc, s54, v4
	v_mov_b32_e32 v2, 0x7f800001
	s_and_saveexec_b64 s[30:31], vcc
	s_cbranch_execz .LBB6_2023
; %bb.2022:                             ;   in Loop: Header=BB6_126 Depth=2
	v_and_b32_e32 v2, 7, v19
	v_lshrrev_b32_e32 v8, 3, v4
	v_cmp_gt_u32_e32 vcc, 8, v4
	v_ffbh_u32_e32 v4, v2
	v_min_u32_e32 v4, 32, v4
	v_subrev_u32_e32 v6, 28, v4
	v_lshlrev_b64 v[6:7], v6, v[19:20]
	v_sub_u32_e32 v4, 29, v4
	v_and_b32_e32 v6, 7, v6
	v_cndmask_b32_e32 v4, v8, v4, vcc
	v_cndmask_b32_e32 v2, v2, v6, vcc
	v_lshlrev_b32_e32 v6, 24, v19
	v_lshlrev_b32_e32 v2, 20, v2
	v_and_b32_e32 v6, 0x80000000, v6
	v_lshl_add_u32 v4, v4, 23, v62
	v_or3_b32 v2, v6, v4, v2
.LBB6_2023:                             ;   in Loop: Header=BB6_126 Depth=2
	s_or_b64 exec, exec, s[30:31]
.LBB6_2024:                             ;   in Loop: Header=BB6_126 Depth=2
	s_or_b64 exec, exec, s[94:95]
.LBB6_2025:                             ;   in Loop: Header=BB6_126 Depth=2
	s_or_b64 exec, exec, s[92:93]
	v_cmp_lt_u32_e32 vcc, s79, v20
	s_and_saveexec_b64 s[92:93], vcc
	s_cbranch_execz .LBB6_2031
; %bb.2026:                             ;   in Loop: Header=BB6_126 Depth=2
	v_cmp_ne_u32_e32 vcc, s53, v18
	v_bfrev_b32_e32 v3, 1
	s_and_saveexec_b64 s[94:95], vcc
	s_cbranch_execz .LBB6_2030
; %bb.2027:                             ;   in Loop: Header=BB6_126 Depth=2
	v_bfe_u32 v4, v20, 24, 7
	v_cmp_ne_u32_e32 vcc, s54, v4
	v_mov_b32_e32 v3, 0x7f800001
	s_and_saveexec_b64 s[30:31], vcc
	s_cbranch_execz .LBB6_2029
; %bb.2028:                             ;   in Loop: Header=BB6_126 Depth=2
	v_and_b32_e32 v6, 7, v18
	v_ffbh_u32_e32 v3, v6
	v_min_u32_e32 v8, 32, v3
	v_subrev_u32_e32 v3, 28, v8
	v_lshrrev_b32_e32 v7, 3, v4
	v_cmp_gt_u32_e32 vcc, 8, v4
	v_lshlrev_b64 v[3:4], v3, v[18:19]
	v_sub_u32_e32 v4, 29, v8
	v_and_b32_e32 v3, 7, v3
	v_cndmask_b32_e32 v4, v7, v4, vcc
	v_cndmask_b32_e32 v3, v6, v3, vcc
	v_lshlrev_b32_e32 v6, 24, v18
	v_lshlrev_b32_e32 v3, 20, v3
	v_and_b32_e32 v6, 0x80000000, v6
	v_lshl_add_u32 v4, v4, 23, v62
	v_or3_b32 v3, v6, v4, v3
.LBB6_2029:                             ;   in Loop: Header=BB6_126 Depth=2
	s_or_b64 exec, exec, s[30:31]
.LBB6_2030:                             ;   in Loop: Header=BB6_126 Depth=2
	s_or_b64 exec, exec, s[94:95]
.LBB6_2031:                             ;   in Loop: Header=BB6_126 Depth=2
	s_or_b64 exec, exec, s[92:93]
	v_max_f32_e32 v3, v3, v3
	v_max_f32_e32 v2, v2, v2
	;; [unrolled: 1-line block ×3, first 2 shown]
	s_mov_b64 s[92:93], 0
.LBB6_2032:                             ;   in Loop: Header=BB6_126 Depth=2
	s_and_b64 vcc, exec, s[92:93]
	s_cbranch_vccz .LBB6_2046
; %bb.2033:                             ;   in Loop: Header=BB6_126 Depth=2
	v_mov_b32_e32 v3, 0
	v_mov_b32_e32 v2, 0
	s_and_saveexec_b64 s[92:93], s[22:23]
	s_cbranch_execz .LBB6_2039
; %bb.2034:                             ;   in Loop: Header=BB6_126 Depth=2
	v_cmp_ne_u32_e32 vcc, s53, v19
	v_bfrev_b32_e32 v2, 1
	s_and_saveexec_b64 s[22:23], vcc
	s_cbranch_execz .LBB6_2038
; %bb.2035:                             ;   in Loop: Header=BB6_126 Depth=2
	v_bfe_u32 v4, v24, 24, 7
	v_cmp_ne_u32_e32 vcc, s54, v4
	v_mov_b32_e32 v2, 0x7f800001
	s_and_saveexec_b64 s[94:95], vcc
	s_cbranch_execz .LBB6_2037
; %bb.2036:                             ;   in Loop: Header=BB6_126 Depth=2
	v_and_b32_e32 v2, 7, v19
	v_lshrrev_b32_e32 v8, 3, v4
	v_cmp_gt_u32_e32 vcc, 8, v4
	v_ffbh_u32_e32 v4, v2
	v_min_u32_e32 v4, 32, v4
	v_subrev_u32_e32 v6, 28, v4
	v_lshlrev_b64 v[6:7], v6, v[19:20]
	v_sub_u32_e32 v4, 29, v4
	v_and_b32_e32 v6, 7, v6
	v_cndmask_b32_e32 v4, v8, v4, vcc
	v_cndmask_b32_e32 v2, v2, v6, vcc
	v_lshlrev_b32_e32 v6, 24, v19
	v_lshlrev_b32_e32 v2, 20, v2
	v_and_b32_e32 v6, 0x80000000, v6
	v_lshl_add_u32 v4, v4, 23, v62
	v_or3_b32 v2, v6, v4, v2
.LBB6_2037:                             ;   in Loop: Header=BB6_126 Depth=2
	s_or_b64 exec, exec, s[94:95]
.LBB6_2038:                             ;   in Loop: Header=BB6_126 Depth=2
	s_or_b64 exec, exec, s[22:23]
.LBB6_2039:                             ;   in Loop: Header=BB6_126 Depth=2
	s_or_b64 exec, exec, s[92:93]
	v_cmp_lt_u32_e32 vcc, s79, v20
	s_and_saveexec_b64 s[22:23], vcc
	s_cbranch_execz .LBB6_2045
; %bb.2040:                             ;   in Loop: Header=BB6_126 Depth=2
	v_cmp_ne_u32_e32 vcc, s53, v18
	v_bfrev_b32_e32 v3, 1
	s_and_saveexec_b64 s[92:93], vcc
	s_cbranch_execz .LBB6_2044
; %bb.2041:                             ;   in Loop: Header=BB6_126 Depth=2
	v_bfe_u32 v4, v20, 24, 7
	v_cmp_ne_u32_e32 vcc, s54, v4
	v_mov_b32_e32 v3, 0x7f800001
	s_and_saveexec_b64 s[94:95], vcc
	s_cbranch_execz .LBB6_2043
; %bb.2042:                             ;   in Loop: Header=BB6_126 Depth=2
	v_and_b32_e32 v6, 7, v18
	v_ffbh_u32_e32 v3, v6
	v_min_u32_e32 v8, 32, v3
	v_subrev_u32_e32 v3, 28, v8
	v_lshrrev_b32_e32 v7, 3, v4
	v_cmp_gt_u32_e32 vcc, 8, v4
	v_lshlrev_b64 v[3:4], v3, v[18:19]
	v_sub_u32_e32 v4, 29, v8
	v_and_b32_e32 v3, 7, v3
	v_cndmask_b32_e32 v4, v7, v4, vcc
	v_cndmask_b32_e32 v3, v6, v3, vcc
	v_lshlrev_b32_e32 v6, 24, v18
	v_lshlrev_b32_e32 v3, 20, v3
	v_and_b32_e32 v6, 0x80000000, v6
	v_lshl_add_u32 v4, v4, 23, v62
	v_or3_b32 v3, v6, v4, v3
.LBB6_2043:                             ;   in Loop: Header=BB6_126 Depth=2
	s_or_b64 exec, exec, s[94:95]
.LBB6_2044:                             ;   in Loop: Header=BB6_126 Depth=2
	s_or_b64 exec, exec, s[92:93]
.LBB6_2045:                             ;   in Loop: Header=BB6_126 Depth=2
	s_or_b64 exec, exec, s[22:23]
	v_max_f32_e32 v3, v3, v3
	v_max_f32_e32 v2, v2, v2
	v_min_f32_e32 v3, v2, v3
.LBB6_2046:                             ;   in Loop: Header=BB6_126 Depth=2
	v_and_b32_e32 v60, 0x7f800000, v3
	v_cmp_ne_u64_e32 vcc, s[72:73], v[60:61]
                                        ; implicit-def: $vgpr4
	s_and_saveexec_b64 s[22:23], vcc
	s_xor_b64 s[92:93], exec, s[22:23]
	s_cbranch_execz .LBB6_2060
; %bb.2047:                             ;   in Loop: Header=BB6_126 Depth=2
	v_and_b32_e32 v60, 0x7fffffff, v3
	v_cmp_gt_u64_e32 vcc, s[74:75], v[60:61]
	v_and_b32_sdwa v2, v3, s53 dst_sel:DWORD dst_unused:UNUSED_PAD src0_sel:BYTE_3 src1_sel:DWORD
                                        ; implicit-def: $vgpr4
	s_and_saveexec_b64 s[22:23], vcc
	s_xor_b64 s[94:95], exec, s[22:23]
	s_cbranch_execz .LBB6_2057
; %bb.2048:                             ;   in Loop: Header=BB6_126 Depth=2
	v_mov_b32_e32 v4, 0
	v_cmp_ne_u32_e32 vcc, 0, v3
	s_and_saveexec_b64 s[30:31], vcc
	s_cbranch_execz .LBB6_2056
; %bb.2049:                             ;   in Loop: Header=BB6_126 Depth=2
	v_and_b32_e32 v6, 0x7fffff, v3
	v_bfe_u32 v3, v3, 23, 8
	v_cmp_gt_u32_e64 s[22:23], s64, v3
	v_sub_u32_e32 v4, 0x79, v3
	v_cmp_eq_u32_e32 vcc, 0, v3
	v_cndmask_b32_e64 v4, 0, v4, s[22:23]
	v_mov_b32_e32 v8, 0x78
	v_or_b32_e32 v7, 0x800000, v6
	v_cndmask_b32_e32 v4, v4, v8, vcc
	v_cndmask_b32_e32 v60, v7, v6, vcc
	v_add_u32_e32 v6, 20, v4
	v_lshlrev_b64 v[6:7], v6, -1
	v_add_u32_e32 v8, 19, v4
	v_lshlrev_b64 v[8:9], v8, 1
	v_lshrrev_b64 v[18:19], v4, v[60:61]
	v_bfi_b32 v7, v7, 0, 0
	v_bfi_b32 v6, v6, 0, v60
	v_cmp_eq_u64_e64 s[22:23], v[6:7], v[8:9]
	v_mov_b32_e32 v23, v19
	v_mov_b32_e32 v22, v18
	s_and_saveexec_b64 s[34:35], s[22:23]
; %bb.2050:                             ;   in Loop: Header=BB6_126 Depth=2
	v_bfe_u32 v6, v18, 20, 1
	v_add_co_u32_e64 v6, s[22:23], v18, v6
	v_add_co_u32_e64 v22, s[22:23], -1, v6
; %bb.2051:                             ;   in Loop: Header=BB6_126 Depth=2
	s_or_b64 exec, exec, s[34:35]
	v_add_u32_e32 v3, 0xffffff81, v3
	v_cndmask_b32_e32 v3, v3, v41, vcc
	v_lshrrev_b32_e32 v6, 23, v18
	v_add3_u32 v6, v4, v3, v6
	v_add_u32_e32 v4, 6, v6
	v_and_b32_e32 v3, 0xfffff, v22
	v_add_u32_e32 v60, v3, v18
	v_cmp_ne_u32_e32 vcc, 0, v4
                                        ; implicit-def: $vgpr18_vgpr19
                                        ; implicit-def: $vgpr3
	s_and_saveexec_b64 s[22:23], vcc
	s_xor_b64 s[22:23], exec, s[22:23]
; %bb.2052:                             ;   in Loop: Header=BB6_126 Depth=2
	v_cmp_lt_u64_e32 vcc, s[76:77], v[60:61]
	v_add_u32_e32 v3, 7, v6
	v_cndmask_b32_e32 v3, v4, v3, vcc
	v_cndmask_b32_e64 v4, 0, 1, vcc
	v_lshrrev_b64 v[18:19], v4, v[60:61]
; %bb.2053:                             ;   in Loop: Header=BB6_126 Depth=2
	s_andn2_saveexec_b64 s[22:23], s[22:23]
; %bb.2054:                             ;   in Loop: Header=BB6_126 Depth=2
	v_mov_b32_e32 v18, v60
	v_bfe_u32 v3, v60, 23, 1
	v_mov_b32_e32 v19, v61
; %bb.2055:                             ;   in Loop: Header=BB6_126 Depth=2
	s_or_b64 exec, exec, s[22:23]
	v_lshrrev_b64 v[6:7], 20, v[18:19]
	v_cmp_gt_i32_e32 vcc, 16, v3
	v_cndmask_b32_e32 v7, 0, v7, vcc
	v_cndmask_b32_e32 v6, 7, v6, vcc
	v_cmp_eq_u32_e32 vcc, 0, v3
	v_min_i32_e32 v3, 15, v3
	v_cmp_eq_u64_e64 s[22:23], 0, v[6:7]
	v_lshlrev_b32_e32 v3, 3, v3
	v_and_b32_e32 v3, 0xf8, v3
	v_and_or_b32 v3, v6, 7, v3
	s_and_b64 s[22:23], vcc, s[22:23]
	v_cndmask_b32_e64 v3, v3, 0, s[22:23]
	v_or_b32_e32 v4, v3, v2
.LBB6_2056:                             ;   in Loop: Header=BB6_126 Depth=2
	s_or_b64 exec, exec, s[30:31]
                                        ; implicit-def: $vgpr2
.LBB6_2057:                             ;   in Loop: Header=BB6_126 Depth=2
	s_andn2_saveexec_b64 s[22:23], s[94:95]
; %bb.2058:                             ;   in Loop: Header=BB6_126 Depth=2
	v_or_b32_e32 v4, 0x7e, v2
; %bb.2059:                             ;   in Loop: Header=BB6_126 Depth=2
	s_or_b64 exec, exec, s[22:23]
                                        ; implicit-def: $vgpr3
.LBB6_2060:                             ;   in Loop: Header=BB6_126 Depth=2
	s_andn2_saveexec_b64 s[22:23], s[92:93]
; %bb.2061:                             ;   in Loop: Header=BB6_126 Depth=2
	v_or_b32_sdwa v4, v3, s54 dst_sel:DWORD dst_unused:UNUSED_PAD src0_sel:BYTE_3 src1_sel:DWORD
; %bb.2062:                             ;   in Loop: Header=BB6_126 Depth=2
	s_or_b64 exec, exec, s[22:23]
	v_mov_b32_e32 v60, v25
	v_mov_b32_e32 v18, v21
	;; [unrolled: 1-line block ×3, first 2 shown]
	v_cmp_ne_u16_sdwa s[22:23], v25, v61 src0_sel:BYTE_0 src1_sel:DWORD
	s_and_b64 vcc, exec, s[20:21]
	s_mov_b64 s[92:93], -1
                                        ; implicit-def: $vgpr3
	s_cbranch_vccnz .LBB6_2076
; %bb.2063:                             ;   in Loop: Header=BB6_126 Depth=2
	v_mov_b32_e32 v3, 0
	v_mov_b32_e32 v2, 0
	s_and_saveexec_b64 s[92:93], s[22:23]
	s_cbranch_execz .LBB6_2069
; %bb.2064:                             ;   in Loop: Header=BB6_126 Depth=2
	v_cmp_ne_u16_sdwa vcc, v25, s53 src0_sel:BYTE_0 src1_sel:DWORD
	v_bfrev_b32_e32 v2, 1
	s_and_saveexec_b64 s[94:95], vcc
	s_cbranch_execz .LBB6_2068
; %bb.2065:                             ;   in Loop: Header=BB6_126 Depth=2
	v_and_b32_e32 v6, 0x7f, v25
	v_cmp_ne_u32_e32 vcc, s54, v6
	v_mov_b32_e32 v2, 0x7f800001
	s_and_saveexec_b64 s[30:31], vcc
	s_cbranch_execz .LBB6_2067
; %bb.2066:                             ;   in Loop: Header=BB6_126 Depth=2
	v_and_b32_e32 v2, 7, v25
	v_ffbh_u32_e32 v2, v2
	v_min_u32_e32 v2, 32, v2
	v_lshrrev_b32_e32 v7, 3, v6
	v_cmp_gt_u32_e32 vcc, 8, v6
	v_subrev_u32_e32 v6, 28, v2
	v_sub_u32_e32 v2, 29, v2
	v_cndmask_b32_e32 v6, 0, v6, vcc
	v_cndmask_b32_e32 v2, v7, v2, vcc
	v_lshlrev_b64 v[6:7], v6, v[60:61]
	v_lshlrev_b32_e32 v7, 24, v60
	v_lshlrev_b32_e32 v6, 20, v6
	v_and_b32_e32 v6, 0x700000, v6
	v_and_b32_e32 v7, 0x80000000, v7
	v_lshl_add_u32 v2, v2, 23, v62
	v_or3_b32 v2, v7, v2, v6
.LBB6_2067:                             ;   in Loop: Header=BB6_126 Depth=2
	s_or_b64 exec, exec, s[30:31]
.LBB6_2068:                             ;   in Loop: Header=BB6_126 Depth=2
	s_or_b64 exec, exec, s[94:95]
.LBB6_2069:                             ;   in Loop: Header=BB6_126 Depth=2
	s_or_b64 exec, exec, s[92:93]
	v_cmp_ne_u16_sdwa s[94:95], v21, v61 src0_sel:BYTE_0 src1_sel:DWORD
	s_and_saveexec_b64 s[92:93], s[94:95]
	s_cbranch_execz .LBB6_2075
; %bb.2070:                             ;   in Loop: Header=BB6_126 Depth=2
	v_cmp_ne_u16_sdwa vcc, v21, s53 src0_sel:BYTE_0 src1_sel:DWORD
	v_bfrev_b32_e32 v3, 1
	s_and_saveexec_b64 s[94:95], vcc
	s_cbranch_execz .LBB6_2074
; %bb.2071:                             ;   in Loop: Header=BB6_126 Depth=2
	v_and_b32_e32 v6, 0x7f, v21
	v_cmp_ne_u32_e32 vcc, s54, v6
	v_mov_b32_e32 v3, 0x7f800001
	s_and_saveexec_b64 s[30:31], vcc
	s_cbranch_execz .LBB6_2073
; %bb.2072:                             ;   in Loop: Header=BB6_126 Depth=2
	v_and_b32_e32 v3, 7, v21
	v_ffbh_u32_e32 v3, v3
	v_min_u32_e32 v3, 32, v3
	v_lshrrev_b32_e32 v7, 3, v6
	v_cmp_gt_u32_e32 vcc, 8, v6
	v_subrev_u32_e32 v6, 28, v3
	v_sub_u32_e32 v3, 29, v3
	v_cndmask_b32_e32 v6, 0, v6, vcc
	v_cndmask_b32_e32 v3, v7, v3, vcc
	v_lshlrev_b64 v[6:7], v6, v[18:19]
	v_lshlrev_b32_e32 v7, 24, v18
	v_lshlrev_b32_e32 v6, 20, v6
	v_and_b32_e32 v6, 0x700000, v6
	v_and_b32_e32 v7, 0x80000000, v7
	v_lshl_add_u32 v3, v3, 23, v62
	v_or3_b32 v3, v7, v3, v6
.LBB6_2073:                             ;   in Loop: Header=BB6_126 Depth=2
	s_or_b64 exec, exec, s[30:31]
.LBB6_2074:                             ;   in Loop: Header=BB6_126 Depth=2
	s_or_b64 exec, exec, s[94:95]
.LBB6_2075:                             ;   in Loop: Header=BB6_126 Depth=2
	s_or_b64 exec, exec, s[92:93]
	v_max_f32_e32 v3, v3, v3
	v_max_f32_e32 v2, v2, v2
	;; [unrolled: 1-line block ×3, first 2 shown]
	s_mov_b64 s[92:93], 0
.LBB6_2076:                             ;   in Loop: Header=BB6_126 Depth=2
	s_and_b64 vcc, exec, s[92:93]
	s_cbranch_vccz .LBB6_2090
; %bb.2077:                             ;   in Loop: Header=BB6_126 Depth=2
	v_mov_b32_e32 v3, 0
	v_mov_b32_e32 v2, 0
	s_and_saveexec_b64 s[92:93], s[22:23]
	s_cbranch_execz .LBB6_2083
; %bb.2078:                             ;   in Loop: Header=BB6_126 Depth=2
	v_cmp_ne_u16_sdwa s[94:95], v25, s53 src0_sel:BYTE_0 src1_sel:DWORD
	v_bfrev_b32_e32 v2, 1
	s_and_saveexec_b64 s[22:23], s[94:95]
	s_cbranch_execz .LBB6_2082
; %bb.2079:                             ;   in Loop: Header=BB6_126 Depth=2
	v_and_b32_e32 v6, 0x7f, v25
	v_cmp_ne_u32_e32 vcc, s54, v6
	v_mov_b32_e32 v2, 0x7f800001
	s_and_saveexec_b64 s[94:95], vcc
	s_cbranch_execz .LBB6_2081
; %bb.2080:                             ;   in Loop: Header=BB6_126 Depth=2
	v_and_b32_e32 v2, 7, v25
	v_ffbh_u32_e32 v2, v2
	v_min_u32_e32 v2, 32, v2
	v_lshrrev_b32_e32 v7, 3, v6
	v_cmp_gt_u32_e32 vcc, 8, v6
	v_subrev_u32_e32 v6, 28, v2
	v_sub_u32_e32 v2, 29, v2
	v_cndmask_b32_e32 v6, 0, v6, vcc
	v_cndmask_b32_e32 v2, v7, v2, vcc
	v_lshlrev_b64 v[6:7], v6, v[60:61]
	v_lshlrev_b32_e32 v7, 24, v60
	v_lshlrev_b32_e32 v6, 20, v6
	v_and_b32_e32 v6, 0x700000, v6
	v_and_b32_e32 v7, 0x80000000, v7
	v_lshl_add_u32 v2, v2, 23, v62
	v_or3_b32 v2, v7, v2, v6
.LBB6_2081:                             ;   in Loop: Header=BB6_126 Depth=2
	s_or_b64 exec, exec, s[94:95]
.LBB6_2082:                             ;   in Loop: Header=BB6_126 Depth=2
	s_or_b64 exec, exec, s[22:23]
.LBB6_2083:                             ;   in Loop: Header=BB6_126 Depth=2
	s_or_b64 exec, exec, s[92:93]
	v_cmp_ne_u16_sdwa s[92:93], v21, v61 src0_sel:BYTE_0 src1_sel:DWORD
	s_and_saveexec_b64 s[22:23], s[92:93]
	s_cbranch_execz .LBB6_2089
; %bb.2084:                             ;   in Loop: Header=BB6_126 Depth=2
	v_cmp_ne_u16_sdwa s[94:95], v21, s53 src0_sel:BYTE_0 src1_sel:DWORD
	v_bfrev_b32_e32 v3, 1
	s_and_saveexec_b64 s[92:93], s[94:95]
	s_cbranch_execz .LBB6_2088
; %bb.2085:                             ;   in Loop: Header=BB6_126 Depth=2
	v_and_b32_e32 v6, 0x7f, v21
	v_cmp_ne_u32_e32 vcc, s54, v6
	v_mov_b32_e32 v3, 0x7f800001
	s_and_saveexec_b64 s[94:95], vcc
	s_cbranch_execz .LBB6_2087
; %bb.2086:                             ;   in Loop: Header=BB6_126 Depth=2
	v_and_b32_e32 v3, 7, v21
	v_ffbh_u32_e32 v3, v3
	v_min_u32_e32 v3, 32, v3
	v_lshrrev_b32_e32 v7, 3, v6
	v_cmp_gt_u32_e32 vcc, 8, v6
	v_subrev_u32_e32 v6, 28, v3
	v_sub_u32_e32 v3, 29, v3
	v_cndmask_b32_e32 v6, 0, v6, vcc
	v_cndmask_b32_e32 v3, v7, v3, vcc
	v_lshlrev_b64 v[6:7], v6, v[18:19]
	v_lshlrev_b32_e32 v7, 24, v18
	v_lshlrev_b32_e32 v6, 20, v6
	v_and_b32_e32 v6, 0x700000, v6
	v_and_b32_e32 v7, 0x80000000, v7
	v_lshl_add_u32 v3, v3, 23, v62
	v_or3_b32 v3, v7, v3, v6
.LBB6_2087:                             ;   in Loop: Header=BB6_126 Depth=2
	s_or_b64 exec, exec, s[94:95]
.LBB6_2088:                             ;   in Loop: Header=BB6_126 Depth=2
	s_or_b64 exec, exec, s[92:93]
.LBB6_2089:                             ;   in Loop: Header=BB6_126 Depth=2
	s_or_b64 exec, exec, s[22:23]
	v_max_f32_e32 v3, v3, v3
	v_max_f32_e32 v2, v2, v2
	v_min_f32_e32 v3, v2, v3
.LBB6_2090:                             ;   in Loop: Header=BB6_126 Depth=2
	v_and_b32_e32 v6, 0x7f800000, v3
	v_mov_b32_e32 v7, v61
	v_cmp_ne_u64_e32 vcc, s[72:73], v[6:7]
                                        ; implicit-def: $vgpr6
	s_and_saveexec_b64 s[22:23], vcc
	s_xor_b64 s[92:93], exec, s[22:23]
	s_cbranch_execz .LBB6_2104
; %bb.2091:                             ;   in Loop: Header=BB6_126 Depth=2
	v_and_b32_e32 v6, 0x7fffffff, v3
	v_mov_b32_e32 v7, v61
	v_cmp_gt_u64_e32 vcc, s[74:75], v[6:7]
	v_and_b32_sdwa v2, v3, s53 dst_sel:DWORD dst_unused:UNUSED_PAD src0_sel:BYTE_3 src1_sel:DWORD
                                        ; implicit-def: $vgpr6
	s_and_saveexec_b64 s[22:23], vcc
	s_xor_b64 s[94:95], exec, s[22:23]
	s_cbranch_execz .LBB6_2101
; %bb.2092:                             ;   in Loop: Header=BB6_126 Depth=2
	v_mov_b32_e32 v6, 0
	v_cmp_ne_u32_e32 vcc, 0, v3
	s_and_saveexec_b64 s[30:31], vcc
	s_cbranch_execz .LBB6_2100
; %bb.2093:                             ;   in Loop: Header=BB6_126 Depth=2
	v_and_b32_e32 v7, 0x7fffff, v3
	v_bfe_u32 v3, v3, 23, 8
	v_cmp_gt_u32_e64 s[22:23], s64, v3
	v_sub_u32_e32 v6, 0x79, v3
	v_cmp_eq_u32_e32 vcc, 0, v3
	v_cndmask_b32_e64 v6, 0, v6, s[22:23]
	v_mov_b32_e32 v9, 0x78
	v_cndmask_b32_e32 v6, v6, v9, vcc
	v_add_u32_e32 v9, 20, v6
	v_or_b32_e32 v8, 0x800000, v7
	v_lshlrev_b64 v[22:23], v9, -1
	v_add_u32_e32 v9, 19, v6
	v_cndmask_b32_e32 v7, v8, v7, vcc
	v_lshlrev_b64 v[26:27], v9, 1
	v_mov_b32_e32 v8, v61
	v_bfi_b32 v23, v23, 0, 0
	v_bfi_b32 v22, v22, 0, v7
	v_cmp_eq_u64_e64 s[22:23], v[22:23], v[26:27]
	v_lshrrev_b64 v[22:23], v6, v[7:8]
	v_mov_b32_e32 v27, v23
	v_mov_b32_e32 v26, v22
	s_and_saveexec_b64 s[34:35], s[22:23]
; %bb.2094:                             ;   in Loop: Header=BB6_126 Depth=2
	v_bfe_u32 v7, v22, 20, 1
	v_add_co_u32_e64 v7, s[22:23], v22, v7
	v_add_co_u32_e64 v26, s[22:23], -1, v7
; %bb.2095:                             ;   in Loop: Header=BB6_126 Depth=2
	s_or_b64 exec, exec, s[34:35]
	v_add_u32_e32 v3, 0xffffff81, v3
	v_cndmask_b32_e32 v3, v3, v41, vcc
	v_lshrrev_b32_e32 v7, 23, v22
	v_add3_u32 v7, v6, v3, v7
	v_add_u32_e32 v6, 6, v7
	v_and_b32_e32 v3, 0xfffff, v26
	v_add_u32_e32 v22, v3, v22
	v_mov_b32_e32 v23, v61
	v_cmp_ne_u32_e32 vcc, 0, v6
                                        ; implicit-def: $vgpr3
	s_and_saveexec_b64 s[22:23], vcc
	s_xor_b64 s[22:23], exec, s[22:23]
; %bb.2096:                             ;   in Loop: Header=BB6_126 Depth=2
	v_cmp_lt_u64_e32 vcc, s[76:77], v[22:23]
	v_add_u32_e32 v3, 7, v7
	v_cndmask_b32_e32 v3, v6, v3, vcc
	v_cndmask_b32_e64 v6, 0, 1, vcc
	v_lshrrev_b64 v[22:23], v6, v[22:23]
; %bb.2097:                             ;   in Loop: Header=BB6_126 Depth=2
	s_andn2_saveexec_b64 s[22:23], s[22:23]
; %bb.2098:                             ;   in Loop: Header=BB6_126 Depth=2
	v_bfe_u32 v3, v22, 23, 1
; %bb.2099:                             ;   in Loop: Header=BB6_126 Depth=2
	s_or_b64 exec, exec, s[22:23]
	v_lshrrev_b64 v[6:7], 20, v[22:23]
	v_cmp_gt_i32_e32 vcc, 16, v3
	v_cndmask_b32_e32 v7, 0, v7, vcc
	v_cndmask_b32_e32 v6, 7, v6, vcc
	v_cmp_eq_u32_e32 vcc, 0, v3
	v_min_i32_e32 v3, 15, v3
	v_cmp_eq_u64_e64 s[22:23], 0, v[6:7]
	v_lshlrev_b32_e32 v3, 3, v3
	v_and_b32_e32 v3, 0xf8, v3
	v_and_or_b32 v3, v6, 7, v3
	s_and_b64 s[22:23], vcc, s[22:23]
	v_cndmask_b32_e64 v3, v3, 0, s[22:23]
	v_or_b32_e32 v6, v3, v2
.LBB6_2100:                             ;   in Loop: Header=BB6_126 Depth=2
	s_or_b64 exec, exec, s[30:31]
                                        ; implicit-def: $vgpr2
.LBB6_2101:                             ;   in Loop: Header=BB6_126 Depth=2
	s_andn2_saveexec_b64 s[22:23], s[94:95]
; %bb.2102:                             ;   in Loop: Header=BB6_126 Depth=2
	v_or_b32_e32 v6, 0x7e, v2
; %bb.2103:                             ;   in Loop: Header=BB6_126 Depth=2
	s_or_b64 exec, exec, s[22:23]
                                        ; implicit-def: $vgpr3
.LBB6_2104:                             ;   in Loop: Header=BB6_126 Depth=2
	s_andn2_saveexec_b64 s[22:23], s[92:93]
; %bb.2105:                             ;   in Loop: Header=BB6_126 Depth=2
	v_or_b32_sdwa v6, v3, s54 dst_sel:DWORD dst_unused:UNUSED_PAD src0_sel:BYTE_3 src1_sel:DWORD
; %bb.2106:                             ;   in Loop: Header=BB6_126 Depth=2
	s_or_b64 exec, exec, s[22:23]
	v_lshrrev_b16_e32 v22, 8, v60
	v_lshrrev_b16_e32 v19, 8, v18
	v_cmp_ne_u16_e64 s[22:23], 0, v22
	s_and_b64 vcc, exec, s[20:21]
	s_mov_b64 s[92:93], -1
                                        ; implicit-def: $vgpr3
	s_cbranch_vccnz .LBB6_2120
; %bb.2107:                             ;   in Loop: Header=BB6_126 Depth=2
	v_mov_b32_e32 v3, 0
	v_mov_b32_e32 v2, 0
	s_and_saveexec_b64 s[92:93], s[22:23]
	s_cbranch_execz .LBB6_2113
; %bb.2108:                             ;   in Loop: Header=BB6_126 Depth=2
	v_cmp_ne_u16_e32 vcc, s53, v22
	v_bfrev_b32_e32 v2, 1
	s_and_saveexec_b64 s[94:95], vcc
	s_cbranch_execz .LBB6_2112
; %bb.2109:                             ;   in Loop: Header=BB6_126 Depth=2
	v_and_b32_e32 v7, 0x7f, v22
	v_cmp_ne_u32_e32 vcc, s54, v7
	v_mov_b32_e32 v2, 0x7f800001
	s_and_saveexec_b64 s[30:31], vcc
	s_cbranch_execz .LBB6_2111
; %bb.2110:                             ;   in Loop: Header=BB6_126 Depth=2
	v_and_b32_e32 v2, 7, v22
	v_lshrrev_b32_e32 v9, 3, v7
	v_cmp_gt_u32_e32 vcc, 8, v7
	v_ffbh_u32_e32 v7, v2
	v_min_u32_e32 v23, 32, v7
	v_subrev_u32_e32 v7, 28, v23
	v_lshlrev_b64 v[7:8], v7, v[22:23]
	v_sub_u32_e32 v8, 29, v23
	v_and_b32_e32 v7, 7, v7
	v_cndmask_b32_e32 v8, v9, v8, vcc
	v_cndmask_b32_e32 v2, v2, v7, vcc
	v_lshlrev_b32_e32 v7, 16, v60
	v_lshlrev_b32_e32 v2, 20, v2
	v_and_b32_e32 v7, 0x80000000, v7
	v_lshl_add_u32 v8, v8, 23, v62
	v_or3_b32 v2, v7, v8, v2
.LBB6_2111:                             ;   in Loop: Header=BB6_126 Depth=2
	s_or_b64 exec, exec, s[30:31]
.LBB6_2112:                             ;   in Loop: Header=BB6_126 Depth=2
	s_or_b64 exec, exec, s[94:95]
.LBB6_2113:                             ;   in Loop: Header=BB6_126 Depth=2
	s_or_b64 exec, exec, s[92:93]
	v_cmp_ne_u16_e32 vcc, 0, v19
	s_and_saveexec_b64 s[92:93], vcc
	s_cbranch_execz .LBB6_2119
; %bb.2114:                             ;   in Loop: Header=BB6_126 Depth=2
	v_cmp_ne_u16_e32 vcc, s53, v19
	v_bfrev_b32_e32 v3, 1
	s_and_saveexec_b64 s[94:95], vcc
	s_cbranch_execz .LBB6_2118
; %bb.2115:                             ;   in Loop: Header=BB6_126 Depth=2
	v_and_b32_e32 v7, 0x7f, v19
	v_cmp_ne_u32_e32 vcc, s54, v7
	v_mov_b32_e32 v3, 0x7f800001
	s_and_saveexec_b64 s[30:31], vcc
	s_cbranch_execz .LBB6_2117
; %bb.2116:                             ;   in Loop: Header=BB6_126 Depth=2
	v_and_b32_e32 v3, 7, v19
	v_lshrrev_b32_e32 v9, 3, v7
	v_cmp_gt_u32_e32 vcc, 8, v7
	v_ffbh_u32_e32 v7, v3
	v_min_u32_e32 v23, 32, v7
	v_subrev_u32_e32 v7, 28, v23
	v_lshlrev_b64 v[7:8], v7, v[19:20]
	v_sub_u32_e32 v8, 29, v23
	v_and_b32_e32 v7, 7, v7
	v_cndmask_b32_e32 v8, v9, v8, vcc
	v_cndmask_b32_e32 v3, v3, v7, vcc
	v_lshlrev_b32_e32 v7, 16, v18
	v_lshlrev_b32_e32 v3, 20, v3
	v_and_b32_e32 v7, 0x80000000, v7
	v_lshl_add_u32 v8, v8, 23, v62
	v_or3_b32 v3, v7, v8, v3
.LBB6_2117:                             ;   in Loop: Header=BB6_126 Depth=2
	s_or_b64 exec, exec, s[30:31]
.LBB6_2118:                             ;   in Loop: Header=BB6_126 Depth=2
	s_or_b64 exec, exec, s[94:95]
.LBB6_2119:                             ;   in Loop: Header=BB6_126 Depth=2
	s_or_b64 exec, exec, s[92:93]
	v_max_f32_e32 v3, v3, v3
	v_max_f32_e32 v2, v2, v2
	;; [unrolled: 1-line block ×3, first 2 shown]
	s_mov_b64 s[92:93], 0
.LBB6_2120:                             ;   in Loop: Header=BB6_126 Depth=2
	s_and_b64 vcc, exec, s[92:93]
	s_cbranch_vccz .LBB6_2134
; %bb.2121:                             ;   in Loop: Header=BB6_126 Depth=2
	v_mov_b32_e32 v3, 0
	v_mov_b32_e32 v2, 0
	s_and_saveexec_b64 s[92:93], s[22:23]
	s_cbranch_execz .LBB6_2127
; %bb.2122:                             ;   in Loop: Header=BB6_126 Depth=2
	v_cmp_ne_u16_e32 vcc, s53, v22
	v_bfrev_b32_e32 v2, 1
	s_and_saveexec_b64 s[22:23], vcc
	s_cbranch_execz .LBB6_2126
; %bb.2123:                             ;   in Loop: Header=BB6_126 Depth=2
	v_and_b32_e32 v7, 0x7f, v22
	v_cmp_ne_u32_e32 vcc, s54, v7
	v_mov_b32_e32 v2, 0x7f800001
	s_and_saveexec_b64 s[94:95], vcc
	s_cbranch_execz .LBB6_2125
; %bb.2124:                             ;   in Loop: Header=BB6_126 Depth=2
	v_and_b32_e32 v2, 7, v22
	v_lshrrev_b32_e32 v9, 3, v7
	v_cmp_gt_u32_e32 vcc, 8, v7
	v_ffbh_u32_e32 v7, v2
	v_min_u32_e32 v23, 32, v7
	v_subrev_u32_e32 v7, 28, v23
	v_lshlrev_b64 v[7:8], v7, v[22:23]
	v_sub_u32_e32 v8, 29, v23
	v_and_b32_e32 v7, 7, v7
	v_cndmask_b32_e32 v8, v9, v8, vcc
	v_cndmask_b32_e32 v2, v2, v7, vcc
	v_lshlrev_b32_e32 v7, 16, v60
	v_lshlrev_b32_e32 v2, 20, v2
	v_and_b32_e32 v7, 0x80000000, v7
	v_lshl_add_u32 v8, v8, 23, v62
	v_or3_b32 v2, v7, v8, v2
.LBB6_2125:                             ;   in Loop: Header=BB6_126 Depth=2
	s_or_b64 exec, exec, s[94:95]
.LBB6_2126:                             ;   in Loop: Header=BB6_126 Depth=2
	s_or_b64 exec, exec, s[22:23]
.LBB6_2127:                             ;   in Loop: Header=BB6_126 Depth=2
	s_or_b64 exec, exec, s[92:93]
	v_cmp_ne_u16_e32 vcc, 0, v19
	s_and_saveexec_b64 s[22:23], vcc
	s_cbranch_execz .LBB6_2133
; %bb.2128:                             ;   in Loop: Header=BB6_126 Depth=2
	v_cmp_ne_u16_e32 vcc, s53, v19
	v_bfrev_b32_e32 v3, 1
	s_and_saveexec_b64 s[92:93], vcc
	s_cbranch_execz .LBB6_2132
; %bb.2129:                             ;   in Loop: Header=BB6_126 Depth=2
	v_and_b32_e32 v7, 0x7f, v19
	v_cmp_ne_u32_e32 vcc, s54, v7
	v_mov_b32_e32 v3, 0x7f800001
	s_and_saveexec_b64 s[94:95], vcc
	s_cbranch_execz .LBB6_2131
; %bb.2130:                             ;   in Loop: Header=BB6_126 Depth=2
	v_and_b32_e32 v3, 7, v19
	v_lshrrev_b32_e32 v9, 3, v7
	v_cmp_gt_u32_e32 vcc, 8, v7
	v_ffbh_u32_e32 v7, v3
	v_min_u32_e32 v22, 32, v7
	v_subrev_u32_e32 v7, 28, v22
	v_lshlrev_b64 v[7:8], v7, v[19:20]
	v_sub_u32_e32 v8, 29, v22
	v_and_b32_e32 v7, 7, v7
	v_cndmask_b32_e32 v8, v9, v8, vcc
	v_cndmask_b32_e32 v3, v3, v7, vcc
	v_lshlrev_b32_e32 v7, 16, v18
	v_lshlrev_b32_e32 v3, 20, v3
	v_and_b32_e32 v7, 0x80000000, v7
	v_lshl_add_u32 v8, v8, 23, v62
	v_or3_b32 v3, v7, v8, v3
.LBB6_2131:                             ;   in Loop: Header=BB6_126 Depth=2
	s_or_b64 exec, exec, s[94:95]
.LBB6_2132:                             ;   in Loop: Header=BB6_126 Depth=2
	s_or_b64 exec, exec, s[92:93]
.LBB6_2133:                             ;   in Loop: Header=BB6_126 Depth=2
	s_or_b64 exec, exec, s[22:23]
	v_max_f32_e32 v3, v3, v3
	v_max_f32_e32 v2, v2, v2
	v_min_f32_e32 v3, v2, v3
.LBB6_2134:                             ;   in Loop: Header=BB6_126 Depth=2
	v_and_b32_e32 v60, 0x7f800000, v3
	v_cmp_ne_u64_e32 vcc, s[72:73], v[60:61]
                                        ; implicit-def: $vgpr7
	s_and_saveexec_b64 s[22:23], vcc
	s_xor_b64 s[92:93], exec, s[22:23]
	s_cbranch_execz .LBB6_2148
; %bb.2135:                             ;   in Loop: Header=BB6_126 Depth=2
	v_and_b32_e32 v60, 0x7fffffff, v3
	v_cmp_gt_u64_e32 vcc, s[74:75], v[60:61]
	v_and_b32_sdwa v2, v3, s53 dst_sel:DWORD dst_unused:UNUSED_PAD src0_sel:BYTE_3 src1_sel:DWORD
                                        ; implicit-def: $vgpr7
	s_and_saveexec_b64 s[22:23], vcc
	s_xor_b64 s[94:95], exec, s[22:23]
	s_cbranch_execz .LBB6_2145
; %bb.2136:                             ;   in Loop: Header=BB6_126 Depth=2
	v_mov_b32_e32 v7, 0
	v_cmp_ne_u32_e32 vcc, 0, v3
	s_and_saveexec_b64 s[30:31], vcc
	s_cbranch_execz .LBB6_2144
; %bb.2137:                             ;   in Loop: Header=BB6_126 Depth=2
	v_and_b32_e32 v8, 0x7fffff, v3
	v_bfe_u32 v3, v3, 23, 8
	v_cmp_gt_u32_e64 s[22:23], s64, v3
	v_sub_u32_e32 v7, 0x79, v3
	v_cmp_eq_u32_e32 vcc, 0, v3
	v_cndmask_b32_e64 v7, 0, v7, s[22:23]
	v_mov_b32_e32 v18, 0x78
	v_or_b32_e32 v9, 0x800000, v8
	v_cndmask_b32_e32 v7, v7, v18, vcc
	v_cndmask_b32_e32 v60, v9, v8, vcc
	v_add_u32_e32 v8, 20, v7
	v_lshlrev_b64 v[8:9], v8, -1
	v_add_u32_e32 v18, 19, v7
	v_lshlrev_b64 v[18:19], v18, 1
	v_bfi_b32 v9, v9, 0, 0
	v_bfi_b32 v8, v8, 0, v60
	v_cmp_eq_u64_e64 s[22:23], v[8:9], v[18:19]
	v_lshrrev_b64 v[18:19], v7, v[60:61]
	v_mov_b32_e32 v23, v19
	v_mov_b32_e32 v22, v18
	s_and_saveexec_b64 s[34:35], s[22:23]
; %bb.2138:                             ;   in Loop: Header=BB6_126 Depth=2
	v_bfe_u32 v8, v18, 20, 1
	v_add_co_u32_e64 v8, s[22:23], v18, v8
	v_add_co_u32_e64 v22, s[22:23], -1, v8
; %bb.2139:                             ;   in Loop: Header=BB6_126 Depth=2
	s_or_b64 exec, exec, s[34:35]
	v_add_u32_e32 v3, 0xffffff81, v3
	v_cndmask_b32_e32 v3, v3, v41, vcc
	v_lshrrev_b32_e32 v8, 23, v18
	v_add3_u32 v8, v7, v3, v8
	v_add_u32_e32 v7, 6, v8
	v_and_b32_e32 v3, 0xfffff, v22
	v_add_u32_e32 v60, v3, v18
	v_cmp_ne_u32_e32 vcc, 0, v7
                                        ; implicit-def: $vgpr18_vgpr19
                                        ; implicit-def: $vgpr3
	s_and_saveexec_b64 s[22:23], vcc
	s_xor_b64 s[22:23], exec, s[22:23]
; %bb.2140:                             ;   in Loop: Header=BB6_126 Depth=2
	v_cmp_lt_u64_e32 vcc, s[76:77], v[60:61]
	v_add_u32_e32 v3, 7, v8
	v_cndmask_b32_e32 v3, v7, v3, vcc
	v_cndmask_b32_e64 v7, 0, 1, vcc
	v_lshrrev_b64 v[18:19], v7, v[60:61]
; %bb.2141:                             ;   in Loop: Header=BB6_126 Depth=2
	s_andn2_saveexec_b64 s[22:23], s[22:23]
; %bb.2142:                             ;   in Loop: Header=BB6_126 Depth=2
	v_mov_b32_e32 v18, v60
	v_bfe_u32 v3, v60, 23, 1
	v_mov_b32_e32 v19, v61
; %bb.2143:                             ;   in Loop: Header=BB6_126 Depth=2
	s_or_b64 exec, exec, s[22:23]
	v_lshrrev_b64 v[7:8], 20, v[18:19]
	v_cmp_gt_i32_e32 vcc, 16, v3
	v_cndmask_b32_e32 v8, 0, v8, vcc
	v_cndmask_b32_e32 v7, 7, v7, vcc
	v_cmp_eq_u32_e32 vcc, 0, v3
	v_min_i32_e32 v3, 15, v3
	v_cmp_eq_u64_e64 s[22:23], 0, v[7:8]
	v_lshlrev_b32_e32 v3, 3, v3
	v_and_b32_e32 v3, 0xf8, v3
	v_and_or_b32 v3, v7, 7, v3
	s_and_b64 s[22:23], vcc, s[22:23]
	v_cndmask_b32_e64 v3, v3, 0, s[22:23]
	v_or_b32_e32 v7, v3, v2
.LBB6_2144:                             ;   in Loop: Header=BB6_126 Depth=2
	s_or_b64 exec, exec, s[30:31]
                                        ; implicit-def: $vgpr2
.LBB6_2145:                             ;   in Loop: Header=BB6_126 Depth=2
	s_andn2_saveexec_b64 s[22:23], s[94:95]
; %bb.2146:                             ;   in Loop: Header=BB6_126 Depth=2
	v_or_b32_e32 v7, 0x7e, v2
; %bb.2147:                             ;   in Loop: Header=BB6_126 Depth=2
	s_or_b64 exec, exec, s[22:23]
                                        ; implicit-def: $vgpr3
.LBB6_2148:                             ;   in Loop: Header=BB6_126 Depth=2
	s_andn2_saveexec_b64 s[22:23], s[92:93]
; %bb.2149:                             ;   in Loop: Header=BB6_126 Depth=2
	v_or_b32_sdwa v7, v3, s54 dst_sel:DWORD dst_unused:UNUSED_PAD src0_sel:BYTE_3 src1_sel:DWORD
; %bb.2150:                             ;   in Loop: Header=BB6_126 Depth=2
	s_or_b64 exec, exec, s[22:23]
	v_lshrrev_b32_e32 v19, 16, v25
	v_lshrrev_b32_e32 v18, 16, v21
	v_cmp_ne_u16_sdwa s[22:23], v19, v61 src0_sel:BYTE_0 src1_sel:DWORD
	s_and_b64 vcc, exec, s[20:21]
	s_mov_b64 s[92:93], -1
                                        ; implicit-def: $vgpr3
	s_cbranch_vccnz .LBB6_2164
; %bb.2151:                             ;   in Loop: Header=BB6_126 Depth=2
	v_mov_b32_e32 v3, 0
	v_mov_b32_e32 v2, 0
	s_and_saveexec_b64 s[92:93], s[22:23]
	s_cbranch_execz .LBB6_2157
; %bb.2152:                             ;   in Loop: Header=BB6_126 Depth=2
	v_cmp_ne_u16_sdwa vcc, v19, s53 src0_sel:BYTE_0 src1_sel:DWORD
	v_bfrev_b32_e32 v2, 1
	s_and_saveexec_b64 s[94:95], vcc
	s_cbranch_execz .LBB6_2156
; %bb.2153:                             ;   in Loop: Header=BB6_126 Depth=2
	v_bfe_u32 v8, v25, 16, 7
	v_cmp_ne_u32_e32 vcc, s54, v8
	v_mov_b32_e32 v2, 0x7f800001
	s_and_saveexec_b64 s[30:31], vcc
	s_cbranch_execz .LBB6_2155
; %bb.2154:                             ;   in Loop: Header=BB6_126 Depth=2
	v_and_b32_e32 v2, 7, v19
	v_lshrrev_b32_e32 v22, 3, v8
	v_cmp_gt_u32_e32 vcc, 8, v8
	v_ffbh_u32_e32 v8, v2
	v_min_u32_e32 v23, 32, v8
	v_subrev_u32_e32 v8, 28, v23
	v_lshlrev_b64 v[8:9], v8, v[19:20]
	v_sub_u32_e32 v9, 29, v23
	v_and_b32_e32 v8, 7, v8
	v_cndmask_b32_e32 v9, v22, v9, vcc
	v_cndmask_b32_e32 v2, v2, v8, vcc
	v_lshlrev_b32_e32 v8, 24, v19
	v_lshlrev_b32_e32 v2, 20, v2
	v_and_b32_e32 v8, 0x80000000, v8
	v_lshl_add_u32 v9, v9, 23, v62
	v_or3_b32 v2, v8, v9, v2
.LBB6_2155:                             ;   in Loop: Header=BB6_126 Depth=2
	s_or_b64 exec, exec, s[30:31]
.LBB6_2156:                             ;   in Loop: Header=BB6_126 Depth=2
	s_or_b64 exec, exec, s[94:95]
.LBB6_2157:                             ;   in Loop: Header=BB6_126 Depth=2
	s_or_b64 exec, exec, s[92:93]
	v_cmp_ne_u16_sdwa s[94:95], v18, v61 src0_sel:BYTE_0 src1_sel:DWORD
	s_and_saveexec_b64 s[92:93], s[94:95]
	s_cbranch_execz .LBB6_2163
; %bb.2158:                             ;   in Loop: Header=BB6_126 Depth=2
	v_cmp_ne_u16_sdwa vcc, v18, s53 src0_sel:BYTE_0 src1_sel:DWORD
	v_bfrev_b32_e32 v3, 1
	s_and_saveexec_b64 s[94:95], vcc
	s_cbranch_execz .LBB6_2162
; %bb.2159:                             ;   in Loop: Header=BB6_126 Depth=2
	v_bfe_u32 v8, v21, 16, 7
	v_cmp_ne_u32_e32 vcc, s54, v8
	v_mov_b32_e32 v3, 0x7f800001
	s_and_saveexec_b64 s[30:31], vcc
	s_cbranch_execz .LBB6_2161
; %bb.2160:                             ;   in Loop: Header=BB6_126 Depth=2
	v_and_b32_e32 v3, 7, v18
	v_lshrrev_b32_e32 v22, 3, v8
	v_cmp_gt_u32_e32 vcc, 8, v8
	v_ffbh_u32_e32 v8, v3
	v_min_u32_e32 v23, 32, v8
	v_subrev_u32_e32 v8, 28, v23
	v_lshlrev_b64 v[8:9], v8, v[18:19]
	v_sub_u32_e32 v9, 29, v23
	v_and_b32_e32 v8, 7, v8
	v_cndmask_b32_e32 v9, v22, v9, vcc
	v_cndmask_b32_e32 v3, v3, v8, vcc
	v_lshlrev_b32_e32 v8, 24, v18
	v_lshlrev_b32_e32 v3, 20, v3
	v_and_b32_e32 v8, 0x80000000, v8
	v_lshl_add_u32 v9, v9, 23, v62
	v_or3_b32 v3, v8, v9, v3
.LBB6_2161:                             ;   in Loop: Header=BB6_126 Depth=2
	s_or_b64 exec, exec, s[30:31]
.LBB6_2162:                             ;   in Loop: Header=BB6_126 Depth=2
	s_or_b64 exec, exec, s[94:95]
.LBB6_2163:                             ;   in Loop: Header=BB6_126 Depth=2
	s_or_b64 exec, exec, s[92:93]
	v_max_f32_e32 v3, v3, v3
	v_max_f32_e32 v2, v2, v2
	;; [unrolled: 1-line block ×3, first 2 shown]
	s_mov_b64 s[92:93], 0
.LBB6_2164:                             ;   in Loop: Header=BB6_126 Depth=2
	s_and_b64 vcc, exec, s[92:93]
	s_cbranch_vccz .LBB6_2178
; %bb.2165:                             ;   in Loop: Header=BB6_126 Depth=2
	v_mov_b32_e32 v3, 0
	v_mov_b32_e32 v2, 0
	s_and_saveexec_b64 s[92:93], s[22:23]
	s_cbranch_execz .LBB6_2171
; %bb.2166:                             ;   in Loop: Header=BB6_126 Depth=2
	v_cmp_ne_u16_sdwa s[94:95], v19, s53 src0_sel:BYTE_0 src1_sel:DWORD
	v_bfrev_b32_e32 v2, 1
	s_and_saveexec_b64 s[22:23], s[94:95]
	s_cbranch_execz .LBB6_2170
; %bb.2167:                             ;   in Loop: Header=BB6_126 Depth=2
	v_bfe_u32 v8, v25, 16, 7
	v_cmp_ne_u32_e32 vcc, s54, v8
	v_mov_b32_e32 v2, 0x7f800001
	s_and_saveexec_b64 s[94:95], vcc
	s_cbranch_execz .LBB6_2169
; %bb.2168:                             ;   in Loop: Header=BB6_126 Depth=2
	v_and_b32_e32 v2, 7, v19
	v_lshrrev_b32_e32 v22, 3, v8
	v_cmp_gt_u32_e32 vcc, 8, v8
	v_ffbh_u32_e32 v8, v2
	v_min_u32_e32 v23, 32, v8
	v_subrev_u32_e32 v8, 28, v23
	v_lshlrev_b64 v[8:9], v8, v[19:20]
	v_sub_u32_e32 v9, 29, v23
	v_and_b32_e32 v8, 7, v8
	v_cndmask_b32_e32 v9, v22, v9, vcc
	v_cndmask_b32_e32 v2, v2, v8, vcc
	v_lshlrev_b32_e32 v8, 24, v19
	v_lshlrev_b32_e32 v2, 20, v2
	v_and_b32_e32 v8, 0x80000000, v8
	v_lshl_add_u32 v9, v9, 23, v62
	v_or3_b32 v2, v8, v9, v2
.LBB6_2169:                             ;   in Loop: Header=BB6_126 Depth=2
	s_or_b64 exec, exec, s[94:95]
.LBB6_2170:                             ;   in Loop: Header=BB6_126 Depth=2
	s_or_b64 exec, exec, s[22:23]
.LBB6_2171:                             ;   in Loop: Header=BB6_126 Depth=2
	s_or_b64 exec, exec, s[92:93]
	v_cmp_ne_u16_sdwa s[92:93], v18, v61 src0_sel:BYTE_0 src1_sel:DWORD
	s_and_saveexec_b64 s[22:23], s[92:93]
	s_cbranch_execz .LBB6_2177
; %bb.2172:                             ;   in Loop: Header=BB6_126 Depth=2
	v_cmp_ne_u16_sdwa s[94:95], v18, s53 src0_sel:BYTE_0 src1_sel:DWORD
	v_bfrev_b32_e32 v3, 1
	s_and_saveexec_b64 s[92:93], s[94:95]
	s_cbranch_execz .LBB6_2176
; %bb.2173:                             ;   in Loop: Header=BB6_126 Depth=2
	v_bfe_u32 v8, v21, 16, 7
	v_cmp_ne_u32_e32 vcc, s54, v8
	v_mov_b32_e32 v3, 0x7f800001
	s_and_saveexec_b64 s[94:95], vcc
	s_cbranch_execz .LBB6_2175
; %bb.2174:                             ;   in Loop: Header=BB6_126 Depth=2
	v_and_b32_e32 v3, 7, v18
	v_lshrrev_b32_e32 v19, 3, v8
	v_cmp_gt_u32_e32 vcc, 8, v8
	v_ffbh_u32_e32 v8, v3
	v_min_u32_e32 v22, 32, v8
	v_subrev_u32_e32 v8, 28, v22
	v_lshlrev_b64 v[8:9], v8, v[18:19]
	v_sub_u32_e32 v9, 29, v22
	v_and_b32_e32 v8, 7, v8
	v_cndmask_b32_e32 v9, v19, v9, vcc
	v_cndmask_b32_e32 v3, v3, v8, vcc
	v_lshlrev_b32_e32 v8, 24, v18
	v_lshlrev_b32_e32 v3, 20, v3
	v_and_b32_e32 v8, 0x80000000, v8
	v_lshl_add_u32 v9, v9, 23, v62
	v_or3_b32 v3, v8, v9, v3
.LBB6_2175:                             ;   in Loop: Header=BB6_126 Depth=2
	s_or_b64 exec, exec, s[94:95]
.LBB6_2176:                             ;   in Loop: Header=BB6_126 Depth=2
	s_or_b64 exec, exec, s[92:93]
.LBB6_2177:                             ;   in Loop: Header=BB6_126 Depth=2
	s_or_b64 exec, exec, s[22:23]
	v_max_f32_e32 v3, v3, v3
	v_max_f32_e32 v2, v2, v2
	v_min_f32_e32 v3, v2, v3
.LBB6_2178:                             ;   in Loop: Header=BB6_126 Depth=2
	v_and_b32_e32 v60, 0x7f800000, v3
	v_cmp_ne_u64_e32 vcc, s[72:73], v[60:61]
                                        ; implicit-def: $vgpr8
	s_and_saveexec_b64 s[22:23], vcc
	s_xor_b64 s[92:93], exec, s[22:23]
	s_cbranch_execz .LBB6_2192
; %bb.2179:                             ;   in Loop: Header=BB6_126 Depth=2
	v_and_b32_e32 v60, 0x7fffffff, v3
	v_cmp_gt_u64_e32 vcc, s[74:75], v[60:61]
	v_and_b32_sdwa v2, v3, s53 dst_sel:DWORD dst_unused:UNUSED_PAD src0_sel:BYTE_3 src1_sel:DWORD
                                        ; implicit-def: $vgpr8
	s_and_saveexec_b64 s[22:23], vcc
	s_xor_b64 s[94:95], exec, s[22:23]
	s_cbranch_execz .LBB6_2189
; %bb.2180:                             ;   in Loop: Header=BB6_126 Depth=2
	v_mov_b32_e32 v8, 0
	v_cmp_ne_u32_e32 vcc, 0, v3
	s_and_saveexec_b64 s[30:31], vcc
	s_cbranch_execz .LBB6_2188
; %bb.2181:                             ;   in Loop: Header=BB6_126 Depth=2
	v_and_b32_e32 v9, 0x7fffff, v3
	v_bfe_u32 v3, v3, 23, 8
	v_cmp_gt_u32_e64 s[22:23], s64, v3
	v_sub_u32_e32 v8, 0x79, v3
	v_cmp_eq_u32_e32 vcc, 0, v3
	v_cndmask_b32_e64 v8, 0, v8, s[22:23]
	v_mov_b32_e32 v19, 0x78
	v_or_b32_e32 v18, 0x800000, v9
	v_cndmask_b32_e32 v8, v8, v19, vcc
	v_cndmask_b32_e32 v60, v18, v9, vcc
	v_add_u32_e32 v9, 20, v8
	v_lshlrev_b64 v[18:19], v9, -1
	v_add_u32_e32 v9, 19, v8
	v_lshlrev_b64 v[22:23], v9, 1
	v_bfi_b32 v19, v19, 0, 0
	v_bfi_b32 v18, v18, 0, v60
	v_cmp_eq_u64_e64 s[22:23], v[18:19], v[22:23]
	v_lshrrev_b64 v[18:19], v8, v[60:61]
	v_mov_b32_e32 v23, v19
	v_mov_b32_e32 v22, v18
	s_and_saveexec_b64 s[34:35], s[22:23]
; %bb.2182:                             ;   in Loop: Header=BB6_126 Depth=2
	v_bfe_u32 v9, v18, 20, 1
	v_add_co_u32_e64 v9, s[22:23], v18, v9
	v_add_co_u32_e64 v22, s[22:23], -1, v9
; %bb.2183:                             ;   in Loop: Header=BB6_126 Depth=2
	s_or_b64 exec, exec, s[34:35]
	v_add_u32_e32 v3, 0xffffff81, v3
	v_cndmask_b32_e32 v3, v3, v41, vcc
	v_lshrrev_b32_e32 v9, 23, v18
	v_add3_u32 v9, v8, v3, v9
	v_add_u32_e32 v8, 6, v9
	v_and_b32_e32 v3, 0xfffff, v22
	v_add_u32_e32 v60, v3, v18
	v_cmp_ne_u32_e32 vcc, 0, v8
                                        ; implicit-def: $vgpr18_vgpr19
                                        ; implicit-def: $vgpr3
	s_and_saveexec_b64 s[22:23], vcc
	s_xor_b64 s[22:23], exec, s[22:23]
; %bb.2184:                             ;   in Loop: Header=BB6_126 Depth=2
	v_cmp_lt_u64_e32 vcc, s[76:77], v[60:61]
	v_add_u32_e32 v3, 7, v9
	v_cndmask_b32_e32 v3, v8, v3, vcc
	v_cndmask_b32_e64 v8, 0, 1, vcc
	v_lshrrev_b64 v[18:19], v8, v[60:61]
; %bb.2185:                             ;   in Loop: Header=BB6_126 Depth=2
	s_andn2_saveexec_b64 s[22:23], s[22:23]
; %bb.2186:                             ;   in Loop: Header=BB6_126 Depth=2
	v_mov_b32_e32 v18, v60
	v_bfe_u32 v3, v60, 23, 1
	v_mov_b32_e32 v19, v61
; %bb.2187:                             ;   in Loop: Header=BB6_126 Depth=2
	s_or_b64 exec, exec, s[22:23]
	v_lshrrev_b64 v[8:9], 20, v[18:19]
	v_cmp_gt_i32_e32 vcc, 16, v3
	v_cndmask_b32_e32 v9, 0, v9, vcc
	v_cndmask_b32_e32 v8, 7, v8, vcc
	v_cmp_eq_u32_e32 vcc, 0, v3
	v_min_i32_e32 v3, 15, v3
	v_cmp_eq_u64_e64 s[22:23], 0, v[8:9]
	v_lshlrev_b32_e32 v3, 3, v3
	v_and_b32_e32 v3, 0xf8, v3
	v_and_or_b32 v3, v8, 7, v3
	s_and_b64 s[22:23], vcc, s[22:23]
	v_cndmask_b32_e64 v3, v3, 0, s[22:23]
	v_or_b32_e32 v8, v3, v2
.LBB6_2188:                             ;   in Loop: Header=BB6_126 Depth=2
	s_or_b64 exec, exec, s[30:31]
                                        ; implicit-def: $vgpr2
.LBB6_2189:                             ;   in Loop: Header=BB6_126 Depth=2
	s_andn2_saveexec_b64 s[22:23], s[94:95]
; %bb.2190:                             ;   in Loop: Header=BB6_126 Depth=2
	v_or_b32_e32 v8, 0x7e, v2
; %bb.2191:                             ;   in Loop: Header=BB6_126 Depth=2
	s_or_b64 exec, exec, s[22:23]
                                        ; implicit-def: $vgpr3
.LBB6_2192:                             ;   in Loop: Header=BB6_126 Depth=2
	s_andn2_saveexec_b64 s[22:23], s[92:93]
; %bb.2193:                             ;   in Loop: Header=BB6_126 Depth=2
	v_or_b32_sdwa v8, v3, s54 dst_sel:DWORD dst_unused:UNUSED_PAD src0_sel:BYTE_3 src1_sel:DWORD
; %bb.2194:                             ;   in Loop: Header=BB6_126 Depth=2
	s_or_b64 exec, exec, s[22:23]
	v_cmp_lt_u64_e64 s[22:23], s[78:79], v[24:25]
	v_lshrrev_b32_e32 v19, 24, v25
	v_lshrrev_b32_e32 v18, 24, v21
	s_and_b64 vcc, exec, s[20:21]
	s_mov_b64 s[92:93], -1
                                        ; implicit-def: $vgpr3
	s_cbranch_vccnz .LBB6_2208
; %bb.2195:                             ;   in Loop: Header=BB6_126 Depth=2
	v_mov_b32_e32 v3, 0
	v_mov_b32_e32 v2, 0
	s_and_saveexec_b64 s[92:93], s[22:23]
	s_cbranch_execz .LBB6_2201
; %bb.2196:                             ;   in Loop: Header=BB6_126 Depth=2
	v_cmp_ne_u32_e32 vcc, s53, v19
	v_bfrev_b32_e32 v2, 1
	s_and_saveexec_b64 s[94:95], vcc
	s_cbranch_execz .LBB6_2200
; %bb.2197:                             ;   in Loop: Header=BB6_126 Depth=2
	v_bfe_u32 v9, v25, 24, 7
	v_cmp_ne_u32_e32 vcc, s54, v9
	v_mov_b32_e32 v2, 0x7f800001
	s_and_saveexec_b64 s[30:31], vcc
	s_cbranch_execz .LBB6_2199
; %bb.2198:                             ;   in Loop: Header=BB6_126 Depth=2
	v_and_b32_e32 v2, 7, v19
	v_lshrrev_b32_e32 v24, 3, v9
	v_cmp_gt_u32_e32 vcc, 8, v9
	v_ffbh_u32_e32 v9, v2
	v_min_u32_e32 v9, 32, v9
	v_subrev_u32_e32 v22, 28, v9
	v_lshlrev_b64 v[22:23], v22, v[19:20]
	v_sub_u32_e32 v9, 29, v9
	v_and_b32_e32 v22, 7, v22
	v_cndmask_b32_e32 v9, v24, v9, vcc
	v_cndmask_b32_e32 v2, v2, v22, vcc
	v_lshlrev_b32_e32 v22, 24, v19
	v_lshlrev_b32_e32 v2, 20, v2
	v_and_b32_e32 v22, 0x80000000, v22
	v_lshl_add_u32 v9, v9, 23, v62
	v_or3_b32 v2, v22, v9, v2
.LBB6_2199:                             ;   in Loop: Header=BB6_126 Depth=2
	s_or_b64 exec, exec, s[30:31]
.LBB6_2200:                             ;   in Loop: Header=BB6_126 Depth=2
	s_or_b64 exec, exec, s[94:95]
.LBB6_2201:                             ;   in Loop: Header=BB6_126 Depth=2
	s_or_b64 exec, exec, s[92:93]
	v_cmp_lt_u64_e32 vcc, s[78:79], v[20:21]
	s_and_saveexec_b64 s[92:93], vcc
	s_cbranch_execz .LBB6_2207
; %bb.2202:                             ;   in Loop: Header=BB6_126 Depth=2
	v_cmp_ne_u32_e32 vcc, s53, v18
	v_bfrev_b32_e32 v3, 1
	s_and_saveexec_b64 s[94:95], vcc
	s_cbranch_execz .LBB6_2206
; %bb.2203:                             ;   in Loop: Header=BB6_126 Depth=2
	v_bfe_u32 v9, v21, 24, 7
	v_cmp_ne_u32_e32 vcc, s54, v9
	v_mov_b32_e32 v3, 0x7f800001
	s_and_saveexec_b64 s[30:31], vcc
	s_cbranch_execz .LBB6_2205
; %bb.2204:                             ;   in Loop: Header=BB6_126 Depth=2
	v_and_b32_e32 v3, 7, v18
	v_lshrrev_b32_e32 v24, 3, v9
	v_cmp_gt_u32_e32 vcc, 8, v9
	v_ffbh_u32_e32 v9, v3
	v_min_u32_e32 v9, 32, v9
	v_subrev_u32_e32 v22, 28, v9
	v_lshlrev_b64 v[22:23], v22, v[18:19]
	v_sub_u32_e32 v9, 29, v9
	v_and_b32_e32 v22, 7, v22
	v_cndmask_b32_e32 v9, v24, v9, vcc
	v_cndmask_b32_e32 v3, v3, v22, vcc
	v_lshlrev_b32_e32 v22, 24, v18
	v_lshlrev_b32_e32 v3, 20, v3
	v_and_b32_e32 v22, 0x80000000, v22
	v_lshl_add_u32 v9, v9, 23, v62
	v_or3_b32 v3, v22, v9, v3
.LBB6_2205:                             ;   in Loop: Header=BB6_126 Depth=2
	s_or_b64 exec, exec, s[30:31]
.LBB6_2206:                             ;   in Loop: Header=BB6_126 Depth=2
	s_or_b64 exec, exec, s[94:95]
.LBB6_2207:                             ;   in Loop: Header=BB6_126 Depth=2
	s_or_b64 exec, exec, s[92:93]
	v_max_f32_e32 v3, v3, v3
	v_max_f32_e32 v2, v2, v2
	v_max_f32_e32 v3, v2, v3
	s_mov_b64 s[92:93], 0
.LBB6_2208:                             ;   in Loop: Header=BB6_126 Depth=2
	s_and_b64 vcc, exec, s[92:93]
	s_cbranch_vccz .LBB6_2222
; %bb.2209:                             ;   in Loop: Header=BB6_126 Depth=2
	v_mov_b32_e32 v3, 0
	v_mov_b32_e32 v2, 0
	s_and_saveexec_b64 s[92:93], s[22:23]
	s_cbranch_execz .LBB6_2215
; %bb.2210:                             ;   in Loop: Header=BB6_126 Depth=2
	v_cmp_ne_u32_e32 vcc, s53, v19
	v_bfrev_b32_e32 v2, 1
	s_and_saveexec_b64 s[22:23], vcc
	s_cbranch_execz .LBB6_2214
; %bb.2211:                             ;   in Loop: Header=BB6_126 Depth=2
	v_bfe_u32 v9, v25, 24, 7
	v_cmp_ne_u32_e32 vcc, s54, v9
	v_mov_b32_e32 v2, 0x7f800001
	s_and_saveexec_b64 s[94:95], vcc
	s_cbranch_execz .LBB6_2213
; %bb.2212:                             ;   in Loop: Header=BB6_126 Depth=2
	v_and_b32_e32 v2, 7, v19
	v_lshrrev_b32_e32 v24, 3, v9
	v_cmp_gt_u32_e32 vcc, 8, v9
	v_ffbh_u32_e32 v9, v2
	v_min_u32_e32 v9, 32, v9
	v_subrev_u32_e32 v22, 28, v9
	v_lshlrev_b64 v[22:23], v22, v[19:20]
	v_sub_u32_e32 v9, 29, v9
	v_and_b32_e32 v22, 7, v22
	v_cndmask_b32_e32 v9, v24, v9, vcc
	v_cndmask_b32_e32 v2, v2, v22, vcc
	v_lshlrev_b32_e32 v19, 24, v19
	v_lshlrev_b32_e32 v2, 20, v2
	v_and_b32_e32 v19, 0x80000000, v19
	v_lshl_add_u32 v9, v9, 23, v62
	v_or3_b32 v2, v19, v9, v2
.LBB6_2213:                             ;   in Loop: Header=BB6_126 Depth=2
	s_or_b64 exec, exec, s[94:95]
.LBB6_2214:                             ;   in Loop: Header=BB6_126 Depth=2
	s_or_b64 exec, exec, s[22:23]
.LBB6_2215:                             ;   in Loop: Header=BB6_126 Depth=2
	s_or_b64 exec, exec, s[92:93]
	v_cmp_lt_u64_e32 vcc, s[78:79], v[20:21]
	s_and_saveexec_b64 s[22:23], vcc
	s_cbranch_execz .LBB6_2221
; %bb.2216:                             ;   in Loop: Header=BB6_126 Depth=2
	v_cmp_ne_u32_e32 vcc, s53, v18
	v_bfrev_b32_e32 v3, 1
	s_and_saveexec_b64 s[92:93], vcc
	s_cbranch_execz .LBB6_2220
; %bb.2217:                             ;   in Loop: Header=BB6_126 Depth=2
	v_bfe_u32 v9, v21, 24, 7
	v_cmp_ne_u32_e32 vcc, s54, v9
	v_mov_b32_e32 v3, 0x7f800001
	s_and_saveexec_b64 s[94:95], vcc
	s_cbranch_execz .LBB6_2219
; %bb.2218:                             ;   in Loop: Header=BB6_126 Depth=2
	v_and_b32_e32 v3, 7, v18
	v_lshrrev_b32_e32 v21, 3, v9
	v_cmp_gt_u32_e32 vcc, 8, v9
	v_ffbh_u32_e32 v9, v3
	v_min_u32_e32 v9, 32, v9
	v_subrev_u32_e32 v19, 28, v9
	v_lshlrev_b64 v[19:20], v19, v[18:19]
	v_sub_u32_e32 v9, 29, v9
	v_and_b32_e32 v19, 7, v19
	v_cndmask_b32_e32 v9, v21, v9, vcc
	v_cndmask_b32_e32 v3, v3, v19, vcc
	v_lshlrev_b32_e32 v18, 24, v18
	v_lshlrev_b32_e32 v3, 20, v3
	v_and_b32_e32 v18, 0x80000000, v18
	v_lshl_add_u32 v9, v9, 23, v62
	v_or3_b32 v3, v18, v9, v3
.LBB6_2219:                             ;   in Loop: Header=BB6_126 Depth=2
	s_or_b64 exec, exec, s[94:95]
.LBB6_2220:                             ;   in Loop: Header=BB6_126 Depth=2
	s_or_b64 exec, exec, s[92:93]
.LBB6_2221:                             ;   in Loop: Header=BB6_126 Depth=2
	s_or_b64 exec, exec, s[22:23]
	v_max_f32_e32 v3, v3, v3
	v_max_f32_e32 v2, v2, v2
	v_min_f32_e32 v3, v2, v3
.LBB6_2222:                             ;   in Loop: Header=BB6_126 Depth=2
	v_and_b32_e32 v60, 0x7f800000, v3
	v_cmp_ne_u64_e32 vcc, s[72:73], v[60:61]
                                        ; implicit-def: $vgpr9
	s_and_saveexec_b64 s[22:23], vcc
	s_xor_b64 s[92:93], exec, s[22:23]
	s_cbranch_execz .LBB6_2236
; %bb.2223:                             ;   in Loop: Header=BB6_126 Depth=2
	v_and_b32_e32 v60, 0x7fffffff, v3
	v_cmp_gt_u64_e32 vcc, s[74:75], v[60:61]
	v_and_b32_sdwa v2, v3, s53 dst_sel:DWORD dst_unused:UNUSED_PAD src0_sel:BYTE_3 src1_sel:DWORD
                                        ; implicit-def: $vgpr9
	s_and_saveexec_b64 s[22:23], vcc
	s_xor_b64 s[94:95], exec, s[22:23]
	s_cbranch_execz .LBB6_2233
; %bb.2224:                             ;   in Loop: Header=BB6_126 Depth=2
	v_mov_b32_e32 v9, 0
	v_cmp_ne_u32_e32 vcc, 0, v3
	s_and_saveexec_b64 s[30:31], vcc
	s_cbranch_execz .LBB6_2232
; %bb.2225:                             ;   in Loop: Header=BB6_126 Depth=2
	v_and_b32_e32 v18, 0x7fffff, v3
	v_bfe_u32 v3, v3, 23, 8
	v_cmp_gt_u32_e64 s[22:23], s64, v3
	v_sub_u32_e32 v9, 0x79, v3
	v_cmp_eq_u32_e32 vcc, 0, v3
	v_cndmask_b32_e64 v9, 0, v9, s[22:23]
	v_mov_b32_e32 v20, 0x78
	v_or_b32_e32 v19, 0x800000, v18
	v_cndmask_b32_e32 v9, v9, v20, vcc
	v_cndmask_b32_e32 v60, v19, v18, vcc
	v_add_u32_e32 v18, 20, v9
	v_lshlrev_b64 v[18:19], v18, -1
	v_add_u32_e32 v20, 19, v9
	v_lshlrev_b64 v[20:21], v20, 1
	v_bfi_b32 v19, v19, 0, 0
	v_bfi_b32 v18, v18, 0, v60
	v_cmp_eq_u64_e64 s[22:23], v[18:19], v[20:21]
	v_lshrrev_b64 v[18:19], v9, v[60:61]
	v_mov_b32_e32 v20, v19
	v_mov_b32_e32 v19, v18
	s_and_saveexec_b64 s[34:35], s[22:23]
; %bb.2226:                             ;   in Loop: Header=BB6_126 Depth=2
	v_bfe_u32 v19, v18, 20, 1
	v_add_co_u32_e64 v19, s[22:23], v18, v19
	v_add_co_u32_e64 v19, s[22:23], -1, v19
; %bb.2227:                             ;   in Loop: Header=BB6_126 Depth=2
	s_or_b64 exec, exec, s[34:35]
	v_add_u32_e32 v3, 0xffffff81, v3
	v_cndmask_b32_e32 v3, v3, v41, vcc
	v_lshrrev_b32_e32 v20, 23, v18
	v_add3_u32 v20, v9, v3, v20
	v_add_u32_e32 v9, 6, v20
	v_and_b32_e32 v3, 0xfffff, v19
	v_add_u32_e32 v60, v3, v18
	v_cmp_ne_u32_e32 vcc, 0, v9
                                        ; implicit-def: $vgpr18_vgpr19
                                        ; implicit-def: $vgpr3
	s_and_saveexec_b64 s[22:23], vcc
	s_xor_b64 s[22:23], exec, s[22:23]
; %bb.2228:                             ;   in Loop: Header=BB6_126 Depth=2
	v_cmp_lt_u64_e32 vcc, s[76:77], v[60:61]
	v_add_u32_e32 v3, 7, v20
	v_cndmask_b32_e32 v3, v9, v3, vcc
	v_cndmask_b32_e64 v9, 0, 1, vcc
	v_lshrrev_b64 v[18:19], v9, v[60:61]
; %bb.2229:                             ;   in Loop: Header=BB6_126 Depth=2
	s_andn2_saveexec_b64 s[22:23], s[22:23]
; %bb.2230:                             ;   in Loop: Header=BB6_126 Depth=2
	v_mov_b32_e32 v18, v60
	v_bfe_u32 v3, v60, 23, 1
	v_mov_b32_e32 v19, v61
; %bb.2231:                             ;   in Loop: Header=BB6_126 Depth=2
	s_or_b64 exec, exec, s[22:23]
	v_lshrrev_b64 v[18:19], 20, v[18:19]
	v_cmp_gt_i32_e32 vcc, 16, v3
	v_cndmask_b32_e32 v19, 0, v19, vcc
	v_cndmask_b32_e32 v18, 7, v18, vcc
	v_cmp_eq_u32_e32 vcc, 0, v3
	v_min_i32_e32 v3, 15, v3
	v_cmp_eq_u64_e64 s[22:23], 0, v[18:19]
	v_lshlrev_b32_e32 v3, 3, v3
	v_and_b32_e32 v3, 0xf8, v3
	v_and_or_b32 v3, v18, 7, v3
	s_and_b64 s[22:23], vcc, s[22:23]
	v_cndmask_b32_e64 v3, v3, 0, s[22:23]
	v_or_b32_e32 v9, v3, v2
.LBB6_2232:                             ;   in Loop: Header=BB6_126 Depth=2
	s_or_b64 exec, exec, s[30:31]
                                        ; implicit-def: $vgpr2
.LBB6_2233:                             ;   in Loop: Header=BB6_126 Depth=2
	s_andn2_saveexec_b64 s[22:23], s[94:95]
; %bb.2234:                             ;   in Loop: Header=BB6_126 Depth=2
	v_or_b32_e32 v9, 0x7e, v2
; %bb.2235:                             ;   in Loop: Header=BB6_126 Depth=2
	s_or_b64 exec, exec, s[22:23]
                                        ; implicit-def: $vgpr3
.LBB6_2236:                             ;   in Loop: Header=BB6_126 Depth=2
	s_andn2_saveexec_b64 s[22:23], s[92:93]
; %bb.2237:                             ;   in Loop: Header=BB6_126 Depth=2
	v_or_b32_sdwa v9, v3, s54 dst_sel:DWORD dst_unused:UNUSED_PAD src0_sel:BYTE_3 src1_sel:DWORD
; %bb.2238:                             ;   in Loop: Header=BB6_126 Depth=2
	s_or_b64 exec, exec, s[22:23]
	v_cmp_ne_u16_sdwa s[22:23], v14, v61 src0_sel:BYTE_0 src1_sel:DWORD
	s_and_b64 vcc, exec, s[20:21]
	s_mov_b64 s[92:93], -1
                                        ; implicit-def: $vgpr3
	s_cbranch_vccnz .LBB6_2252
; %bb.2239:                             ;   in Loop: Header=BB6_126 Depth=2
	v_mov_b32_e32 v3, 0
	v_mov_b32_e32 v2, 0
	s_and_saveexec_b64 s[92:93], s[22:23]
	s_cbranch_execz .LBB6_2245
; %bb.2240:                             ;   in Loop: Header=BB6_126 Depth=2
	v_cmp_ne_u16_sdwa vcc, v14, s53 src0_sel:BYTE_0 src1_sel:DWORD
	v_bfrev_b32_e32 v2, 1
	s_and_saveexec_b64 s[94:95], vcc
	s_cbranch_execz .LBB6_2244
; %bb.2241:                             ;   in Loop: Header=BB6_126 Depth=2
	v_and_b32_e32 v18, 0x7f, v14
	v_cmp_ne_u32_e32 vcc, s54, v18
	v_mov_b32_e32 v2, 0x7f800001
	s_and_saveexec_b64 s[30:31], vcc
	s_cbranch_execz .LBB6_2243
; %bb.2242:                             ;   in Loop: Header=BB6_126 Depth=2
	v_and_b32_e32 v2, 7, v14
	v_ffbh_u32_e32 v2, v2
	v_min_u32_e32 v2, 32, v2
	v_lshrrev_b32_e32 v19, 3, v18
	v_cmp_gt_u32_e32 vcc, 8, v18
	v_subrev_u32_e32 v18, 28, v2
	v_sub_u32_e32 v2, 29, v2
	v_cndmask_b32_e32 v18, 0, v18, vcc
	v_cndmask_b32_e32 v2, v19, v2, vcc
	v_lshlrev_b64 v[18:19], v18, v[14:15]
	v_lshlrev_b32_e32 v19, 24, v14
	v_lshlrev_b32_e32 v18, 20, v18
	v_and_b32_e32 v18, 0x700000, v18
	v_and_b32_e32 v19, 0x80000000, v19
	v_lshl_add_u32 v2, v2, 23, v62
	v_or3_b32 v2, v19, v2, v18
.LBB6_2243:                             ;   in Loop: Header=BB6_126 Depth=2
	s_or_b64 exec, exec, s[30:31]
.LBB6_2244:                             ;   in Loop: Header=BB6_126 Depth=2
	s_or_b64 exec, exec, s[94:95]
.LBB6_2245:                             ;   in Loop: Header=BB6_126 Depth=2
	s_or_b64 exec, exec, s[92:93]
	s_waitcnt vmcnt(19)
	v_cmp_ne_u16_sdwa s[94:95], v10, v61 src0_sel:BYTE_0 src1_sel:DWORD
	s_and_saveexec_b64 s[92:93], s[94:95]
	s_cbranch_execz .LBB6_2251
; %bb.2246:                             ;   in Loop: Header=BB6_126 Depth=2
	v_cmp_ne_u16_sdwa vcc, v10, s53 src0_sel:BYTE_0 src1_sel:DWORD
	v_bfrev_b32_e32 v3, 1
	s_and_saveexec_b64 s[94:95], vcc
	s_cbranch_execz .LBB6_2250
; %bb.2247:                             ;   in Loop: Header=BB6_126 Depth=2
	v_and_b32_e32 v18, 0x7f, v10
	v_cmp_ne_u32_e32 vcc, s54, v18
	v_mov_b32_e32 v3, 0x7f800001
	s_and_saveexec_b64 s[30:31], vcc
	s_cbranch_execz .LBB6_2249
; %bb.2248:                             ;   in Loop: Header=BB6_126 Depth=2
	v_and_b32_e32 v3, 7, v10
	v_ffbh_u32_e32 v3, v3
	v_min_u32_e32 v3, 32, v3
	v_lshrrev_b32_e32 v19, 3, v18
	v_cmp_gt_u32_e32 vcc, 8, v18
	v_subrev_u32_e32 v18, 28, v3
	v_sub_u32_e32 v3, 29, v3
	v_cndmask_b32_e32 v18, 0, v18, vcc
	v_cndmask_b32_e32 v3, v19, v3, vcc
	v_lshlrev_b64 v[18:19], v18, v[10:11]
	v_lshlrev_b32_e32 v19, 24, v10
	v_lshlrev_b32_e32 v18, 20, v18
	v_and_b32_e32 v18, 0x700000, v18
	v_and_b32_e32 v19, 0x80000000, v19
	v_lshl_add_u32 v3, v3, 23, v62
	v_or3_b32 v3, v19, v3, v18
.LBB6_2249:                             ;   in Loop: Header=BB6_126 Depth=2
	s_or_b64 exec, exec, s[30:31]
.LBB6_2250:                             ;   in Loop: Header=BB6_126 Depth=2
	s_or_b64 exec, exec, s[94:95]
.LBB6_2251:                             ;   in Loop: Header=BB6_126 Depth=2
	s_or_b64 exec, exec, s[92:93]
	v_max_f32_e32 v3, v3, v3
	v_max_f32_e32 v2, v2, v2
	;; [unrolled: 1-line block ×3, first 2 shown]
	s_mov_b64 s[92:93], 0
.LBB6_2252:                             ;   in Loop: Header=BB6_126 Depth=2
	s_and_b64 vcc, exec, s[92:93]
	s_cbranch_vccz .LBB6_2266
; %bb.2253:                             ;   in Loop: Header=BB6_126 Depth=2
	v_mov_b32_e32 v3, 0
	v_mov_b32_e32 v2, 0
	s_and_saveexec_b64 s[92:93], s[22:23]
	s_cbranch_execz .LBB6_2259
; %bb.2254:                             ;   in Loop: Header=BB6_126 Depth=2
	v_cmp_ne_u16_sdwa s[94:95], v14, s53 src0_sel:BYTE_0 src1_sel:DWORD
	v_bfrev_b32_e32 v2, 1
	s_and_saveexec_b64 s[22:23], s[94:95]
	s_cbranch_execz .LBB6_2258
; %bb.2255:                             ;   in Loop: Header=BB6_126 Depth=2
	v_and_b32_e32 v18, 0x7f, v14
	v_cmp_ne_u32_e32 vcc, s54, v18
	v_mov_b32_e32 v2, 0x7f800001
	s_and_saveexec_b64 s[94:95], vcc
	s_cbranch_execz .LBB6_2257
; %bb.2256:                             ;   in Loop: Header=BB6_126 Depth=2
	v_and_b32_e32 v2, 7, v14
	v_ffbh_u32_e32 v2, v2
	v_min_u32_e32 v2, 32, v2
	v_lshrrev_b32_e32 v19, 3, v18
	v_cmp_gt_u32_e32 vcc, 8, v18
	v_subrev_u32_e32 v18, 28, v2
	v_sub_u32_e32 v2, 29, v2
	v_cndmask_b32_e32 v18, 0, v18, vcc
	v_cndmask_b32_e32 v2, v19, v2, vcc
	v_lshlrev_b64 v[18:19], v18, v[14:15]
	v_lshlrev_b32_e32 v19, 24, v14
	v_lshlrev_b32_e32 v18, 20, v18
	v_and_b32_e32 v18, 0x700000, v18
	v_and_b32_e32 v19, 0x80000000, v19
	v_lshl_add_u32 v2, v2, 23, v62
	v_or3_b32 v2, v19, v2, v18
.LBB6_2257:                             ;   in Loop: Header=BB6_126 Depth=2
	s_or_b64 exec, exec, s[94:95]
.LBB6_2258:                             ;   in Loop: Header=BB6_126 Depth=2
	s_or_b64 exec, exec, s[22:23]
.LBB6_2259:                             ;   in Loop: Header=BB6_126 Depth=2
	s_or_b64 exec, exec, s[92:93]
	s_waitcnt vmcnt(19)
	v_cmp_ne_u16_sdwa s[92:93], v10, v61 src0_sel:BYTE_0 src1_sel:DWORD
	s_and_saveexec_b64 s[22:23], s[92:93]
	s_cbranch_execz .LBB6_2265
; %bb.2260:                             ;   in Loop: Header=BB6_126 Depth=2
	v_cmp_ne_u16_sdwa s[94:95], v10, s53 src0_sel:BYTE_0 src1_sel:DWORD
	v_bfrev_b32_e32 v3, 1
	s_and_saveexec_b64 s[92:93], s[94:95]
	s_cbranch_execz .LBB6_2264
; %bb.2261:                             ;   in Loop: Header=BB6_126 Depth=2
	v_and_b32_e32 v18, 0x7f, v10
	v_cmp_ne_u32_e32 vcc, s54, v18
	v_mov_b32_e32 v3, 0x7f800001
	s_and_saveexec_b64 s[94:95], vcc
	s_cbranch_execz .LBB6_2263
; %bb.2262:                             ;   in Loop: Header=BB6_126 Depth=2
	v_and_b32_e32 v3, 7, v10
	v_ffbh_u32_e32 v3, v3
	v_min_u32_e32 v3, 32, v3
	v_lshrrev_b32_e32 v19, 3, v18
	v_cmp_gt_u32_e32 vcc, 8, v18
	v_subrev_u32_e32 v18, 28, v3
	v_sub_u32_e32 v3, 29, v3
	v_cndmask_b32_e32 v18, 0, v18, vcc
	v_cndmask_b32_e32 v3, v19, v3, vcc
	v_lshlrev_b64 v[18:19], v18, v[10:11]
	v_lshlrev_b32_e32 v19, 24, v10
	v_lshlrev_b32_e32 v18, 20, v18
	v_and_b32_e32 v18, 0x700000, v18
	v_and_b32_e32 v19, 0x80000000, v19
	v_lshl_add_u32 v3, v3, 23, v62
	v_or3_b32 v3, v19, v3, v18
.LBB6_2263:                             ;   in Loop: Header=BB6_126 Depth=2
	s_or_b64 exec, exec, s[94:95]
.LBB6_2264:                             ;   in Loop: Header=BB6_126 Depth=2
	s_or_b64 exec, exec, s[92:93]
.LBB6_2265:                             ;   in Loop: Header=BB6_126 Depth=2
	s_or_b64 exec, exec, s[22:23]
	v_max_f32_e32 v3, v3, v3
	v_max_f32_e32 v2, v2, v2
	v_min_f32_e32 v3, v2, v3
.LBB6_2266:                             ;   in Loop: Header=BB6_126 Depth=2
	v_and_b32_e32 v60, 0x7f800000, v3
	v_cmp_ne_u64_e32 vcc, s[72:73], v[60:61]
                                        ; implicit-def: $vgpr22
	s_and_saveexec_b64 s[22:23], vcc
	s_xor_b64 s[92:93], exec, s[22:23]
	s_cbranch_execz .LBB6_2280
; %bb.2267:                             ;   in Loop: Header=BB6_126 Depth=2
	v_and_b32_e32 v60, 0x7fffffff, v3
	v_cmp_gt_u64_e32 vcc, s[74:75], v[60:61]
	v_and_b32_sdwa v2, v3, s53 dst_sel:DWORD dst_unused:UNUSED_PAD src0_sel:BYTE_3 src1_sel:DWORD
                                        ; implicit-def: $vgpr22
	s_and_saveexec_b64 s[22:23], vcc
	s_xor_b64 s[94:95], exec, s[22:23]
	s_cbranch_execz .LBB6_2277
; %bb.2268:                             ;   in Loop: Header=BB6_126 Depth=2
	v_mov_b32_e32 v22, 0
	v_cmp_ne_u32_e32 vcc, 0, v3
	s_and_saveexec_b64 s[30:31], vcc
	s_cbranch_execz .LBB6_2276
; %bb.2269:                             ;   in Loop: Header=BB6_126 Depth=2
	v_and_b32_e32 v18, 0x7fffff, v3
	v_bfe_u32 v3, v3, 23, 8
	v_cmp_gt_u32_e64 s[22:23], s64, v3
	v_sub_u32_e32 v19, 0x79, v3
	v_cmp_eq_u32_e32 vcc, 0, v3
	v_cndmask_b32_e64 v19, 0, v19, s[22:23]
	v_mov_b32_e32 v21, 0x78
	v_or_b32_e32 v20, 0x800000, v18
	v_cndmask_b32_e32 v21, v19, v21, vcc
	v_cndmask_b32_e32 v60, v20, v18, vcc
	v_add_u32_e32 v18, 20, v21
	v_lshlrev_b64 v[18:19], v18, -1
	v_add_u32_e32 v20, 19, v21
	v_lshlrev_b64 v[22:23], v20, 1
	v_bfi_b32 v19, v19, 0, 0
	v_bfi_b32 v18, v18, 0, v60
	v_cmp_eq_u64_e64 s[22:23], v[18:19], v[22:23]
	v_lshrrev_b64 v[18:19], v21, v[60:61]
	v_mov_b32_e32 v20, v19
	v_mov_b32_e32 v19, v18
	s_and_saveexec_b64 s[34:35], s[22:23]
; %bb.2270:                             ;   in Loop: Header=BB6_126 Depth=2
	v_bfe_u32 v19, v18, 20, 1
	v_add_co_u32_e64 v19, s[22:23], v18, v19
	v_add_co_u32_e64 v19, s[22:23], -1, v19
; %bb.2271:                             ;   in Loop: Header=BB6_126 Depth=2
	s_or_b64 exec, exec, s[34:35]
	v_add_u32_e32 v3, 0xffffff81, v3
	v_cndmask_b32_e32 v3, v3, v41, vcc
	v_lshrrev_b32_e32 v20, 23, v18
	v_add3_u32 v21, v21, v3, v20
	v_add_u32_e32 v20, 6, v21
	v_and_b32_e32 v3, 0xfffff, v19
	v_add_u32_e32 v60, v3, v18
	v_cmp_ne_u32_e32 vcc, 0, v20
                                        ; implicit-def: $vgpr18_vgpr19
                                        ; implicit-def: $vgpr3
	s_and_saveexec_b64 s[22:23], vcc
	s_xor_b64 s[22:23], exec, s[22:23]
; %bb.2272:                             ;   in Loop: Header=BB6_126 Depth=2
	v_cmp_lt_u64_e32 vcc, s[76:77], v[60:61]
	v_add_u32_e32 v3, 7, v21
	v_cndmask_b32_e64 v18, 0, 1, vcc
	v_lshrrev_b64 v[18:19], v18, v[60:61]
	v_cndmask_b32_e32 v3, v20, v3, vcc
; %bb.2273:                             ;   in Loop: Header=BB6_126 Depth=2
	s_andn2_saveexec_b64 s[22:23], s[22:23]
; %bb.2274:                             ;   in Loop: Header=BB6_126 Depth=2
	v_mov_b32_e32 v18, v60
	v_bfe_u32 v3, v60, 23, 1
	v_mov_b32_e32 v19, v61
; %bb.2275:                             ;   in Loop: Header=BB6_126 Depth=2
	s_or_b64 exec, exec, s[22:23]
	v_lshrrev_b64 v[18:19], 20, v[18:19]
	v_cmp_gt_i32_e32 vcc, 16, v3
	v_cndmask_b32_e32 v19, 0, v19, vcc
	v_cndmask_b32_e32 v18, 7, v18, vcc
	v_cmp_eq_u32_e32 vcc, 0, v3
	v_min_i32_e32 v3, 15, v3
	v_cmp_eq_u64_e64 s[22:23], 0, v[18:19]
	v_lshlrev_b32_e32 v3, 3, v3
	v_and_b32_e32 v3, 0xf8, v3
	v_and_or_b32 v3, v18, 7, v3
	s_and_b64 s[22:23], vcc, s[22:23]
	v_cndmask_b32_e64 v3, v3, 0, s[22:23]
	v_or_b32_e32 v22, v3, v2
.LBB6_2276:                             ;   in Loop: Header=BB6_126 Depth=2
	s_or_b64 exec, exec, s[30:31]
                                        ; implicit-def: $vgpr2
.LBB6_2277:                             ;   in Loop: Header=BB6_126 Depth=2
	s_andn2_saveexec_b64 s[22:23], s[94:95]
; %bb.2278:                             ;   in Loop: Header=BB6_126 Depth=2
	v_or_b32_e32 v22, 0x7e, v2
; %bb.2279:                             ;   in Loop: Header=BB6_126 Depth=2
	s_or_b64 exec, exec, s[22:23]
                                        ; implicit-def: $vgpr3
.LBB6_2280:                             ;   in Loop: Header=BB6_126 Depth=2
	s_andn2_saveexec_b64 s[22:23], s[92:93]
; %bb.2281:                             ;   in Loop: Header=BB6_126 Depth=2
	v_or_b32_sdwa v22, v3, s54 dst_sel:DWORD dst_unused:UNUSED_PAD src0_sel:BYTE_3 src1_sel:DWORD
; %bb.2282:                             ;   in Loop: Header=BB6_126 Depth=2
	s_or_b64 exec, exec, s[22:23]
	v_lshrrev_b16_e32 v19, 8, v14
	s_waitcnt vmcnt(19)
	v_lshrrev_b16_e32 v18, 8, v10
	v_cmp_ne_u16_e64 s[22:23], 0, v19
	s_and_b64 vcc, exec, s[20:21]
	s_mov_b64 s[92:93], -1
                                        ; implicit-def: $vgpr3
	s_cbranch_vccnz .LBB6_2296
; %bb.2283:                             ;   in Loop: Header=BB6_126 Depth=2
	v_mov_b32_e32 v3, 0
	v_mov_b32_e32 v2, 0
	s_and_saveexec_b64 s[92:93], s[22:23]
	s_cbranch_execz .LBB6_2289
; %bb.2284:                             ;   in Loop: Header=BB6_126 Depth=2
	v_cmp_ne_u16_e32 vcc, s53, v19
	v_bfrev_b32_e32 v2, 1
	s_and_saveexec_b64 s[94:95], vcc
	s_cbranch_execz .LBB6_2288
; %bb.2285:                             ;   in Loop: Header=BB6_126 Depth=2
	v_and_b32_e32 v20, 0x7f, v19
	v_cmp_ne_u32_e32 vcc, s54, v20
	v_mov_b32_e32 v2, 0x7f800001
	s_and_saveexec_b64 s[30:31], vcc
	s_cbranch_execz .LBB6_2287
; %bb.2286:                             ;   in Loop: Header=BB6_126 Depth=2
	v_and_b32_e32 v2, 7, v19
	v_lshrrev_b32_e32 v23, 3, v20
	v_cmp_gt_u32_e32 vcc, 8, v20
	v_ffbh_u32_e32 v20, v2
	v_min_u32_e32 v24, 32, v20
	v_subrev_u32_e32 v20, 28, v24
	v_lshlrev_b64 v[20:21], v20, v[19:20]
	v_sub_u32_e32 v21, 29, v24
	v_and_b32_e32 v20, 7, v20
	v_cndmask_b32_e32 v21, v23, v21, vcc
	v_cndmask_b32_e32 v2, v2, v20, vcc
	v_lshlrev_b32_e32 v20, 16, v14
	v_lshlrev_b32_e32 v2, 20, v2
	v_and_b32_e32 v20, 0x80000000, v20
	v_lshl_add_u32 v21, v21, 23, v62
	v_or3_b32 v2, v20, v21, v2
.LBB6_2287:                             ;   in Loop: Header=BB6_126 Depth=2
	s_or_b64 exec, exec, s[30:31]
.LBB6_2288:                             ;   in Loop: Header=BB6_126 Depth=2
	s_or_b64 exec, exec, s[94:95]
.LBB6_2289:                             ;   in Loop: Header=BB6_126 Depth=2
	s_or_b64 exec, exec, s[92:93]
	v_cmp_ne_u16_e32 vcc, 0, v18
	s_and_saveexec_b64 s[92:93], vcc
	s_cbranch_execz .LBB6_2295
; %bb.2290:                             ;   in Loop: Header=BB6_126 Depth=2
	v_cmp_ne_u16_e32 vcc, s53, v18
	v_bfrev_b32_e32 v3, 1
	s_and_saveexec_b64 s[94:95], vcc
	s_cbranch_execz .LBB6_2294
; %bb.2291:                             ;   in Loop: Header=BB6_126 Depth=2
	v_and_b32_e32 v20, 0x7f, v18
	v_cmp_ne_u32_e32 vcc, s54, v20
	v_mov_b32_e32 v3, 0x7f800001
	s_and_saveexec_b64 s[30:31], vcc
	s_cbranch_execz .LBB6_2293
; %bb.2292:                             ;   in Loop: Header=BB6_126 Depth=2
	v_and_b32_e32 v3, 7, v18
	v_lshrrev_b32_e32 v23, 3, v20
	v_cmp_gt_u32_e32 vcc, 8, v20
	v_ffbh_u32_e32 v20, v3
	v_min_u32_e32 v24, 32, v20
	v_subrev_u32_e32 v20, 28, v24
	v_lshlrev_b64 v[20:21], v20, v[18:19]
	v_sub_u32_e32 v21, 29, v24
	v_and_b32_e32 v20, 7, v20
	v_cndmask_b32_e32 v21, v23, v21, vcc
	v_cndmask_b32_e32 v3, v3, v20, vcc
	v_lshlrev_b32_e32 v20, 16, v10
	v_lshlrev_b32_e32 v3, 20, v3
	v_and_b32_e32 v20, 0x80000000, v20
	v_lshl_add_u32 v21, v21, 23, v62
	v_or3_b32 v3, v20, v21, v3
.LBB6_2293:                             ;   in Loop: Header=BB6_126 Depth=2
	s_or_b64 exec, exec, s[30:31]
.LBB6_2294:                             ;   in Loop: Header=BB6_126 Depth=2
	s_or_b64 exec, exec, s[94:95]
.LBB6_2295:                             ;   in Loop: Header=BB6_126 Depth=2
	s_or_b64 exec, exec, s[92:93]
	v_max_f32_e32 v3, v3, v3
	v_max_f32_e32 v2, v2, v2
	;; [unrolled: 1-line block ×3, first 2 shown]
	s_mov_b64 s[92:93], 0
.LBB6_2296:                             ;   in Loop: Header=BB6_126 Depth=2
	s_and_b64 vcc, exec, s[92:93]
	s_cbranch_vccz .LBB6_2310
; %bb.2297:                             ;   in Loop: Header=BB6_126 Depth=2
	v_mov_b32_e32 v3, 0
	v_mov_b32_e32 v2, 0
	s_and_saveexec_b64 s[92:93], s[22:23]
	s_cbranch_execz .LBB6_2303
; %bb.2298:                             ;   in Loop: Header=BB6_126 Depth=2
	v_cmp_ne_u16_e32 vcc, s53, v19
	v_bfrev_b32_e32 v2, 1
	s_and_saveexec_b64 s[22:23], vcc
	s_cbranch_execz .LBB6_2302
; %bb.2299:                             ;   in Loop: Header=BB6_126 Depth=2
	v_and_b32_e32 v20, 0x7f, v19
	v_cmp_ne_u32_e32 vcc, s54, v20
	v_mov_b32_e32 v2, 0x7f800001
	s_and_saveexec_b64 s[94:95], vcc
	s_cbranch_execz .LBB6_2301
; %bb.2300:                             ;   in Loop: Header=BB6_126 Depth=2
	v_and_b32_e32 v2, 7, v19
	v_lshrrev_b32_e32 v21, 3, v20
	v_cmp_gt_u32_e32 vcc, 8, v20
	v_ffbh_u32_e32 v20, v2
	v_min_u32_e32 v23, 32, v20
	v_subrev_u32_e32 v20, 28, v23
	v_lshlrev_b64 v[19:20], v20, v[19:20]
	v_sub_u32_e32 v20, 29, v23
	v_and_b32_e32 v19, 7, v19
	v_cndmask_b32_e32 v20, v21, v20, vcc
	v_cndmask_b32_e32 v2, v2, v19, vcc
	v_lshlrev_b32_e32 v19, 16, v14
	v_lshlrev_b32_e32 v2, 20, v2
	v_and_b32_e32 v19, 0x80000000, v19
	v_lshl_add_u32 v20, v20, 23, v62
	v_or3_b32 v2, v19, v20, v2
.LBB6_2301:                             ;   in Loop: Header=BB6_126 Depth=2
	s_or_b64 exec, exec, s[94:95]
.LBB6_2302:                             ;   in Loop: Header=BB6_126 Depth=2
	s_or_b64 exec, exec, s[22:23]
.LBB6_2303:                             ;   in Loop: Header=BB6_126 Depth=2
	s_or_b64 exec, exec, s[92:93]
	v_cmp_ne_u16_e32 vcc, 0, v18
	s_and_saveexec_b64 s[22:23], vcc
	s_cbranch_execz .LBB6_2309
; %bb.2304:                             ;   in Loop: Header=BB6_126 Depth=2
	v_cmp_ne_u16_e32 vcc, s53, v18
	v_bfrev_b32_e32 v3, 1
	s_and_saveexec_b64 s[92:93], vcc
	s_cbranch_execz .LBB6_2308
; %bb.2305:                             ;   in Loop: Header=BB6_126 Depth=2
	v_and_b32_e32 v19, 0x7f, v18
	v_cmp_ne_u32_e32 vcc, s54, v19
	v_mov_b32_e32 v3, 0x7f800001
	s_and_saveexec_b64 s[94:95], vcc
	s_cbranch_execz .LBB6_2307
; %bb.2306:                             ;   in Loop: Header=BB6_126 Depth=2
	v_and_b32_e32 v3, 7, v18
	v_lshrrev_b32_e32 v20, 3, v19
	v_cmp_gt_u32_e32 vcc, 8, v19
	v_ffbh_u32_e32 v19, v3
	v_min_u32_e32 v21, 32, v19
	v_subrev_u32_e32 v19, 28, v21
	v_lshlrev_b64 v[18:19], v19, v[18:19]
	v_sub_u32_e32 v19, 29, v21
	v_and_b32_e32 v18, 7, v18
	v_cndmask_b32_e32 v19, v20, v19, vcc
	v_cndmask_b32_e32 v3, v3, v18, vcc
	v_lshlrev_b32_e32 v18, 16, v10
	v_lshlrev_b32_e32 v3, 20, v3
	v_and_b32_e32 v18, 0x80000000, v18
	v_lshl_add_u32 v19, v19, 23, v62
	v_or3_b32 v3, v18, v19, v3
.LBB6_2307:                             ;   in Loop: Header=BB6_126 Depth=2
	s_or_b64 exec, exec, s[94:95]
.LBB6_2308:                             ;   in Loop: Header=BB6_126 Depth=2
	s_or_b64 exec, exec, s[92:93]
.LBB6_2309:                             ;   in Loop: Header=BB6_126 Depth=2
	s_or_b64 exec, exec, s[22:23]
	v_max_f32_e32 v3, v3, v3
	v_max_f32_e32 v2, v2, v2
	v_min_f32_e32 v3, v2, v3
.LBB6_2310:                             ;   in Loop: Header=BB6_126 Depth=2
	v_and_b32_e32 v60, 0x7f800000, v3
	v_cmp_ne_u64_e32 vcc, s[72:73], v[60:61]
                                        ; implicit-def: $vgpr23
	s_and_saveexec_b64 s[22:23], vcc
	s_xor_b64 s[92:93], exec, s[22:23]
	s_cbranch_execz .LBB6_2324
; %bb.2311:                             ;   in Loop: Header=BB6_126 Depth=2
	v_and_b32_e32 v60, 0x7fffffff, v3
	v_cmp_gt_u64_e32 vcc, s[74:75], v[60:61]
	v_and_b32_sdwa v2, v3, s53 dst_sel:DWORD dst_unused:UNUSED_PAD src0_sel:BYTE_3 src1_sel:DWORD
                                        ; implicit-def: $vgpr23
	s_and_saveexec_b64 s[22:23], vcc
	s_xor_b64 s[94:95], exec, s[22:23]
	s_cbranch_execz .LBB6_2321
; %bb.2312:                             ;   in Loop: Header=BB6_126 Depth=2
	v_mov_b32_e32 v23, 0
	v_cmp_ne_u32_e32 vcc, 0, v3
	s_and_saveexec_b64 s[30:31], vcc
	s_cbranch_execz .LBB6_2320
; %bb.2313:                             ;   in Loop: Header=BB6_126 Depth=2
	v_and_b32_e32 v18, 0x7fffff, v3
	v_bfe_u32 v3, v3, 23, 8
	v_cmp_gt_u32_e64 s[22:23], s64, v3
	v_sub_u32_e32 v19, 0x79, v3
	v_cmp_eq_u32_e32 vcc, 0, v3
	v_cndmask_b32_e64 v19, 0, v19, s[22:23]
	v_mov_b32_e32 v21, 0x78
	v_or_b32_e32 v20, 0x800000, v18
	v_cndmask_b32_e32 v21, v19, v21, vcc
	v_cndmask_b32_e32 v60, v20, v18, vcc
	v_add_u32_e32 v18, 20, v21
	v_lshlrev_b64 v[18:19], v18, -1
	v_add_u32_e32 v20, 19, v21
	v_lshlrev_b64 v[23:24], v20, 1
	v_bfi_b32 v19, v19, 0, 0
	v_bfi_b32 v18, v18, 0, v60
	v_cmp_eq_u64_e64 s[22:23], v[18:19], v[23:24]
	v_lshrrev_b64 v[18:19], v21, v[60:61]
	v_mov_b32_e32 v20, v19
	v_mov_b32_e32 v19, v18
	s_and_saveexec_b64 s[34:35], s[22:23]
; %bb.2314:                             ;   in Loop: Header=BB6_126 Depth=2
	v_bfe_u32 v19, v18, 20, 1
	v_add_co_u32_e64 v19, s[22:23], v18, v19
	v_add_co_u32_e64 v19, s[22:23], -1, v19
; %bb.2315:                             ;   in Loop: Header=BB6_126 Depth=2
	s_or_b64 exec, exec, s[34:35]
	v_add_u32_e32 v3, 0xffffff81, v3
	v_cndmask_b32_e32 v3, v3, v41, vcc
	v_lshrrev_b32_e32 v20, 23, v18
	v_add3_u32 v21, v21, v3, v20
	v_add_u32_e32 v20, 6, v21
	v_and_b32_e32 v3, 0xfffff, v19
	v_add_u32_e32 v60, v3, v18
	v_cmp_ne_u32_e32 vcc, 0, v20
                                        ; implicit-def: $vgpr18_vgpr19
                                        ; implicit-def: $vgpr3
	s_and_saveexec_b64 s[22:23], vcc
	s_xor_b64 s[22:23], exec, s[22:23]
; %bb.2316:                             ;   in Loop: Header=BB6_126 Depth=2
	v_cmp_lt_u64_e32 vcc, s[76:77], v[60:61]
	v_add_u32_e32 v3, 7, v21
	v_cndmask_b32_e64 v18, 0, 1, vcc
	v_lshrrev_b64 v[18:19], v18, v[60:61]
	v_cndmask_b32_e32 v3, v20, v3, vcc
; %bb.2317:                             ;   in Loop: Header=BB6_126 Depth=2
	s_andn2_saveexec_b64 s[22:23], s[22:23]
; %bb.2318:                             ;   in Loop: Header=BB6_126 Depth=2
	v_mov_b32_e32 v18, v60
	v_bfe_u32 v3, v60, 23, 1
	v_mov_b32_e32 v19, v61
; %bb.2319:                             ;   in Loop: Header=BB6_126 Depth=2
	s_or_b64 exec, exec, s[22:23]
	v_lshrrev_b64 v[18:19], 20, v[18:19]
	v_cmp_gt_i32_e32 vcc, 16, v3
	v_cndmask_b32_e32 v19, 0, v19, vcc
	v_cndmask_b32_e32 v18, 7, v18, vcc
	v_cmp_eq_u32_e32 vcc, 0, v3
	v_min_i32_e32 v3, 15, v3
	v_cmp_eq_u64_e64 s[22:23], 0, v[18:19]
	v_lshlrev_b32_e32 v3, 3, v3
	v_and_b32_e32 v3, 0xf8, v3
	v_and_or_b32 v3, v18, 7, v3
	s_and_b64 s[22:23], vcc, s[22:23]
	v_cndmask_b32_e64 v3, v3, 0, s[22:23]
	v_or_b32_e32 v23, v3, v2
.LBB6_2320:                             ;   in Loop: Header=BB6_126 Depth=2
	s_or_b64 exec, exec, s[30:31]
                                        ; implicit-def: $vgpr2
.LBB6_2321:                             ;   in Loop: Header=BB6_126 Depth=2
	s_andn2_saveexec_b64 s[22:23], s[94:95]
; %bb.2322:                             ;   in Loop: Header=BB6_126 Depth=2
	v_or_b32_e32 v23, 0x7e, v2
; %bb.2323:                             ;   in Loop: Header=BB6_126 Depth=2
	s_or_b64 exec, exec, s[22:23]
                                        ; implicit-def: $vgpr3
.LBB6_2324:                             ;   in Loop: Header=BB6_126 Depth=2
	s_andn2_saveexec_b64 s[22:23], s[92:93]
; %bb.2325:                             ;   in Loop: Header=BB6_126 Depth=2
	v_or_b32_sdwa v23, v3, s54 dst_sel:DWORD dst_unused:UNUSED_PAD src0_sel:BYTE_3 src1_sel:DWORD
; %bb.2326:                             ;   in Loop: Header=BB6_126 Depth=2
	s_or_b64 exec, exec, s[22:23]
	v_lshrrev_b32_e32 v19, 16, v14
	v_lshrrev_b32_e32 v18, 16, v10
	v_cmp_ne_u16_sdwa s[22:23], v19, v61 src0_sel:BYTE_0 src1_sel:DWORD
	s_and_b64 vcc, exec, s[20:21]
	s_mov_b64 s[92:93], -1
                                        ; implicit-def: $vgpr3
	s_cbranch_vccnz .LBB6_2340
; %bb.2327:                             ;   in Loop: Header=BB6_126 Depth=2
	v_mov_b32_e32 v3, 0
	v_mov_b32_e32 v2, 0
	s_and_saveexec_b64 s[92:93], s[22:23]
	s_cbranch_execz .LBB6_2333
; %bb.2328:                             ;   in Loop: Header=BB6_126 Depth=2
	v_cmp_ne_u16_sdwa vcc, v19, s53 src0_sel:BYTE_0 src1_sel:DWORD
	v_bfrev_b32_e32 v2, 1
	s_and_saveexec_b64 s[94:95], vcc
	s_cbranch_execz .LBB6_2332
; %bb.2329:                             ;   in Loop: Header=BB6_126 Depth=2
	v_bfe_u32 v20, v14, 16, 7
	v_cmp_ne_u32_e32 vcc, s54, v20
	v_mov_b32_e32 v2, 0x7f800001
	s_and_saveexec_b64 s[30:31], vcc
	s_cbranch_execz .LBB6_2331
; %bb.2330:                             ;   in Loop: Header=BB6_126 Depth=2
	v_and_b32_e32 v2, 7, v19
	v_lshrrev_b32_e32 v24, 3, v20
	v_cmp_gt_u32_e32 vcc, 8, v20
	v_ffbh_u32_e32 v20, v2
	v_min_u32_e32 v25, 32, v20
	v_subrev_u32_e32 v20, 28, v25
	v_lshlrev_b64 v[20:21], v20, v[19:20]
	v_sub_u32_e32 v21, 29, v25
	v_and_b32_e32 v20, 7, v20
	v_cndmask_b32_e32 v21, v24, v21, vcc
	v_cndmask_b32_e32 v2, v2, v20, vcc
	v_lshlrev_b32_e32 v20, 24, v19
	v_lshlrev_b32_e32 v2, 20, v2
	v_and_b32_e32 v20, 0x80000000, v20
	v_lshl_add_u32 v21, v21, 23, v62
	v_or3_b32 v2, v20, v21, v2
.LBB6_2331:                             ;   in Loop: Header=BB6_126 Depth=2
	s_or_b64 exec, exec, s[30:31]
.LBB6_2332:                             ;   in Loop: Header=BB6_126 Depth=2
	s_or_b64 exec, exec, s[94:95]
.LBB6_2333:                             ;   in Loop: Header=BB6_126 Depth=2
	s_or_b64 exec, exec, s[92:93]
	v_cmp_ne_u16_sdwa s[94:95], v18, v61 src0_sel:BYTE_0 src1_sel:DWORD
	s_and_saveexec_b64 s[92:93], s[94:95]
	s_cbranch_execz .LBB6_2339
; %bb.2334:                             ;   in Loop: Header=BB6_126 Depth=2
	v_cmp_ne_u16_sdwa vcc, v18, s53 src0_sel:BYTE_0 src1_sel:DWORD
	v_bfrev_b32_e32 v3, 1
	s_and_saveexec_b64 s[94:95], vcc
	s_cbranch_execz .LBB6_2338
; %bb.2335:                             ;   in Loop: Header=BB6_126 Depth=2
	v_bfe_u32 v20, v10, 16, 7
	v_cmp_ne_u32_e32 vcc, s54, v20
	v_mov_b32_e32 v3, 0x7f800001
	s_and_saveexec_b64 s[30:31], vcc
	s_cbranch_execz .LBB6_2337
; %bb.2336:                             ;   in Loop: Header=BB6_126 Depth=2
	v_and_b32_e32 v3, 7, v18
	v_lshrrev_b32_e32 v24, 3, v20
	v_cmp_gt_u32_e32 vcc, 8, v20
	v_ffbh_u32_e32 v20, v3
	v_min_u32_e32 v25, 32, v20
	v_subrev_u32_e32 v20, 28, v25
	v_lshlrev_b64 v[20:21], v20, v[18:19]
	v_sub_u32_e32 v21, 29, v25
	v_and_b32_e32 v20, 7, v20
	v_cndmask_b32_e32 v21, v24, v21, vcc
	v_cndmask_b32_e32 v3, v3, v20, vcc
	v_lshlrev_b32_e32 v20, 24, v18
	v_lshlrev_b32_e32 v3, 20, v3
	v_and_b32_e32 v20, 0x80000000, v20
	v_lshl_add_u32 v21, v21, 23, v62
	v_or3_b32 v3, v20, v21, v3
.LBB6_2337:                             ;   in Loop: Header=BB6_126 Depth=2
	s_or_b64 exec, exec, s[30:31]
.LBB6_2338:                             ;   in Loop: Header=BB6_126 Depth=2
	s_or_b64 exec, exec, s[94:95]
.LBB6_2339:                             ;   in Loop: Header=BB6_126 Depth=2
	s_or_b64 exec, exec, s[92:93]
	v_max_f32_e32 v3, v3, v3
	v_max_f32_e32 v2, v2, v2
	;; [unrolled: 1-line block ×3, first 2 shown]
	s_mov_b64 s[92:93], 0
.LBB6_2340:                             ;   in Loop: Header=BB6_126 Depth=2
	s_and_b64 vcc, exec, s[92:93]
	s_cbranch_vccz .LBB6_2354
; %bb.2341:                             ;   in Loop: Header=BB6_126 Depth=2
	v_mov_b32_e32 v3, 0
	v_mov_b32_e32 v2, 0
	s_and_saveexec_b64 s[92:93], s[22:23]
	s_cbranch_execz .LBB6_2347
; %bb.2342:                             ;   in Loop: Header=BB6_126 Depth=2
	v_cmp_ne_u16_sdwa s[94:95], v19, s53 src0_sel:BYTE_0 src1_sel:DWORD
	v_bfrev_b32_e32 v2, 1
	s_and_saveexec_b64 s[22:23], s[94:95]
	s_cbranch_execz .LBB6_2346
; %bb.2343:                             ;   in Loop: Header=BB6_126 Depth=2
	v_bfe_u32 v20, v14, 16, 7
	v_cmp_ne_u32_e32 vcc, s54, v20
	v_mov_b32_e32 v2, 0x7f800001
	s_and_saveexec_b64 s[94:95], vcc
	s_cbranch_execz .LBB6_2345
; %bb.2344:                             ;   in Loop: Header=BB6_126 Depth=2
	v_and_b32_e32 v2, 7, v19
	v_lshrrev_b32_e32 v24, 3, v20
	v_cmp_gt_u32_e32 vcc, 8, v20
	v_ffbh_u32_e32 v20, v2
	v_min_u32_e32 v25, 32, v20
	v_subrev_u32_e32 v20, 28, v25
	v_lshlrev_b64 v[20:21], v20, v[19:20]
	v_sub_u32_e32 v21, 29, v25
	v_and_b32_e32 v20, 7, v20
	v_cndmask_b32_e32 v21, v24, v21, vcc
	v_cndmask_b32_e32 v2, v2, v20, vcc
	v_lshlrev_b32_e32 v19, 24, v19
	v_lshlrev_b32_e32 v2, 20, v2
	v_and_b32_e32 v19, 0x80000000, v19
	v_lshl_add_u32 v20, v21, 23, v62
	v_or3_b32 v2, v19, v20, v2
.LBB6_2345:                             ;   in Loop: Header=BB6_126 Depth=2
	s_or_b64 exec, exec, s[94:95]
.LBB6_2346:                             ;   in Loop: Header=BB6_126 Depth=2
	s_or_b64 exec, exec, s[22:23]
.LBB6_2347:                             ;   in Loop: Header=BB6_126 Depth=2
	s_or_b64 exec, exec, s[92:93]
	v_cmp_ne_u16_sdwa s[92:93], v18, v61 src0_sel:BYTE_0 src1_sel:DWORD
	s_and_saveexec_b64 s[22:23], s[92:93]
	s_cbranch_execz .LBB6_2353
; %bb.2348:                             ;   in Loop: Header=BB6_126 Depth=2
	v_cmp_ne_u16_sdwa s[94:95], v18, s53 src0_sel:BYTE_0 src1_sel:DWORD
	v_bfrev_b32_e32 v3, 1
	s_and_saveexec_b64 s[92:93], s[94:95]
	s_cbranch_execz .LBB6_2352
; %bb.2349:                             ;   in Loop: Header=BB6_126 Depth=2
	v_bfe_u32 v19, v10, 16, 7
	v_cmp_ne_u32_e32 vcc, s54, v19
	v_mov_b32_e32 v3, 0x7f800001
	s_and_saveexec_b64 s[94:95], vcc
	s_cbranch_execz .LBB6_2351
; %bb.2350:                             ;   in Loop: Header=BB6_126 Depth=2
	v_and_b32_e32 v3, 7, v18
	v_lshrrev_b32_e32 v21, 3, v19
	v_cmp_gt_u32_e32 vcc, 8, v19
	v_ffbh_u32_e32 v19, v3
	v_min_u32_e32 v24, 32, v19
	v_subrev_u32_e32 v19, 28, v24
	v_lshlrev_b64 v[19:20], v19, v[18:19]
	v_sub_u32_e32 v20, 29, v24
	v_and_b32_e32 v19, 7, v19
	v_cndmask_b32_e32 v20, v21, v20, vcc
	v_cndmask_b32_e32 v3, v3, v19, vcc
	v_lshlrev_b32_e32 v18, 24, v18
	v_lshlrev_b32_e32 v3, 20, v3
	v_and_b32_e32 v18, 0x80000000, v18
	v_lshl_add_u32 v19, v20, 23, v62
	v_or3_b32 v3, v18, v19, v3
.LBB6_2351:                             ;   in Loop: Header=BB6_126 Depth=2
	s_or_b64 exec, exec, s[94:95]
.LBB6_2352:                             ;   in Loop: Header=BB6_126 Depth=2
	s_or_b64 exec, exec, s[92:93]
.LBB6_2353:                             ;   in Loop: Header=BB6_126 Depth=2
	s_or_b64 exec, exec, s[22:23]
	v_max_f32_e32 v3, v3, v3
	v_max_f32_e32 v2, v2, v2
	v_min_f32_e32 v3, v2, v3
.LBB6_2354:                             ;   in Loop: Header=BB6_126 Depth=2
	v_and_b32_e32 v60, 0x7f800000, v3
	v_cmp_ne_u64_e32 vcc, s[72:73], v[60:61]
                                        ; implicit-def: $vgpr24
	s_and_saveexec_b64 s[22:23], vcc
	s_xor_b64 s[92:93], exec, s[22:23]
	s_cbranch_execz .LBB6_2368
; %bb.2355:                             ;   in Loop: Header=BB6_126 Depth=2
	v_and_b32_e32 v60, 0x7fffffff, v3
	v_cmp_gt_u64_e32 vcc, s[74:75], v[60:61]
	v_and_b32_sdwa v2, v3, s53 dst_sel:DWORD dst_unused:UNUSED_PAD src0_sel:BYTE_3 src1_sel:DWORD
                                        ; implicit-def: $vgpr24
	s_and_saveexec_b64 s[22:23], vcc
	s_xor_b64 s[94:95], exec, s[22:23]
	s_cbranch_execz .LBB6_2365
; %bb.2356:                             ;   in Loop: Header=BB6_126 Depth=2
	v_mov_b32_e32 v24, 0
	v_cmp_ne_u32_e32 vcc, 0, v3
	s_and_saveexec_b64 s[30:31], vcc
	s_cbranch_execz .LBB6_2364
; %bb.2357:                             ;   in Loop: Header=BB6_126 Depth=2
	v_and_b32_e32 v18, 0x7fffff, v3
	v_bfe_u32 v3, v3, 23, 8
	v_cmp_gt_u32_e64 s[22:23], s64, v3
	v_sub_u32_e32 v19, 0x79, v3
	v_cmp_eq_u32_e32 vcc, 0, v3
	v_cndmask_b32_e64 v19, 0, v19, s[22:23]
	v_mov_b32_e32 v21, 0x78
	v_or_b32_e32 v20, 0x800000, v18
	v_cndmask_b32_e32 v21, v19, v21, vcc
	v_cndmask_b32_e32 v60, v20, v18, vcc
	v_add_u32_e32 v18, 20, v21
	v_lshlrev_b64 v[18:19], v18, -1
	v_add_u32_e32 v20, 19, v21
	v_lshlrev_b64 v[24:25], v20, 1
	v_bfi_b32 v19, v19, 0, 0
	v_bfi_b32 v18, v18, 0, v60
	v_cmp_eq_u64_e64 s[22:23], v[18:19], v[24:25]
	v_lshrrev_b64 v[18:19], v21, v[60:61]
	v_mov_b32_e32 v20, v19
	v_mov_b32_e32 v19, v18
	s_and_saveexec_b64 s[34:35], s[22:23]
; %bb.2358:                             ;   in Loop: Header=BB6_126 Depth=2
	v_bfe_u32 v19, v18, 20, 1
	v_add_co_u32_e64 v19, s[22:23], v18, v19
	v_add_co_u32_e64 v19, s[22:23], -1, v19
; %bb.2359:                             ;   in Loop: Header=BB6_126 Depth=2
	s_or_b64 exec, exec, s[34:35]
	v_add_u32_e32 v3, 0xffffff81, v3
	v_cndmask_b32_e32 v3, v3, v41, vcc
	v_lshrrev_b32_e32 v20, 23, v18
	v_add3_u32 v21, v21, v3, v20
	v_add_u32_e32 v20, 6, v21
	v_and_b32_e32 v3, 0xfffff, v19
	v_add_u32_e32 v60, v3, v18
	v_cmp_ne_u32_e32 vcc, 0, v20
                                        ; implicit-def: $vgpr18_vgpr19
                                        ; implicit-def: $vgpr3
	s_and_saveexec_b64 s[22:23], vcc
	s_xor_b64 s[22:23], exec, s[22:23]
; %bb.2360:                             ;   in Loop: Header=BB6_126 Depth=2
	v_cmp_lt_u64_e32 vcc, s[76:77], v[60:61]
	v_add_u32_e32 v3, 7, v21
	v_cndmask_b32_e64 v18, 0, 1, vcc
	v_lshrrev_b64 v[18:19], v18, v[60:61]
	v_cndmask_b32_e32 v3, v20, v3, vcc
; %bb.2361:                             ;   in Loop: Header=BB6_126 Depth=2
	s_andn2_saveexec_b64 s[22:23], s[22:23]
; %bb.2362:                             ;   in Loop: Header=BB6_126 Depth=2
	v_mov_b32_e32 v18, v60
	v_bfe_u32 v3, v60, 23, 1
	v_mov_b32_e32 v19, v61
; %bb.2363:                             ;   in Loop: Header=BB6_126 Depth=2
	s_or_b64 exec, exec, s[22:23]
	v_lshrrev_b64 v[18:19], 20, v[18:19]
	v_cmp_gt_i32_e32 vcc, 16, v3
	v_cndmask_b32_e32 v19, 0, v19, vcc
	v_cndmask_b32_e32 v18, 7, v18, vcc
	v_cmp_eq_u32_e32 vcc, 0, v3
	v_min_i32_e32 v3, 15, v3
	v_cmp_eq_u64_e64 s[22:23], 0, v[18:19]
	v_lshlrev_b32_e32 v3, 3, v3
	v_and_b32_e32 v3, 0xf8, v3
	v_and_or_b32 v3, v18, 7, v3
	s_and_b64 s[22:23], vcc, s[22:23]
	v_cndmask_b32_e64 v3, v3, 0, s[22:23]
	v_or_b32_e32 v24, v3, v2
.LBB6_2364:                             ;   in Loop: Header=BB6_126 Depth=2
	s_or_b64 exec, exec, s[30:31]
                                        ; implicit-def: $vgpr2
.LBB6_2365:                             ;   in Loop: Header=BB6_126 Depth=2
	s_andn2_saveexec_b64 s[22:23], s[94:95]
; %bb.2366:                             ;   in Loop: Header=BB6_126 Depth=2
	v_or_b32_e32 v24, 0x7e, v2
; %bb.2367:                             ;   in Loop: Header=BB6_126 Depth=2
	s_or_b64 exec, exec, s[22:23]
                                        ; implicit-def: $vgpr3
.LBB6_2368:                             ;   in Loop: Header=BB6_126 Depth=2
	s_andn2_saveexec_b64 s[22:23], s[92:93]
; %bb.2369:                             ;   in Loop: Header=BB6_126 Depth=2
	v_or_b32_sdwa v24, v3, s54 dst_sel:DWORD dst_unused:UNUSED_PAD src0_sel:BYTE_3 src1_sel:DWORD
; %bb.2370:                             ;   in Loop: Header=BB6_126 Depth=2
	s_or_b64 exec, exec, s[22:23]
	v_lshrrev_b32_e32 v19, 24, v14
	v_lshrrev_b32_e32 v18, 24, v10
	v_cmp_lt_u32_e64 s[22:23], s79, v14
	s_and_b64 vcc, exec, s[20:21]
	s_mov_b64 s[92:93], -1
                                        ; implicit-def: $vgpr3
	s_cbranch_vccnz .LBB6_2384
; %bb.2371:                             ;   in Loop: Header=BB6_126 Depth=2
	v_mov_b32_e32 v3, 0
	v_mov_b32_e32 v2, 0
	s_and_saveexec_b64 s[92:93], s[22:23]
	s_cbranch_execz .LBB6_2377
; %bb.2372:                             ;   in Loop: Header=BB6_126 Depth=2
	v_cmp_ne_u32_e32 vcc, s53, v19
	v_bfrev_b32_e32 v2, 1
	s_and_saveexec_b64 s[94:95], vcc
	s_cbranch_execz .LBB6_2376
; %bb.2373:                             ;   in Loop: Header=BB6_126 Depth=2
	v_bfe_u32 v20, v14, 24, 7
	v_cmp_ne_u32_e32 vcc, s54, v20
	v_mov_b32_e32 v2, 0x7f800001
	s_and_saveexec_b64 s[30:31], vcc
	s_cbranch_execz .LBB6_2375
; %bb.2374:                             ;   in Loop: Header=BB6_126 Depth=2
	v_and_b32_e32 v2, 7, v19
	v_lshrrev_b32_e32 v25, 3, v20
	v_cmp_gt_u32_e32 vcc, 8, v20
	v_ffbh_u32_e32 v20, v2
	v_min_u32_e32 v26, 32, v20
	v_subrev_u32_e32 v20, 28, v26
	v_lshlrev_b64 v[20:21], v20, v[19:20]
	v_sub_u32_e32 v21, 29, v26
	v_and_b32_e32 v20, 7, v20
	v_cndmask_b32_e32 v21, v25, v21, vcc
	v_cndmask_b32_e32 v2, v2, v20, vcc
	v_lshlrev_b32_e32 v20, 24, v19
	v_lshlrev_b32_e32 v2, 20, v2
	v_and_b32_e32 v20, 0x80000000, v20
	v_lshl_add_u32 v21, v21, 23, v62
	v_or3_b32 v2, v20, v21, v2
.LBB6_2375:                             ;   in Loop: Header=BB6_126 Depth=2
	s_or_b64 exec, exec, s[30:31]
.LBB6_2376:                             ;   in Loop: Header=BB6_126 Depth=2
	s_or_b64 exec, exec, s[94:95]
.LBB6_2377:                             ;   in Loop: Header=BB6_126 Depth=2
	s_or_b64 exec, exec, s[92:93]
	v_cmp_lt_u32_e32 vcc, s79, v10
	s_and_saveexec_b64 s[92:93], vcc
	s_cbranch_execz .LBB6_2383
; %bb.2378:                             ;   in Loop: Header=BB6_126 Depth=2
	v_cmp_ne_u32_e32 vcc, s53, v18
	v_bfrev_b32_e32 v3, 1
	s_and_saveexec_b64 s[94:95], vcc
	s_cbranch_execz .LBB6_2382
; %bb.2379:                             ;   in Loop: Header=BB6_126 Depth=2
	v_bfe_u32 v20, v10, 24, 7
	v_cmp_ne_u32_e32 vcc, s54, v20
	v_mov_b32_e32 v3, 0x7f800001
	s_and_saveexec_b64 s[30:31], vcc
	s_cbranch_execz .LBB6_2381
; %bb.2380:                             ;   in Loop: Header=BB6_126 Depth=2
	v_and_b32_e32 v3, 7, v18
	v_lshrrev_b32_e32 v25, 3, v20
	v_cmp_gt_u32_e32 vcc, 8, v20
	v_ffbh_u32_e32 v20, v3
	v_min_u32_e32 v26, 32, v20
	v_subrev_u32_e32 v20, 28, v26
	v_lshlrev_b64 v[20:21], v20, v[18:19]
	v_sub_u32_e32 v21, 29, v26
	v_and_b32_e32 v20, 7, v20
	v_cndmask_b32_e32 v21, v25, v21, vcc
	v_cndmask_b32_e32 v3, v3, v20, vcc
	v_lshlrev_b32_e32 v20, 24, v18
	v_lshlrev_b32_e32 v3, 20, v3
	v_and_b32_e32 v20, 0x80000000, v20
	v_lshl_add_u32 v21, v21, 23, v62
	v_or3_b32 v3, v20, v21, v3
.LBB6_2381:                             ;   in Loop: Header=BB6_126 Depth=2
	s_or_b64 exec, exec, s[30:31]
.LBB6_2382:                             ;   in Loop: Header=BB6_126 Depth=2
	s_or_b64 exec, exec, s[94:95]
.LBB6_2383:                             ;   in Loop: Header=BB6_126 Depth=2
	s_or_b64 exec, exec, s[92:93]
	v_max_f32_e32 v3, v3, v3
	v_max_f32_e32 v2, v2, v2
	v_max_f32_e32 v3, v2, v3
	s_mov_b64 s[92:93], 0
.LBB6_2384:                             ;   in Loop: Header=BB6_126 Depth=2
	s_and_b64 vcc, exec, s[92:93]
	s_cbranch_vccz .LBB6_2398
; %bb.2385:                             ;   in Loop: Header=BB6_126 Depth=2
	v_mov_b32_e32 v3, 0
	v_mov_b32_e32 v2, 0
	s_and_saveexec_b64 s[92:93], s[22:23]
	s_cbranch_execz .LBB6_2391
; %bb.2386:                             ;   in Loop: Header=BB6_126 Depth=2
	v_cmp_ne_u32_e32 vcc, s53, v19
	v_bfrev_b32_e32 v2, 1
	s_and_saveexec_b64 s[22:23], vcc
	s_cbranch_execz .LBB6_2390
; %bb.2387:                             ;   in Loop: Header=BB6_126 Depth=2
	v_bfe_u32 v20, v14, 24, 7
	v_cmp_ne_u32_e32 vcc, s54, v20
	v_mov_b32_e32 v2, 0x7f800001
	s_and_saveexec_b64 s[94:95], vcc
	s_cbranch_execz .LBB6_2389
; %bb.2388:                             ;   in Loop: Header=BB6_126 Depth=2
	v_and_b32_e32 v2, 7, v19
	v_lshrrev_b32_e32 v25, 3, v20
	v_cmp_gt_u32_e32 vcc, 8, v20
	v_ffbh_u32_e32 v20, v2
	v_min_u32_e32 v26, 32, v20
	v_subrev_u32_e32 v20, 28, v26
	v_lshlrev_b64 v[20:21], v20, v[19:20]
	v_sub_u32_e32 v21, 29, v26
	v_and_b32_e32 v20, 7, v20
	v_cndmask_b32_e32 v21, v25, v21, vcc
	v_cndmask_b32_e32 v2, v2, v20, vcc
	v_lshlrev_b32_e32 v19, 24, v19
	v_lshlrev_b32_e32 v2, 20, v2
	v_and_b32_e32 v19, 0x80000000, v19
	v_lshl_add_u32 v20, v21, 23, v62
	v_or3_b32 v2, v19, v20, v2
.LBB6_2389:                             ;   in Loop: Header=BB6_126 Depth=2
	s_or_b64 exec, exec, s[94:95]
.LBB6_2390:                             ;   in Loop: Header=BB6_126 Depth=2
	s_or_b64 exec, exec, s[22:23]
.LBB6_2391:                             ;   in Loop: Header=BB6_126 Depth=2
	s_or_b64 exec, exec, s[92:93]
	v_cmp_lt_u32_e32 vcc, s79, v10
	s_and_saveexec_b64 s[22:23], vcc
	s_cbranch_execz .LBB6_2397
; %bb.2392:                             ;   in Loop: Header=BB6_126 Depth=2
	v_cmp_ne_u32_e32 vcc, s53, v18
	v_bfrev_b32_e32 v3, 1
	s_and_saveexec_b64 s[92:93], vcc
	s_cbranch_execz .LBB6_2396
; %bb.2393:                             ;   in Loop: Header=BB6_126 Depth=2
	v_bfe_u32 v19, v10, 24, 7
	v_cmp_ne_u32_e32 vcc, s54, v19
	v_mov_b32_e32 v3, 0x7f800001
	s_and_saveexec_b64 s[94:95], vcc
	s_cbranch_execz .LBB6_2395
; %bb.2394:                             ;   in Loop: Header=BB6_126 Depth=2
	v_and_b32_e32 v3, 7, v18
	v_lshrrev_b32_e32 v21, 3, v19
	v_cmp_gt_u32_e32 vcc, 8, v19
	v_ffbh_u32_e32 v19, v3
	v_min_u32_e32 v25, 32, v19
	v_subrev_u32_e32 v19, 28, v25
	v_lshlrev_b64 v[19:20], v19, v[18:19]
	v_sub_u32_e32 v20, 29, v25
	v_and_b32_e32 v19, 7, v19
	v_cndmask_b32_e32 v20, v21, v20, vcc
	v_cndmask_b32_e32 v3, v3, v19, vcc
	v_lshlrev_b32_e32 v18, 24, v18
	v_lshlrev_b32_e32 v3, 20, v3
	v_and_b32_e32 v18, 0x80000000, v18
	v_lshl_add_u32 v19, v20, 23, v62
	v_or3_b32 v3, v18, v19, v3
.LBB6_2395:                             ;   in Loop: Header=BB6_126 Depth=2
	s_or_b64 exec, exec, s[94:95]
.LBB6_2396:                             ;   in Loop: Header=BB6_126 Depth=2
	s_or_b64 exec, exec, s[92:93]
.LBB6_2397:                             ;   in Loop: Header=BB6_126 Depth=2
	s_or_b64 exec, exec, s[22:23]
	v_max_f32_e32 v3, v3, v3
	v_max_f32_e32 v2, v2, v2
	v_min_f32_e32 v3, v2, v3
.LBB6_2398:                             ;   in Loop: Header=BB6_126 Depth=2
	v_and_b32_e32 v60, 0x7f800000, v3
	v_cmp_ne_u64_e32 vcc, s[72:73], v[60:61]
                                        ; implicit-def: $vgpr25
	s_and_saveexec_b64 s[22:23], vcc
	s_xor_b64 s[92:93], exec, s[22:23]
	s_cbranch_execz .LBB6_2412
; %bb.2399:                             ;   in Loop: Header=BB6_126 Depth=2
	v_and_b32_e32 v60, 0x7fffffff, v3
	v_cmp_gt_u64_e32 vcc, s[74:75], v[60:61]
	v_and_b32_sdwa v2, v3, s53 dst_sel:DWORD dst_unused:UNUSED_PAD src0_sel:BYTE_3 src1_sel:DWORD
                                        ; implicit-def: $vgpr25
	s_and_saveexec_b64 s[22:23], vcc
	s_xor_b64 s[94:95], exec, s[22:23]
	s_cbranch_execz .LBB6_2409
; %bb.2400:                             ;   in Loop: Header=BB6_126 Depth=2
	v_mov_b32_e32 v25, 0
	v_cmp_ne_u32_e32 vcc, 0, v3
	s_and_saveexec_b64 s[30:31], vcc
	s_cbranch_execz .LBB6_2408
; %bb.2401:                             ;   in Loop: Header=BB6_126 Depth=2
	v_and_b32_e32 v18, 0x7fffff, v3
	v_bfe_u32 v3, v3, 23, 8
	v_cmp_gt_u32_e64 s[22:23], s64, v3
	v_sub_u32_e32 v19, 0x79, v3
	v_cmp_eq_u32_e32 vcc, 0, v3
	v_cndmask_b32_e64 v19, 0, v19, s[22:23]
	v_mov_b32_e32 v21, 0x78
	v_or_b32_e32 v20, 0x800000, v18
	v_cndmask_b32_e32 v21, v19, v21, vcc
	v_cndmask_b32_e32 v60, v20, v18, vcc
	v_add_u32_e32 v18, 20, v21
	v_lshlrev_b64 v[18:19], v18, -1
	v_add_u32_e32 v20, 19, v21
	v_lshlrev_b64 v[25:26], v20, 1
	v_bfi_b32 v19, v19, 0, 0
	v_bfi_b32 v18, v18, 0, v60
	v_cmp_eq_u64_e64 s[22:23], v[18:19], v[25:26]
	v_lshrrev_b64 v[18:19], v21, v[60:61]
	v_mov_b32_e32 v20, v19
	v_mov_b32_e32 v19, v18
	s_and_saveexec_b64 s[34:35], s[22:23]
; %bb.2402:                             ;   in Loop: Header=BB6_126 Depth=2
	v_bfe_u32 v19, v18, 20, 1
	v_add_co_u32_e64 v19, s[22:23], v18, v19
	v_add_co_u32_e64 v19, s[22:23], -1, v19
; %bb.2403:                             ;   in Loop: Header=BB6_126 Depth=2
	s_or_b64 exec, exec, s[34:35]
	v_add_u32_e32 v3, 0xffffff81, v3
	v_cndmask_b32_e32 v3, v3, v41, vcc
	v_lshrrev_b32_e32 v20, 23, v18
	v_add3_u32 v21, v21, v3, v20
	v_add_u32_e32 v20, 6, v21
	v_and_b32_e32 v3, 0xfffff, v19
	v_add_u32_e32 v60, v3, v18
	v_cmp_ne_u32_e32 vcc, 0, v20
                                        ; implicit-def: $vgpr18_vgpr19
                                        ; implicit-def: $vgpr3
	s_and_saveexec_b64 s[22:23], vcc
	s_xor_b64 s[22:23], exec, s[22:23]
; %bb.2404:                             ;   in Loop: Header=BB6_126 Depth=2
	v_cmp_lt_u64_e32 vcc, s[76:77], v[60:61]
	v_add_u32_e32 v3, 7, v21
	v_cndmask_b32_e64 v18, 0, 1, vcc
	v_lshrrev_b64 v[18:19], v18, v[60:61]
	v_cndmask_b32_e32 v3, v20, v3, vcc
; %bb.2405:                             ;   in Loop: Header=BB6_126 Depth=2
	s_andn2_saveexec_b64 s[22:23], s[22:23]
; %bb.2406:                             ;   in Loop: Header=BB6_126 Depth=2
	v_mov_b32_e32 v18, v60
	v_bfe_u32 v3, v60, 23, 1
	v_mov_b32_e32 v19, v61
; %bb.2407:                             ;   in Loop: Header=BB6_126 Depth=2
	s_or_b64 exec, exec, s[22:23]
	v_lshrrev_b64 v[18:19], 20, v[18:19]
	v_cmp_gt_i32_e32 vcc, 16, v3
	v_cndmask_b32_e32 v19, 0, v19, vcc
	v_cndmask_b32_e32 v18, 7, v18, vcc
	v_cmp_eq_u32_e32 vcc, 0, v3
	v_min_i32_e32 v3, 15, v3
	v_cmp_eq_u64_e64 s[22:23], 0, v[18:19]
	v_lshlrev_b32_e32 v3, 3, v3
	v_and_b32_e32 v3, 0xf8, v3
	v_and_or_b32 v3, v18, 7, v3
	s_and_b64 s[22:23], vcc, s[22:23]
	v_cndmask_b32_e64 v3, v3, 0, s[22:23]
	v_or_b32_e32 v25, v3, v2
.LBB6_2408:                             ;   in Loop: Header=BB6_126 Depth=2
	s_or_b64 exec, exec, s[30:31]
                                        ; implicit-def: $vgpr2
.LBB6_2409:                             ;   in Loop: Header=BB6_126 Depth=2
	s_andn2_saveexec_b64 s[22:23], s[94:95]
; %bb.2410:                             ;   in Loop: Header=BB6_126 Depth=2
	v_or_b32_e32 v25, 0x7e, v2
; %bb.2411:                             ;   in Loop: Header=BB6_126 Depth=2
	s_or_b64 exec, exec, s[22:23]
                                        ; implicit-def: $vgpr3
.LBB6_2412:                             ;   in Loop: Header=BB6_126 Depth=2
	s_andn2_saveexec_b64 s[22:23], s[92:93]
; %bb.2413:                             ;   in Loop: Header=BB6_126 Depth=2
	v_or_b32_sdwa v25, v3, s54 dst_sel:DWORD dst_unused:UNUSED_PAD src0_sel:BYTE_3 src1_sel:DWORD
; %bb.2414:                             ;   in Loop: Header=BB6_126 Depth=2
	s_or_b64 exec, exec, s[22:23]
	v_mov_b32_e32 v60, v15
	v_mov_b32_e32 v18, v11
	;; [unrolled: 1-line block ×3, first 2 shown]
	v_cmp_ne_u16_sdwa s[22:23], v15, v61 src0_sel:BYTE_0 src1_sel:DWORD
	s_and_b64 vcc, exec, s[20:21]
	s_mov_b64 s[92:93], -1
                                        ; implicit-def: $vgpr3
	s_cbranch_vccnz .LBB6_2428
; %bb.2415:                             ;   in Loop: Header=BB6_126 Depth=2
	v_mov_b32_e32 v3, 0
	v_mov_b32_e32 v2, 0
	s_and_saveexec_b64 s[92:93], s[22:23]
	s_cbranch_execz .LBB6_2421
; %bb.2416:                             ;   in Loop: Header=BB6_126 Depth=2
	v_cmp_ne_u16_sdwa vcc, v15, s53 src0_sel:BYTE_0 src1_sel:DWORD
	v_bfrev_b32_e32 v2, 1
	s_and_saveexec_b64 s[94:95], vcc
	s_cbranch_execz .LBB6_2420
; %bb.2417:                             ;   in Loop: Header=BB6_126 Depth=2
	v_and_b32_e32 v20, 0x7f, v15
	v_cmp_ne_u32_e32 vcc, s54, v20
	v_mov_b32_e32 v2, 0x7f800001
	s_and_saveexec_b64 s[30:31], vcc
	s_cbranch_execz .LBB6_2419
; %bb.2418:                             ;   in Loop: Header=BB6_126 Depth=2
	v_and_b32_e32 v2, 7, v15
	v_ffbh_u32_e32 v2, v2
	v_min_u32_e32 v2, 32, v2
	v_lshrrev_b32_e32 v21, 3, v20
	v_cmp_gt_u32_e32 vcc, 8, v20
	v_subrev_u32_e32 v20, 28, v2
	v_sub_u32_e32 v2, 29, v2
	v_cndmask_b32_e32 v20, 0, v20, vcc
	v_cndmask_b32_e32 v2, v21, v2, vcc
	v_lshlrev_b64 v[20:21], v20, v[60:61]
	v_lshlrev_b32_e32 v21, 24, v60
	v_lshlrev_b32_e32 v20, 20, v20
	v_and_b32_e32 v20, 0x700000, v20
	v_and_b32_e32 v21, 0x80000000, v21
	v_lshl_add_u32 v2, v2, 23, v62
	v_or3_b32 v2, v21, v2, v20
.LBB6_2419:                             ;   in Loop: Header=BB6_126 Depth=2
	s_or_b64 exec, exec, s[30:31]
.LBB6_2420:                             ;   in Loop: Header=BB6_126 Depth=2
	s_or_b64 exec, exec, s[94:95]
.LBB6_2421:                             ;   in Loop: Header=BB6_126 Depth=2
	s_or_b64 exec, exec, s[92:93]
	v_cmp_ne_u16_sdwa s[94:95], v11, v61 src0_sel:BYTE_0 src1_sel:DWORD
	s_and_saveexec_b64 s[92:93], s[94:95]
	s_cbranch_execz .LBB6_2427
; %bb.2422:                             ;   in Loop: Header=BB6_126 Depth=2
	v_cmp_ne_u16_sdwa vcc, v11, s53 src0_sel:BYTE_0 src1_sel:DWORD
	v_bfrev_b32_e32 v3, 1
	s_and_saveexec_b64 s[94:95], vcc
	s_cbranch_execz .LBB6_2426
; %bb.2423:                             ;   in Loop: Header=BB6_126 Depth=2
	v_and_b32_e32 v20, 0x7f, v11
	v_cmp_ne_u32_e32 vcc, s54, v20
	v_mov_b32_e32 v3, 0x7f800001
	s_and_saveexec_b64 s[30:31], vcc
	s_cbranch_execz .LBB6_2425
; %bb.2424:                             ;   in Loop: Header=BB6_126 Depth=2
	v_and_b32_e32 v3, 7, v11
	v_ffbh_u32_e32 v3, v3
	v_min_u32_e32 v3, 32, v3
	v_lshrrev_b32_e32 v21, 3, v20
	v_cmp_gt_u32_e32 vcc, 8, v20
	v_subrev_u32_e32 v20, 28, v3
	v_sub_u32_e32 v3, 29, v3
	v_cndmask_b32_e32 v20, 0, v20, vcc
	v_cndmask_b32_e32 v3, v21, v3, vcc
	v_lshlrev_b64 v[20:21], v20, v[18:19]
	v_lshlrev_b32_e32 v21, 24, v18
	v_lshlrev_b32_e32 v20, 20, v20
	v_and_b32_e32 v20, 0x700000, v20
	v_and_b32_e32 v21, 0x80000000, v21
	v_lshl_add_u32 v3, v3, 23, v62
	v_or3_b32 v3, v21, v3, v20
.LBB6_2425:                             ;   in Loop: Header=BB6_126 Depth=2
	s_or_b64 exec, exec, s[30:31]
.LBB6_2426:                             ;   in Loop: Header=BB6_126 Depth=2
	s_or_b64 exec, exec, s[94:95]
.LBB6_2427:                             ;   in Loop: Header=BB6_126 Depth=2
	s_or_b64 exec, exec, s[92:93]
	v_max_f32_e32 v3, v3, v3
	v_max_f32_e32 v2, v2, v2
	v_max_f32_e32 v3, v2, v3
	s_mov_b64 s[92:93], 0
.LBB6_2428:                             ;   in Loop: Header=BB6_126 Depth=2
	s_and_b64 vcc, exec, s[92:93]
	s_cbranch_vccz .LBB6_2442
; %bb.2429:                             ;   in Loop: Header=BB6_126 Depth=2
	v_mov_b32_e32 v3, 0
	v_mov_b32_e32 v2, 0
	s_and_saveexec_b64 s[92:93], s[22:23]
	s_cbranch_execz .LBB6_2435
; %bb.2430:                             ;   in Loop: Header=BB6_126 Depth=2
	v_cmp_ne_u16_sdwa s[94:95], v15, s53 src0_sel:BYTE_0 src1_sel:DWORD
	v_bfrev_b32_e32 v2, 1
	s_and_saveexec_b64 s[22:23], s[94:95]
	s_cbranch_execz .LBB6_2434
; %bb.2431:                             ;   in Loop: Header=BB6_126 Depth=2
	v_and_b32_e32 v20, 0x7f, v15
	v_cmp_ne_u32_e32 vcc, s54, v20
	v_mov_b32_e32 v2, 0x7f800001
	s_and_saveexec_b64 s[94:95], vcc
	s_cbranch_execz .LBB6_2433
; %bb.2432:                             ;   in Loop: Header=BB6_126 Depth=2
	v_and_b32_e32 v2, 7, v15
	v_ffbh_u32_e32 v2, v2
	v_min_u32_e32 v2, 32, v2
	v_lshrrev_b32_e32 v21, 3, v20
	v_cmp_gt_u32_e32 vcc, 8, v20
	v_subrev_u32_e32 v20, 28, v2
	v_sub_u32_e32 v2, 29, v2
	v_cndmask_b32_e32 v20, 0, v20, vcc
	v_cndmask_b32_e32 v2, v21, v2, vcc
	v_lshlrev_b64 v[20:21], v20, v[60:61]
	v_lshlrev_b32_e32 v21, 24, v60
	v_lshlrev_b32_e32 v20, 20, v20
	v_and_b32_e32 v20, 0x700000, v20
	v_and_b32_e32 v21, 0x80000000, v21
	v_lshl_add_u32 v2, v2, 23, v62
	v_or3_b32 v2, v21, v2, v20
.LBB6_2433:                             ;   in Loop: Header=BB6_126 Depth=2
	s_or_b64 exec, exec, s[94:95]
.LBB6_2434:                             ;   in Loop: Header=BB6_126 Depth=2
	s_or_b64 exec, exec, s[22:23]
.LBB6_2435:                             ;   in Loop: Header=BB6_126 Depth=2
	s_or_b64 exec, exec, s[92:93]
	v_cmp_ne_u16_sdwa s[92:93], v11, v61 src0_sel:BYTE_0 src1_sel:DWORD
	s_and_saveexec_b64 s[22:23], s[92:93]
	s_cbranch_execz .LBB6_2441
; %bb.2436:                             ;   in Loop: Header=BB6_126 Depth=2
	v_cmp_ne_u16_sdwa s[94:95], v11, s53 src0_sel:BYTE_0 src1_sel:DWORD
	v_bfrev_b32_e32 v3, 1
	s_and_saveexec_b64 s[92:93], s[94:95]
	s_cbranch_execz .LBB6_2440
; %bb.2437:                             ;   in Loop: Header=BB6_126 Depth=2
	v_and_b32_e32 v20, 0x7f, v11
	v_cmp_ne_u32_e32 vcc, s54, v20
	v_mov_b32_e32 v3, 0x7f800001
	s_and_saveexec_b64 s[94:95], vcc
	s_cbranch_execz .LBB6_2439
; %bb.2438:                             ;   in Loop: Header=BB6_126 Depth=2
	v_and_b32_e32 v3, 7, v11
	v_ffbh_u32_e32 v3, v3
	v_min_u32_e32 v3, 32, v3
	v_lshrrev_b32_e32 v21, 3, v20
	v_cmp_gt_u32_e32 vcc, 8, v20
	v_subrev_u32_e32 v20, 28, v3
	v_cndmask_b32_e32 v20, 0, v20, vcc
	v_lshlrev_b64 v[19:20], v20, v[18:19]
	v_sub_u32_e32 v3, 29, v3
	v_cndmask_b32_e32 v3, v21, v3, vcc
	v_lshlrev_b32_e32 v19, 20, v19
	v_lshlrev_b32_e32 v20, 24, v18
	v_and_b32_e32 v19, 0x700000, v19
	v_and_b32_e32 v20, 0x80000000, v20
	v_lshl_add_u32 v3, v3, 23, v62
	v_or3_b32 v3, v20, v3, v19
.LBB6_2439:                             ;   in Loop: Header=BB6_126 Depth=2
	s_or_b64 exec, exec, s[94:95]
.LBB6_2440:                             ;   in Loop: Header=BB6_126 Depth=2
	s_or_b64 exec, exec, s[92:93]
.LBB6_2441:                             ;   in Loop: Header=BB6_126 Depth=2
	s_or_b64 exec, exec, s[22:23]
	v_max_f32_e32 v3, v3, v3
	v_max_f32_e32 v2, v2, v2
	v_min_f32_e32 v3, v2, v3
.LBB6_2442:                             ;   in Loop: Header=BB6_126 Depth=2
	v_and_b32_e32 v19, 0x7f800000, v3
	v_mov_b32_e32 v20, v61
	v_cmp_ne_u64_e32 vcc, s[72:73], v[19:20]
                                        ; implicit-def: $vgpr21
	s_and_saveexec_b64 s[22:23], vcc
	s_xor_b64 s[92:93], exec, s[22:23]
	s_cbranch_execz .LBB6_2456
; %bb.2443:                             ;   in Loop: Header=BB6_126 Depth=2
	v_and_b32_e32 v19, 0x7fffffff, v3
	v_mov_b32_e32 v20, v61
	v_cmp_gt_u64_e32 vcc, s[74:75], v[19:20]
	v_and_b32_sdwa v2, v3, s53 dst_sel:DWORD dst_unused:UNUSED_PAD src0_sel:BYTE_3 src1_sel:DWORD
                                        ; implicit-def: $vgpr21
	s_and_saveexec_b64 s[22:23], vcc
	s_xor_b64 s[94:95], exec, s[22:23]
	s_cbranch_execz .LBB6_2453
; %bb.2444:                             ;   in Loop: Header=BB6_126 Depth=2
	v_mov_b32_e32 v21, 0
	v_cmp_ne_u32_e32 vcc, 0, v3
	s_and_saveexec_b64 s[30:31], vcc
	s_cbranch_execz .LBB6_2452
; %bb.2445:                             ;   in Loop: Header=BB6_126 Depth=2
	v_and_b32_e32 v19, 0x7fffff, v3
	v_bfe_u32 v3, v3, 23, 8
	v_cmp_gt_u32_e64 s[22:23], s64, v3
	v_sub_u32_e32 v20, 0x79, v3
	v_cmp_eq_u32_e32 vcc, 0, v3
	v_cndmask_b32_e64 v20, 0, v20, s[22:23]
	v_mov_b32_e32 v26, 0x78
	v_or_b32_e32 v21, 0x800000, v19
	v_cndmask_b32_e32 v26, v20, v26, vcc
	v_cndmask_b32_e32 v19, v21, v19, vcc
	v_add_u32_e32 v21, 20, v26
	v_lshlrev_b64 v[40:41], v21, -1
	v_mov_b32_e32 v20, v61
	v_add_u32_e32 v21, 19, v26
	v_bfi_b32 v40, v40, 0, v19
	v_lshlrev_b64 v[55:56], v21, 1
	v_lshrrev_b64 v[19:20], v26, v[19:20]
	v_bfi_b32 v41, v41, 0, 0
	v_cmp_eq_u64_e64 s[22:23], v[40:41], v[55:56]
	v_mov_b32_e32 v21, v20
	v_mov_b32_e32 v20, v19
	s_and_saveexec_b64 s[34:35], s[22:23]
; %bb.2446:                             ;   in Loop: Header=BB6_126 Depth=2
	v_bfe_u32 v20, v19, 20, 1
	v_add_co_u32_e64 v20, s[22:23], v19, v20
	v_add_co_u32_e64 v20, s[22:23], -1, v20
; %bb.2447:                             ;   in Loop: Header=BB6_126 Depth=2
	s_or_b64 exec, exec, s[34:35]
	v_add_u32_e32 v3, 0xffffff81, v3
	v_mov_b32_e32 v41, 0xffffff82
	v_cndmask_b32_e32 v3, v3, v41, vcc
	v_lshrrev_b32_e32 v21, 23, v19
	v_add3_u32 v26, v26, v3, v21
	v_add_u32_e32 v21, 6, v26
	v_and_b32_e32 v3, 0xfffff, v20
	v_add_u32_e32 v19, v3, v19
	v_mov_b32_e32 v20, v61
	v_cmp_ne_u32_e32 vcc, 0, v21
                                        ; implicit-def: $vgpr3
	s_and_saveexec_b64 s[22:23], vcc
	s_xor_b64 s[22:23], exec, s[22:23]
; %bb.2448:                             ;   in Loop: Header=BB6_126 Depth=2
	v_cmp_lt_u64_e32 vcc, s[76:77], v[19:20]
	v_add_u32_e32 v3, 7, v26
	v_cndmask_b32_e32 v3, v21, v3, vcc
	v_cndmask_b32_e64 v21, 0, 1, vcc
	v_lshrrev_b64 v[19:20], v21, v[19:20]
; %bb.2449:                             ;   in Loop: Header=BB6_126 Depth=2
	s_andn2_saveexec_b64 s[22:23], s[22:23]
; %bb.2450:                             ;   in Loop: Header=BB6_126 Depth=2
	v_bfe_u32 v3, v19, 23, 1
; %bb.2451:                             ;   in Loop: Header=BB6_126 Depth=2
	s_or_b64 exec, exec, s[22:23]
	v_lshrrev_b64 v[19:20], 20, v[19:20]
	v_cmp_gt_i32_e32 vcc, 16, v3
	v_cndmask_b32_e32 v20, 0, v20, vcc
	v_cndmask_b32_e32 v19, 7, v19, vcc
	v_cmp_eq_u32_e32 vcc, 0, v3
	v_min_i32_e32 v3, 15, v3
	v_cmp_eq_u64_e64 s[22:23], 0, v[19:20]
	v_lshlrev_b32_e32 v3, 3, v3
	v_and_b32_e32 v3, 0xf8, v3
	v_and_or_b32 v3, v19, 7, v3
	s_and_b64 s[22:23], vcc, s[22:23]
	v_cndmask_b32_e64 v3, v3, 0, s[22:23]
	v_or_b32_e32 v21, v3, v2
.LBB6_2452:                             ;   in Loop: Header=BB6_126 Depth=2
	s_or_b64 exec, exec, s[30:31]
                                        ; implicit-def: $vgpr2
.LBB6_2453:                             ;   in Loop: Header=BB6_126 Depth=2
	s_andn2_saveexec_b64 s[22:23], s[94:95]
; %bb.2454:                             ;   in Loop: Header=BB6_126 Depth=2
	v_or_b32_e32 v21, 0x7e, v2
; %bb.2455:                             ;   in Loop: Header=BB6_126 Depth=2
	s_or_b64 exec, exec, s[22:23]
                                        ; implicit-def: $vgpr3
.LBB6_2456:                             ;   in Loop: Header=BB6_126 Depth=2
	s_andn2_saveexec_b64 s[22:23], s[92:93]
; %bb.2457:                             ;   in Loop: Header=BB6_126 Depth=2
	v_or_b32_sdwa v21, v3, s54 dst_sel:DWORD dst_unused:UNUSED_PAD src0_sel:BYTE_3 src1_sel:DWORD
; %bb.2458:                             ;   in Loop: Header=BB6_126 Depth=2
	s_or_b64 exec, exec, s[22:23]
	v_lshrrev_b16_e32 v20, 8, v60
	v_lshrrev_b16_e32 v19, 8, v18
	v_cmp_ne_u16_e64 s[22:23], 0, v20
	s_and_b64 vcc, exec, s[20:21]
	s_mov_b64 s[92:93], -1
                                        ; implicit-def: $vgpr3
	s_cbranch_vccnz .LBB6_2472
; %bb.2459:                             ;   in Loop: Header=BB6_126 Depth=2
	v_mov_b32_e32 v3, 0
	v_mov_b32_e32 v2, 0
	s_and_saveexec_b64 s[92:93], s[22:23]
	s_cbranch_execz .LBB6_2465
; %bb.2460:                             ;   in Loop: Header=BB6_126 Depth=2
	v_cmp_ne_u16_e32 vcc, s53, v20
	v_bfrev_b32_e32 v2, 1
	s_and_saveexec_b64 s[94:95], vcc
	s_cbranch_execz .LBB6_2464
; %bb.2461:                             ;   in Loop: Header=BB6_126 Depth=2
	v_and_b32_e32 v26, 0x7f, v20
	v_cmp_ne_u32_e32 vcc, s54, v26
	v_mov_b32_e32 v2, 0x7f800001
	s_and_saveexec_b64 s[30:31], vcc
	s_cbranch_execz .LBB6_2463
; %bb.2462:                             ;   in Loop: Header=BB6_126 Depth=2
	v_and_b32_e32 v2, 7, v20
	v_lshrrev_b32_e32 v33, 3, v26
	v_cmp_gt_u32_e32 vcc, 8, v26
	v_ffbh_u32_e32 v26, v2
	v_min_u32_e32 v36, 32, v26
	v_subrev_u32_e32 v26, 28, v36
	v_lshlrev_b64 v[26:27], v26, v[20:21]
	v_sub_u32_e32 v27, 29, v36
	v_and_b32_e32 v26, 7, v26
	v_cndmask_b32_e32 v27, v33, v27, vcc
	v_cndmask_b32_e32 v2, v2, v26, vcc
	v_lshlrev_b32_e32 v26, 16, v60
	v_lshlrev_b32_e32 v2, 20, v2
	v_and_b32_e32 v26, 0x80000000, v26
	v_lshl_add_u32 v27, v27, 23, v62
	v_or3_b32 v2, v26, v27, v2
.LBB6_2463:                             ;   in Loop: Header=BB6_126 Depth=2
	s_or_b64 exec, exec, s[30:31]
.LBB6_2464:                             ;   in Loop: Header=BB6_126 Depth=2
	s_or_b64 exec, exec, s[94:95]
.LBB6_2465:                             ;   in Loop: Header=BB6_126 Depth=2
	s_or_b64 exec, exec, s[92:93]
	v_cmp_ne_u16_e32 vcc, 0, v19
	s_and_saveexec_b64 s[92:93], vcc
	s_cbranch_execz .LBB6_2471
; %bb.2466:                             ;   in Loop: Header=BB6_126 Depth=2
	v_cmp_ne_u16_e32 vcc, s53, v19
	v_bfrev_b32_e32 v3, 1
	s_and_saveexec_b64 s[94:95], vcc
	s_cbranch_execz .LBB6_2470
; %bb.2467:                             ;   in Loop: Header=BB6_126 Depth=2
	v_and_b32_e32 v26, 0x7f, v19
	v_cmp_ne_u32_e32 vcc, s54, v26
	v_mov_b32_e32 v3, 0x7f800001
	s_and_saveexec_b64 s[30:31], vcc
	s_cbranch_execz .LBB6_2469
; %bb.2468:                             ;   in Loop: Header=BB6_126 Depth=2
	v_and_b32_e32 v3, 7, v19
	v_lshrrev_b32_e32 v33, 3, v26
	v_cmp_gt_u32_e32 vcc, 8, v26
	v_ffbh_u32_e32 v26, v3
	v_min_u32_e32 v36, 32, v26
	v_subrev_u32_e32 v26, 28, v36
	v_lshlrev_b64 v[26:27], v26, v[19:20]
	v_sub_u32_e32 v27, 29, v36
	v_and_b32_e32 v26, 7, v26
	v_cndmask_b32_e32 v27, v33, v27, vcc
	v_cndmask_b32_e32 v3, v3, v26, vcc
	v_lshlrev_b32_e32 v26, 16, v18
	v_lshlrev_b32_e32 v3, 20, v3
	v_and_b32_e32 v26, 0x80000000, v26
	v_lshl_add_u32 v27, v27, 23, v62
	v_or3_b32 v3, v26, v27, v3
.LBB6_2469:                             ;   in Loop: Header=BB6_126 Depth=2
	s_or_b64 exec, exec, s[30:31]
.LBB6_2470:                             ;   in Loop: Header=BB6_126 Depth=2
	s_or_b64 exec, exec, s[94:95]
.LBB6_2471:                             ;   in Loop: Header=BB6_126 Depth=2
	s_or_b64 exec, exec, s[92:93]
	v_max_f32_e32 v3, v3, v3
	v_max_f32_e32 v2, v2, v2
	;; [unrolled: 1-line block ×3, first 2 shown]
	s_mov_b64 s[92:93], 0
.LBB6_2472:                             ;   in Loop: Header=BB6_126 Depth=2
	s_and_b64 vcc, exec, s[92:93]
	s_cbranch_vccz .LBB6_2486
; %bb.2473:                             ;   in Loop: Header=BB6_126 Depth=2
	v_mov_b32_e32 v3, 0
	v_mov_b32_e32 v2, 0
	s_and_saveexec_b64 s[92:93], s[22:23]
	s_cbranch_execz .LBB6_2479
; %bb.2474:                             ;   in Loop: Header=BB6_126 Depth=2
	v_cmp_ne_u16_e32 vcc, s53, v20
	v_bfrev_b32_e32 v2, 1
	s_and_saveexec_b64 s[22:23], vcc
	s_cbranch_execz .LBB6_2478
; %bb.2475:                             ;   in Loop: Header=BB6_126 Depth=2
	v_and_b32_e32 v26, 0x7f, v20
	v_cmp_ne_u32_e32 vcc, s54, v26
	v_mov_b32_e32 v2, 0x7f800001
	s_and_saveexec_b64 s[94:95], vcc
	s_cbranch_execz .LBB6_2477
; %bb.2476:                             ;   in Loop: Header=BB6_126 Depth=2
	v_and_b32_e32 v2, 7, v20
	v_lshrrev_b32_e32 v33, 3, v26
	v_cmp_gt_u32_e32 vcc, 8, v26
	v_ffbh_u32_e32 v26, v2
	v_min_u32_e32 v36, 32, v26
	v_subrev_u32_e32 v26, 28, v36
	v_lshlrev_b64 v[26:27], v26, v[20:21]
	v_sub_u32_e32 v20, 29, v36
	v_and_b32_e32 v26, 7, v26
	v_cndmask_b32_e32 v20, v33, v20, vcc
	v_cndmask_b32_e32 v2, v2, v26, vcc
	v_lshlrev_b32_e32 v26, 16, v60
	v_lshlrev_b32_e32 v2, 20, v2
	v_and_b32_e32 v26, 0x80000000, v26
	v_lshl_add_u32 v20, v20, 23, v62
	v_or3_b32 v2, v26, v20, v2
.LBB6_2477:                             ;   in Loop: Header=BB6_126 Depth=2
	s_or_b64 exec, exec, s[94:95]
.LBB6_2478:                             ;   in Loop: Header=BB6_126 Depth=2
	s_or_b64 exec, exec, s[22:23]
.LBB6_2479:                             ;   in Loop: Header=BB6_126 Depth=2
	s_or_b64 exec, exec, s[92:93]
	v_cmp_ne_u16_e32 vcc, 0, v19
	s_and_saveexec_b64 s[22:23], vcc
	s_cbranch_execz .LBB6_2485
; %bb.2480:                             ;   in Loop: Header=BB6_126 Depth=2
	v_cmp_ne_u16_e32 vcc, s53, v19
	v_bfrev_b32_e32 v3, 1
	s_and_saveexec_b64 s[92:93], vcc
	s_cbranch_execz .LBB6_2484
; %bb.2481:                             ;   in Loop: Header=BB6_126 Depth=2
	v_and_b32_e32 v20, 0x7f, v19
	v_cmp_ne_u32_e32 vcc, s54, v20
	v_mov_b32_e32 v3, 0x7f800001
	s_and_saveexec_b64 s[94:95], vcc
	s_cbranch_execz .LBB6_2483
; %bb.2482:                             ;   in Loop: Header=BB6_126 Depth=2
	v_and_b32_e32 v3, 7, v19
	v_lshrrev_b32_e32 v26, 3, v20
	v_cmp_gt_u32_e32 vcc, 8, v20
	v_ffbh_u32_e32 v20, v3
	v_min_u32_e32 v27, 32, v20
	v_subrev_u32_e32 v20, 28, v27
	v_lshlrev_b64 v[19:20], v20, v[19:20]
	v_sub_u32_e32 v20, 29, v27
	v_and_b32_e32 v19, 7, v19
	v_cndmask_b32_e32 v20, v26, v20, vcc
	v_cndmask_b32_e32 v3, v3, v19, vcc
	v_lshlrev_b32_e32 v18, 16, v18
	v_lshlrev_b32_e32 v3, 20, v3
	v_and_b32_e32 v18, 0x80000000, v18
	v_lshl_add_u32 v19, v20, 23, v62
	v_or3_b32 v3, v18, v19, v3
.LBB6_2483:                             ;   in Loop: Header=BB6_126 Depth=2
	s_or_b64 exec, exec, s[94:95]
.LBB6_2484:                             ;   in Loop: Header=BB6_126 Depth=2
	s_or_b64 exec, exec, s[92:93]
.LBB6_2485:                             ;   in Loop: Header=BB6_126 Depth=2
	s_or_b64 exec, exec, s[22:23]
	v_max_f32_e32 v3, v3, v3
	v_max_f32_e32 v2, v2, v2
	v_min_f32_e32 v3, v2, v3
.LBB6_2486:                             ;   in Loop: Header=BB6_126 Depth=2
	v_and_b32_e32 v60, 0x7f800000, v3
	v_cmp_ne_u64_e32 vcc, s[72:73], v[60:61]
                                        ; implicit-def: $vgpr26
	s_and_saveexec_b64 s[22:23], vcc
	s_xor_b64 s[92:93], exec, s[22:23]
	s_cbranch_execz .LBB6_2500
; %bb.2487:                             ;   in Loop: Header=BB6_126 Depth=2
	v_and_b32_e32 v60, 0x7fffffff, v3
	v_cmp_gt_u64_e32 vcc, s[74:75], v[60:61]
	v_and_b32_sdwa v2, v3, s53 dst_sel:DWORD dst_unused:UNUSED_PAD src0_sel:BYTE_3 src1_sel:DWORD
                                        ; implicit-def: $vgpr26
	s_and_saveexec_b64 s[22:23], vcc
	s_xor_b64 s[94:95], exec, s[22:23]
	s_cbranch_execz .LBB6_2497
; %bb.2488:                             ;   in Loop: Header=BB6_126 Depth=2
	v_mov_b32_e32 v26, 0
	v_cmp_ne_u32_e32 vcc, 0, v3
	s_and_saveexec_b64 s[30:31], vcc
	s_cbranch_execz .LBB6_2496
; %bb.2489:                             ;   in Loop: Header=BB6_126 Depth=2
	v_and_b32_e32 v18, 0x7fffff, v3
	v_bfe_u32 v3, v3, 23, 8
	v_cmp_gt_u32_e64 s[22:23], s64, v3
	v_sub_u32_e32 v19, 0x79, v3
	v_cmp_eq_u32_e32 vcc, 0, v3
	v_cndmask_b32_e64 v19, 0, v19, s[22:23]
	v_mov_b32_e32 v26, 0x78
	v_or_b32_e32 v20, 0x800000, v18
	v_cndmask_b32_e32 v26, v19, v26, vcc
	v_cndmask_b32_e32 v60, v20, v18, vcc
	v_add_u32_e32 v18, 20, v26
	v_lshlrev_b64 v[18:19], v18, -1
	v_add_u32_e32 v20, 19, v26
	v_lshlrev_b64 v[40:41], v20, 1
	v_bfi_b32 v19, v19, 0, 0
	v_bfi_b32 v18, v18, 0, v60
	v_cmp_eq_u64_e64 s[22:23], v[18:19], v[40:41]
	v_lshrrev_b64 v[18:19], v26, v[60:61]
	v_mov_b32_e32 v20, v19
	v_mov_b32_e32 v19, v18
	s_and_saveexec_b64 s[34:35], s[22:23]
; %bb.2490:                             ;   in Loop: Header=BB6_126 Depth=2
	v_bfe_u32 v19, v18, 20, 1
	v_add_co_u32_e64 v19, s[22:23], v18, v19
	v_add_co_u32_e64 v19, s[22:23], -1, v19
; %bb.2491:                             ;   in Loop: Header=BB6_126 Depth=2
	s_or_b64 exec, exec, s[34:35]
	v_add_u32_e32 v3, 0xffffff81, v3
	v_mov_b32_e32 v41, 0xffffff82
	v_cndmask_b32_e32 v3, v3, v41, vcc
	v_lshrrev_b32_e32 v20, 23, v18
	v_add3_u32 v26, v26, v3, v20
	v_add_u32_e32 v20, 6, v26
	v_and_b32_e32 v3, 0xfffff, v19
	v_add_u32_e32 v60, v3, v18
	v_cmp_ne_u32_e32 vcc, 0, v20
                                        ; implicit-def: $vgpr18_vgpr19
                                        ; implicit-def: $vgpr3
	s_and_saveexec_b64 s[22:23], vcc
	s_xor_b64 s[22:23], exec, s[22:23]
; %bb.2492:                             ;   in Loop: Header=BB6_126 Depth=2
	v_cmp_lt_u64_e32 vcc, s[76:77], v[60:61]
	v_add_u32_e32 v3, 7, v26
	v_cndmask_b32_e64 v18, 0, 1, vcc
	v_lshrrev_b64 v[18:19], v18, v[60:61]
	v_cndmask_b32_e32 v3, v20, v3, vcc
; %bb.2493:                             ;   in Loop: Header=BB6_126 Depth=2
	s_andn2_saveexec_b64 s[22:23], s[22:23]
; %bb.2494:                             ;   in Loop: Header=BB6_126 Depth=2
	v_mov_b32_e32 v18, v60
	v_bfe_u32 v3, v60, 23, 1
	v_mov_b32_e32 v19, v61
; %bb.2495:                             ;   in Loop: Header=BB6_126 Depth=2
	s_or_b64 exec, exec, s[22:23]
	v_lshrrev_b64 v[18:19], 20, v[18:19]
	v_cmp_gt_i32_e32 vcc, 16, v3
	v_cndmask_b32_e32 v19, 0, v19, vcc
	v_cndmask_b32_e32 v18, 7, v18, vcc
	v_cmp_eq_u32_e32 vcc, 0, v3
	v_min_i32_e32 v3, 15, v3
	v_cmp_eq_u64_e64 s[22:23], 0, v[18:19]
	v_lshlrev_b32_e32 v3, 3, v3
	v_and_b32_e32 v3, 0xf8, v3
	v_and_or_b32 v3, v18, 7, v3
	s_and_b64 s[22:23], vcc, s[22:23]
	v_cndmask_b32_e64 v3, v3, 0, s[22:23]
	v_or_b32_e32 v26, v3, v2
.LBB6_2496:                             ;   in Loop: Header=BB6_126 Depth=2
	s_or_b64 exec, exec, s[30:31]
                                        ; implicit-def: $vgpr2
.LBB6_2497:                             ;   in Loop: Header=BB6_126 Depth=2
	s_andn2_saveexec_b64 s[22:23], s[94:95]
; %bb.2498:                             ;   in Loop: Header=BB6_126 Depth=2
	v_or_b32_e32 v26, 0x7e, v2
; %bb.2499:                             ;   in Loop: Header=BB6_126 Depth=2
	s_or_b64 exec, exec, s[22:23]
                                        ; implicit-def: $vgpr3
.LBB6_2500:                             ;   in Loop: Header=BB6_126 Depth=2
	s_andn2_saveexec_b64 s[22:23], s[92:93]
; %bb.2501:                             ;   in Loop: Header=BB6_126 Depth=2
	v_or_b32_sdwa v26, v3, s54 dst_sel:DWORD dst_unused:UNUSED_PAD src0_sel:BYTE_3 src1_sel:DWORD
; %bb.2502:                             ;   in Loop: Header=BB6_126 Depth=2
	s_or_b64 exec, exec, s[22:23]
	v_lshrrev_b32_e32 v19, 16, v15
	v_lshrrev_b32_e32 v18, 16, v11
	v_cmp_ne_u16_sdwa s[22:23], v19, v61 src0_sel:BYTE_0 src1_sel:DWORD
	s_and_b64 vcc, exec, s[20:21]
	s_mov_b64 s[92:93], -1
                                        ; implicit-def: $vgpr3
	s_cbranch_vccnz .LBB6_2516
; %bb.2503:                             ;   in Loop: Header=BB6_126 Depth=2
	v_mov_b32_e32 v3, 0
	v_mov_b32_e32 v2, 0
	s_and_saveexec_b64 s[92:93], s[22:23]
	s_cbranch_execz .LBB6_2509
; %bb.2504:                             ;   in Loop: Header=BB6_126 Depth=2
	v_cmp_ne_u16_sdwa vcc, v19, s53 src0_sel:BYTE_0 src1_sel:DWORD
	v_bfrev_b32_e32 v2, 1
	s_and_saveexec_b64 s[94:95], vcc
	s_cbranch_execz .LBB6_2508
; %bb.2505:                             ;   in Loop: Header=BB6_126 Depth=2
	v_bfe_u32 v20, v15, 16, 7
	v_cmp_ne_u32_e32 vcc, s54, v20
	v_mov_b32_e32 v2, 0x7f800001
	s_and_saveexec_b64 s[30:31], vcc
	s_cbranch_execz .LBB6_2507
; %bb.2506:                             ;   in Loop: Header=BB6_126 Depth=2
	v_and_b32_e32 v2, 7, v19
	v_lshrrev_b32_e32 v27, 3, v20
	v_cmp_gt_u32_e32 vcc, 8, v20
	v_ffbh_u32_e32 v20, v2
	v_min_u32_e32 v20, 32, v20
	v_subrev_u32_e32 v33, 28, v20
	v_lshlrev_b64 v[40:41], v33, v[19:20]
	v_sub_u32_e32 v20, 29, v20
	v_and_b32_e32 v33, 7, v40
	v_cndmask_b32_e32 v20, v27, v20, vcc
	v_cndmask_b32_e32 v2, v2, v33, vcc
	v_lshlrev_b32_e32 v27, 24, v19
	v_lshlrev_b32_e32 v2, 20, v2
	v_and_b32_e32 v27, 0x80000000, v27
	v_lshl_add_u32 v20, v20, 23, v62
	v_mov_b32_e32 v41, 0xffffff82
	v_or3_b32 v2, v27, v20, v2
.LBB6_2507:                             ;   in Loop: Header=BB6_126 Depth=2
	s_or_b64 exec, exec, s[30:31]
.LBB6_2508:                             ;   in Loop: Header=BB6_126 Depth=2
	s_or_b64 exec, exec, s[94:95]
.LBB6_2509:                             ;   in Loop: Header=BB6_126 Depth=2
	s_or_b64 exec, exec, s[92:93]
	v_cmp_ne_u16_sdwa s[94:95], v18, v61 src0_sel:BYTE_0 src1_sel:DWORD
	s_and_saveexec_b64 s[92:93], s[94:95]
	s_cbranch_execz .LBB6_2515
; %bb.2510:                             ;   in Loop: Header=BB6_126 Depth=2
	v_cmp_ne_u16_sdwa vcc, v18, s53 src0_sel:BYTE_0 src1_sel:DWORD
	v_bfrev_b32_e32 v3, 1
	s_and_saveexec_b64 s[94:95], vcc
	s_cbranch_execz .LBB6_2514
; %bb.2511:                             ;   in Loop: Header=BB6_126 Depth=2
	v_bfe_u32 v20, v11, 16, 7
	v_cmp_ne_u32_e32 vcc, s54, v20
	v_mov_b32_e32 v3, 0x7f800001
	s_and_saveexec_b64 s[30:31], vcc
	s_cbranch_execz .LBB6_2513
; %bb.2512:                             ;   in Loop: Header=BB6_126 Depth=2
	v_and_b32_e32 v3, 7, v18
	v_lshrrev_b32_e32 v27, 3, v20
	v_cmp_gt_u32_e32 vcc, 8, v20
	v_ffbh_u32_e32 v20, v3
	v_min_u32_e32 v20, 32, v20
	v_subrev_u32_e32 v33, 28, v20
	v_lshlrev_b64 v[40:41], v33, v[18:19]
	v_sub_u32_e32 v20, 29, v20
	v_and_b32_e32 v33, 7, v40
	v_cndmask_b32_e32 v20, v27, v20, vcc
	v_cndmask_b32_e32 v3, v3, v33, vcc
	v_lshlrev_b32_e32 v27, 24, v18
	v_lshlrev_b32_e32 v3, 20, v3
	v_and_b32_e32 v27, 0x80000000, v27
	v_lshl_add_u32 v20, v20, 23, v62
	v_mov_b32_e32 v41, 0xffffff82
	v_or3_b32 v3, v27, v20, v3
.LBB6_2513:                             ;   in Loop: Header=BB6_126 Depth=2
	s_or_b64 exec, exec, s[30:31]
.LBB6_2514:                             ;   in Loop: Header=BB6_126 Depth=2
	s_or_b64 exec, exec, s[94:95]
.LBB6_2515:                             ;   in Loop: Header=BB6_126 Depth=2
	s_or_b64 exec, exec, s[92:93]
	v_max_f32_e32 v3, v3, v3
	v_max_f32_e32 v2, v2, v2
	;; [unrolled: 1-line block ×3, first 2 shown]
	s_mov_b64 s[92:93], 0
.LBB6_2516:                             ;   in Loop: Header=BB6_126 Depth=2
	s_and_b64 vcc, exec, s[92:93]
	s_cbranch_vccz .LBB6_2530
; %bb.2517:                             ;   in Loop: Header=BB6_126 Depth=2
	v_mov_b32_e32 v3, 0
	v_mov_b32_e32 v2, 0
	s_and_saveexec_b64 s[92:93], s[22:23]
	s_cbranch_execz .LBB6_2523
; %bb.2518:                             ;   in Loop: Header=BB6_126 Depth=2
	v_cmp_ne_u16_sdwa s[94:95], v19, s53 src0_sel:BYTE_0 src1_sel:DWORD
	v_bfrev_b32_e32 v2, 1
	s_and_saveexec_b64 s[22:23], s[94:95]
	s_cbranch_execz .LBB6_2522
; %bb.2519:                             ;   in Loop: Header=BB6_126 Depth=2
	v_bfe_u32 v20, v15, 16, 7
	v_cmp_ne_u32_e32 vcc, s54, v20
	v_mov_b32_e32 v2, 0x7f800001
	s_and_saveexec_b64 s[94:95], vcc
	s_cbranch_execz .LBB6_2521
; %bb.2520:                             ;   in Loop: Header=BB6_126 Depth=2
	v_and_b32_e32 v2, 7, v19
	v_lshrrev_b32_e32 v27, 3, v20
	v_cmp_gt_u32_e32 vcc, 8, v20
	v_ffbh_u32_e32 v20, v2
	v_min_u32_e32 v20, 32, v20
	v_subrev_u32_e32 v33, 28, v20
	v_lshlrev_b64 v[40:41], v33, v[19:20]
	v_sub_u32_e32 v20, 29, v20
	v_and_b32_e32 v33, 7, v40
	v_cndmask_b32_e32 v20, v27, v20, vcc
	v_cndmask_b32_e32 v2, v2, v33, vcc
	v_lshlrev_b32_e32 v19, 24, v19
	v_lshlrev_b32_e32 v2, 20, v2
	v_and_b32_e32 v19, 0x80000000, v19
	v_lshl_add_u32 v20, v20, 23, v62
	v_mov_b32_e32 v41, 0xffffff82
	v_or3_b32 v2, v19, v20, v2
.LBB6_2521:                             ;   in Loop: Header=BB6_126 Depth=2
	s_or_b64 exec, exec, s[94:95]
.LBB6_2522:                             ;   in Loop: Header=BB6_126 Depth=2
	s_or_b64 exec, exec, s[22:23]
.LBB6_2523:                             ;   in Loop: Header=BB6_126 Depth=2
	s_or_b64 exec, exec, s[92:93]
	v_cmp_ne_u16_sdwa s[92:93], v18, v61 src0_sel:BYTE_0 src1_sel:DWORD
	s_and_saveexec_b64 s[22:23], s[92:93]
	s_cbranch_execz .LBB6_2529
; %bb.2524:                             ;   in Loop: Header=BB6_126 Depth=2
	v_cmp_ne_u16_sdwa s[94:95], v18, s53 src0_sel:BYTE_0 src1_sel:DWORD
	v_bfrev_b32_e32 v3, 1
	s_and_saveexec_b64 s[92:93], s[94:95]
	s_cbranch_execz .LBB6_2528
; %bb.2525:                             ;   in Loop: Header=BB6_126 Depth=2
	v_bfe_u32 v19, v11, 16, 7
	v_cmp_ne_u32_e32 vcc, s54, v19
	v_mov_b32_e32 v3, 0x7f800001
	s_and_saveexec_b64 s[94:95], vcc
	s_cbranch_execz .LBB6_2527
; %bb.2526:                             ;   in Loop: Header=BB6_126 Depth=2
	v_and_b32_e32 v3, 7, v18
	v_lshrrev_b32_e32 v27, 3, v19
	v_cmp_gt_u32_e32 vcc, 8, v19
	v_ffbh_u32_e32 v19, v3
	v_min_u32_e32 v33, 32, v19
	v_subrev_u32_e32 v19, 28, v33
	v_lshlrev_b64 v[19:20], v19, v[18:19]
	v_sub_u32_e32 v20, 29, v33
	v_and_b32_e32 v19, 7, v19
	v_cndmask_b32_e32 v20, v27, v20, vcc
	v_cndmask_b32_e32 v3, v3, v19, vcc
	v_lshlrev_b32_e32 v18, 24, v18
	v_lshlrev_b32_e32 v3, 20, v3
	v_and_b32_e32 v18, 0x80000000, v18
	v_lshl_add_u32 v19, v20, 23, v62
	v_or3_b32 v3, v18, v19, v3
.LBB6_2527:                             ;   in Loop: Header=BB6_126 Depth=2
	s_or_b64 exec, exec, s[94:95]
.LBB6_2528:                             ;   in Loop: Header=BB6_126 Depth=2
	s_or_b64 exec, exec, s[92:93]
.LBB6_2529:                             ;   in Loop: Header=BB6_126 Depth=2
	s_or_b64 exec, exec, s[22:23]
	v_max_f32_e32 v3, v3, v3
	v_max_f32_e32 v2, v2, v2
	v_min_f32_e32 v3, v2, v3
.LBB6_2530:                             ;   in Loop: Header=BB6_126 Depth=2
	v_and_b32_e32 v60, 0x7f800000, v3
	v_cmp_ne_u64_e32 vcc, s[72:73], v[60:61]
                                        ; implicit-def: $vgpr20
	s_and_saveexec_b64 s[22:23], vcc
	s_xor_b64 s[92:93], exec, s[22:23]
	s_cbranch_execz .LBB6_2544
; %bb.2531:                             ;   in Loop: Header=BB6_126 Depth=2
	v_and_b32_e32 v60, 0x7fffffff, v3
	v_cmp_gt_u64_e32 vcc, s[74:75], v[60:61]
	v_and_b32_sdwa v2, v3, s53 dst_sel:DWORD dst_unused:UNUSED_PAD src0_sel:BYTE_3 src1_sel:DWORD
                                        ; implicit-def: $vgpr20
	s_and_saveexec_b64 s[22:23], vcc
	s_xor_b64 s[94:95], exec, s[22:23]
	s_cbranch_execz .LBB6_2541
; %bb.2532:                             ;   in Loop: Header=BB6_126 Depth=2
	v_mov_b32_e32 v20, 0
	v_cmp_ne_u32_e32 vcc, 0, v3
	s_and_saveexec_b64 s[30:31], vcc
	s_cbranch_execz .LBB6_2540
; %bb.2533:                             ;   in Loop: Header=BB6_126 Depth=2
	v_and_b32_e32 v18, 0x7fffff, v3
	v_bfe_u32 v3, v3, 23, 8
	v_cmp_gt_u32_e64 s[22:23], s64, v3
	v_sub_u32_e32 v19, 0x79, v3
	v_cmp_eq_u32_e32 vcc, 0, v3
	v_cndmask_b32_e64 v19, 0, v19, s[22:23]
	v_mov_b32_e32 v27, 0x78
	v_or_b32_e32 v20, 0x800000, v18
	v_cndmask_b32_e32 v27, v19, v27, vcc
	v_cndmask_b32_e32 v60, v20, v18, vcc
	v_add_u32_e32 v18, 20, v27
	v_lshlrev_b64 v[18:19], v18, -1
	v_add_u32_e32 v20, 19, v27
	v_lshlrev_b64 v[40:41], v20, 1
	v_bfi_b32 v19, v19, 0, 0
	v_bfi_b32 v18, v18, 0, v60
	v_cmp_eq_u64_e64 s[22:23], v[18:19], v[40:41]
	v_lshrrev_b64 v[18:19], v27, v[60:61]
	v_mov_b32_e32 v20, v19
	v_mov_b32_e32 v19, v18
	s_and_saveexec_b64 s[34:35], s[22:23]
; %bb.2534:                             ;   in Loop: Header=BB6_126 Depth=2
	v_bfe_u32 v19, v18, 20, 1
	v_add_co_u32_e64 v19, s[22:23], v18, v19
	v_add_co_u32_e64 v19, s[22:23], -1, v19
; %bb.2535:                             ;   in Loop: Header=BB6_126 Depth=2
	s_or_b64 exec, exec, s[34:35]
	v_add_u32_e32 v3, 0xffffff81, v3
	v_mov_b32_e32 v41, 0xffffff82
	v_cndmask_b32_e32 v3, v3, v41, vcc
	v_lshrrev_b32_e32 v20, 23, v18
	v_add3_u32 v27, v27, v3, v20
	v_add_u32_e32 v20, 6, v27
	v_and_b32_e32 v3, 0xfffff, v19
	v_add_u32_e32 v60, v3, v18
	v_cmp_ne_u32_e32 vcc, 0, v20
                                        ; implicit-def: $vgpr18_vgpr19
                                        ; implicit-def: $vgpr3
	s_and_saveexec_b64 s[22:23], vcc
	s_xor_b64 s[22:23], exec, s[22:23]
; %bb.2536:                             ;   in Loop: Header=BB6_126 Depth=2
	v_cmp_lt_u64_e32 vcc, s[76:77], v[60:61]
	v_add_u32_e32 v3, 7, v27
	v_cndmask_b32_e64 v18, 0, 1, vcc
	v_lshrrev_b64 v[18:19], v18, v[60:61]
	v_cndmask_b32_e32 v3, v20, v3, vcc
; %bb.2537:                             ;   in Loop: Header=BB6_126 Depth=2
	s_andn2_saveexec_b64 s[22:23], s[22:23]
; %bb.2538:                             ;   in Loop: Header=BB6_126 Depth=2
	v_mov_b32_e32 v18, v60
	v_bfe_u32 v3, v60, 23, 1
	v_mov_b32_e32 v19, v61
; %bb.2539:                             ;   in Loop: Header=BB6_126 Depth=2
	s_or_b64 exec, exec, s[22:23]
	v_lshrrev_b64 v[18:19], 20, v[18:19]
	v_cmp_gt_i32_e32 vcc, 16, v3
	v_cndmask_b32_e32 v19, 0, v19, vcc
	v_cndmask_b32_e32 v18, 7, v18, vcc
	v_cmp_eq_u32_e32 vcc, 0, v3
	v_min_i32_e32 v3, 15, v3
	v_cmp_eq_u64_e64 s[22:23], 0, v[18:19]
	v_lshlrev_b32_e32 v3, 3, v3
	v_and_b32_e32 v3, 0xf8, v3
	v_and_or_b32 v3, v18, 7, v3
	s_and_b64 s[22:23], vcc, s[22:23]
	v_cndmask_b32_e64 v3, v3, 0, s[22:23]
	v_or_b32_e32 v20, v3, v2
.LBB6_2540:                             ;   in Loop: Header=BB6_126 Depth=2
	s_or_b64 exec, exec, s[30:31]
                                        ; implicit-def: $vgpr2
.LBB6_2541:                             ;   in Loop: Header=BB6_126 Depth=2
	s_andn2_saveexec_b64 s[22:23], s[94:95]
; %bb.2542:                             ;   in Loop: Header=BB6_126 Depth=2
	v_or_b32_e32 v20, 0x7e, v2
; %bb.2543:                             ;   in Loop: Header=BB6_126 Depth=2
	s_or_b64 exec, exec, s[22:23]
                                        ; implicit-def: $vgpr3
.LBB6_2544:                             ;   in Loop: Header=BB6_126 Depth=2
	s_andn2_saveexec_b64 s[22:23], s[92:93]
; %bb.2545:                             ;   in Loop: Header=BB6_126 Depth=2
	v_or_b32_sdwa v20, v3, s54 dst_sel:DWORD dst_unused:UNUSED_PAD src0_sel:BYTE_3 src1_sel:DWORD
; %bb.2546:                             ;   in Loop: Header=BB6_126 Depth=2
	s_or_b64 exec, exec, s[22:23]
	v_cmp_lt_u64_e64 s[22:23], s[78:79], v[14:15]
	v_lshrrev_b32_e32 v19, 24, v15
	v_lshrrev_b32_e32 v18, 24, v11
	s_and_b64 vcc, exec, s[20:21]
	s_mov_b64 s[92:93], -1
                                        ; implicit-def: $vgpr3
	s_cbranch_vccnz .LBB6_2560
; %bb.2547:                             ;   in Loop: Header=BB6_126 Depth=2
	v_mov_b32_e32 v3, 0
	v_mov_b32_e32 v2, 0
	s_and_saveexec_b64 s[92:93], s[22:23]
	s_cbranch_execz .LBB6_2553
; %bb.2548:                             ;   in Loop: Header=BB6_126 Depth=2
	v_cmp_ne_u32_e32 vcc, s53, v19
	v_bfrev_b32_e32 v2, 1
	s_and_saveexec_b64 s[94:95], vcc
	s_cbranch_execz .LBB6_2552
; %bb.2549:                             ;   in Loop: Header=BB6_126 Depth=2
	v_bfe_u32 v14, v15, 24, 7
	v_cmp_ne_u32_e32 vcc, s54, v14
	v_mov_b32_e32 v2, 0x7f800001
	s_and_saveexec_b64 s[30:31], vcc
	s_cbranch_execz .LBB6_2551
; %bb.2550:                             ;   in Loop: Header=BB6_126 Depth=2
	v_and_b32_e32 v2, 7, v19
	v_lshrrev_b32_e32 v27, 3, v14
	v_cmp_gt_u32_e32 vcc, 8, v14
	v_ffbh_u32_e32 v14, v2
	v_min_u32_e32 v14, 32, v14
	v_subrev_u32_e32 v33, 28, v14
	v_lshlrev_b64 v[40:41], v33, v[19:20]
	v_sub_u32_e32 v14, 29, v14
	v_and_b32_e32 v33, 7, v40
	v_cndmask_b32_e32 v14, v27, v14, vcc
	v_cndmask_b32_e32 v2, v2, v33, vcc
	v_lshlrev_b32_e32 v27, 24, v19
	v_lshlrev_b32_e32 v2, 20, v2
	v_and_b32_e32 v27, 0x80000000, v27
	v_lshl_add_u32 v14, v14, 23, v62
	v_mov_b32_e32 v41, 0xffffff82
	v_or3_b32 v2, v27, v14, v2
.LBB6_2551:                             ;   in Loop: Header=BB6_126 Depth=2
	s_or_b64 exec, exec, s[30:31]
.LBB6_2552:                             ;   in Loop: Header=BB6_126 Depth=2
	s_or_b64 exec, exec, s[94:95]
.LBB6_2553:                             ;   in Loop: Header=BB6_126 Depth=2
	s_or_b64 exec, exec, s[92:93]
	v_cmp_lt_u64_e32 vcc, s[78:79], v[10:11]
	s_and_saveexec_b64 s[92:93], vcc
	s_cbranch_execz .LBB6_2559
; %bb.2554:                             ;   in Loop: Header=BB6_126 Depth=2
	v_cmp_ne_u32_e32 vcc, s53, v18
	v_bfrev_b32_e32 v3, 1
	s_and_saveexec_b64 s[94:95], vcc
	s_cbranch_execz .LBB6_2558
; %bb.2555:                             ;   in Loop: Header=BB6_126 Depth=2
	v_bfe_u32 v14, v11, 24, 7
	v_cmp_ne_u32_e32 vcc, s54, v14
	v_mov_b32_e32 v3, 0x7f800001
	s_and_saveexec_b64 s[30:31], vcc
	s_cbranch_execz .LBB6_2557
; %bb.2556:                             ;   in Loop: Header=BB6_126 Depth=2
	v_and_b32_e32 v3, 7, v18
	v_lshrrev_b32_e32 v27, 3, v14
	v_cmp_gt_u32_e32 vcc, 8, v14
	v_ffbh_u32_e32 v14, v3
	v_min_u32_e32 v14, 32, v14
	v_subrev_u32_e32 v33, 28, v14
	v_lshlrev_b64 v[40:41], v33, v[18:19]
	v_sub_u32_e32 v14, 29, v14
	v_and_b32_e32 v33, 7, v40
	v_cndmask_b32_e32 v14, v27, v14, vcc
	v_cndmask_b32_e32 v3, v3, v33, vcc
	v_lshlrev_b32_e32 v27, 24, v18
	v_lshlrev_b32_e32 v3, 20, v3
	v_and_b32_e32 v27, 0x80000000, v27
	v_lshl_add_u32 v14, v14, 23, v62
	v_mov_b32_e32 v41, 0xffffff82
	v_or3_b32 v3, v27, v14, v3
.LBB6_2557:                             ;   in Loop: Header=BB6_126 Depth=2
	s_or_b64 exec, exec, s[30:31]
.LBB6_2558:                             ;   in Loop: Header=BB6_126 Depth=2
	s_or_b64 exec, exec, s[94:95]
.LBB6_2559:                             ;   in Loop: Header=BB6_126 Depth=2
	s_or_b64 exec, exec, s[92:93]
	v_max_f32_e32 v3, v3, v3
	v_max_f32_e32 v2, v2, v2
	v_max_f32_e32 v3, v2, v3
	s_mov_b64 s[92:93], 0
.LBB6_2560:                             ;   in Loop: Header=BB6_126 Depth=2
	s_and_b64 vcc, exec, s[92:93]
	s_cbranch_vccz .LBB6_2574
; %bb.2561:                             ;   in Loop: Header=BB6_126 Depth=2
	v_mov_b32_e32 v3, 0
	v_mov_b32_e32 v2, 0
	s_and_saveexec_b64 s[92:93], s[22:23]
	s_cbranch_execz .LBB6_2567
; %bb.2562:                             ;   in Loop: Header=BB6_126 Depth=2
	v_cmp_ne_u32_e32 vcc, s53, v19
	v_bfrev_b32_e32 v2, 1
	s_and_saveexec_b64 s[22:23], vcc
	s_cbranch_execz .LBB6_2566
; %bb.2563:                             ;   in Loop: Header=BB6_126 Depth=2
	v_bfe_u32 v14, v15, 24, 7
	v_cmp_ne_u32_e32 vcc, s54, v14
	v_mov_b32_e32 v2, 0x7f800001
	s_and_saveexec_b64 s[94:95], vcc
	s_cbranch_execz .LBB6_2565
; %bb.2564:                             ;   in Loop: Header=BB6_126 Depth=2
	v_and_b32_e32 v2, 7, v19
	v_lshrrev_b32_e32 v27, 3, v14
	v_cmp_gt_u32_e32 vcc, 8, v14
	v_ffbh_u32_e32 v14, v2
	v_min_u32_e32 v33, 32, v14
	v_subrev_u32_e32 v14, 28, v33
	v_lshlrev_b64 v[14:15], v14, v[19:20]
	v_sub_u32_e32 v15, 29, v33
	v_and_b32_e32 v14, 7, v14
	v_cndmask_b32_e32 v15, v27, v15, vcc
	v_cndmask_b32_e32 v2, v2, v14, vcc
	v_lshlrev_b32_e32 v14, 24, v19
	v_lshlrev_b32_e32 v2, 20, v2
	v_and_b32_e32 v14, 0x80000000, v14
	v_lshl_add_u32 v15, v15, 23, v62
	v_or3_b32 v2, v14, v15, v2
.LBB6_2565:                             ;   in Loop: Header=BB6_126 Depth=2
	s_or_b64 exec, exec, s[94:95]
.LBB6_2566:                             ;   in Loop: Header=BB6_126 Depth=2
	s_or_b64 exec, exec, s[22:23]
.LBB6_2567:                             ;   in Loop: Header=BB6_126 Depth=2
	s_or_b64 exec, exec, s[92:93]
	v_cmp_lt_u64_e32 vcc, s[78:79], v[10:11]
	s_and_saveexec_b64 s[22:23], vcc
	s_cbranch_execz .LBB6_2573
; %bb.2568:                             ;   in Loop: Header=BB6_126 Depth=2
	v_cmp_ne_u32_e32 vcc, s53, v18
	v_bfrev_b32_e32 v3, 1
	s_and_saveexec_b64 s[92:93], vcc
	s_cbranch_execz .LBB6_2572
; %bb.2569:                             ;   in Loop: Header=BB6_126 Depth=2
	v_bfe_u32 v10, v11, 24, 7
	v_cmp_ne_u32_e32 vcc, s54, v10
	v_mov_b32_e32 v3, 0x7f800001
	s_and_saveexec_b64 s[94:95], vcc
	s_cbranch_execz .LBB6_2571
; %bb.2570:                             ;   in Loop: Header=BB6_126 Depth=2
	v_and_b32_e32 v3, 7, v18
	v_lshrrev_b32_e32 v14, 3, v10
	v_cmp_gt_u32_e32 vcc, 8, v10
	v_ffbh_u32_e32 v10, v3
	v_min_u32_e32 v15, 32, v10
	v_subrev_u32_e32 v10, 28, v15
	v_lshlrev_b64 v[10:11], v10, v[18:19]
	v_sub_u32_e32 v11, 29, v15
	v_and_b32_e32 v10, 7, v10
	v_cndmask_b32_e32 v11, v14, v11, vcc
	v_cndmask_b32_e32 v3, v3, v10, vcc
	v_lshlrev_b32_e32 v10, 24, v18
	v_lshlrev_b32_e32 v3, 20, v3
	v_and_b32_e32 v10, 0x80000000, v10
	v_lshl_add_u32 v11, v11, 23, v62
	v_or3_b32 v3, v10, v11, v3
.LBB6_2571:                             ;   in Loop: Header=BB6_126 Depth=2
	s_or_b64 exec, exec, s[94:95]
.LBB6_2572:                             ;   in Loop: Header=BB6_126 Depth=2
	s_or_b64 exec, exec, s[92:93]
.LBB6_2573:                             ;   in Loop: Header=BB6_126 Depth=2
	s_or_b64 exec, exec, s[22:23]
	v_max_f32_e32 v3, v3, v3
	v_max_f32_e32 v2, v2, v2
	v_min_f32_e32 v3, v2, v3
.LBB6_2574:                             ;   in Loop: Header=BB6_126 Depth=2
	v_and_b32_e32 v60, 0x7f800000, v3
	v_cmp_ne_u64_e32 vcc, s[72:73], v[60:61]
                                        ; implicit-def: $vgpr27
	s_and_saveexec_b64 s[22:23], vcc
	s_xor_b64 s[92:93], exec, s[22:23]
	s_cbranch_execz .LBB6_2588
; %bb.2575:                             ;   in Loop: Header=BB6_126 Depth=2
	v_and_b32_e32 v60, 0x7fffffff, v3
	v_cmp_gt_u64_e32 vcc, s[74:75], v[60:61]
	v_and_b32_sdwa v2, v3, s53 dst_sel:DWORD dst_unused:UNUSED_PAD src0_sel:BYTE_3 src1_sel:DWORD
                                        ; implicit-def: $vgpr27
	s_and_saveexec_b64 s[22:23], vcc
	s_xor_b64 s[94:95], exec, s[22:23]
	s_cbranch_execz .LBB6_2585
; %bb.2576:                             ;   in Loop: Header=BB6_126 Depth=2
	v_mov_b32_e32 v27, 0
	v_cmp_ne_u32_e32 vcc, 0, v3
	s_and_saveexec_b64 s[30:31], vcc
	s_cbranch_execz .LBB6_2584
; %bb.2577:                             ;   in Loop: Header=BB6_126 Depth=2
	v_and_b32_e32 v10, 0x7fffff, v3
	v_bfe_u32 v3, v3, 23, 8
	v_cmp_gt_u32_e64 s[22:23], s64, v3
	v_sub_u32_e32 v11, 0x79, v3
	v_cmp_eq_u32_e32 vcc, 0, v3
	v_cndmask_b32_e64 v11, 0, v11, s[22:23]
	v_mov_b32_e32 v15, 0x78
	v_or_b32_e32 v14, 0x800000, v10
	v_cndmask_b32_e32 v18, v11, v15, vcc
	v_cndmask_b32_e32 v60, v14, v10, vcc
	v_add_u32_e32 v10, 20, v18
	v_lshlrev_b64 v[10:11], v10, -1
	v_add_u32_e32 v14, 19, v18
	v_lshlrev_b64 v[14:15], v14, 1
	v_bfi_b32 v11, v11, 0, 0
	v_bfi_b32 v10, v10, 0, v60
	v_cmp_eq_u64_e64 s[22:23], v[10:11], v[14:15]
	v_lshrrev_b64 v[10:11], v18, v[60:61]
	v_mov_b32_e32 v15, v11
	v_mov_b32_e32 v14, v10
	s_and_saveexec_b64 s[34:35], s[22:23]
; %bb.2578:                             ;   in Loop: Header=BB6_126 Depth=2
	v_bfe_u32 v11, v10, 20, 1
	v_add_co_u32_e64 v11, s[22:23], v10, v11
	v_add_co_u32_e64 v14, s[22:23], -1, v11
; %bb.2579:                             ;   in Loop: Header=BB6_126 Depth=2
	s_or_b64 exec, exec, s[34:35]
	v_add_u32_e32 v3, 0xffffff81, v3
	v_cndmask_b32_e32 v3, v3, v41, vcc
	v_lshrrev_b32_e32 v11, 23, v10
	v_add3_u32 v18, v18, v3, v11
	v_add_u32_e32 v15, 6, v18
	v_and_b32_e32 v3, 0xfffff, v14
	v_add_u32_e32 v60, v3, v10
	v_cmp_ne_u32_e32 vcc, 0, v15
                                        ; implicit-def: $vgpr10_vgpr11
                                        ; implicit-def: $vgpr3
	s_and_saveexec_b64 s[22:23], vcc
	s_xor_b64 s[22:23], exec, s[22:23]
; %bb.2580:                             ;   in Loop: Header=BB6_126 Depth=2
	v_cmp_lt_u64_e32 vcc, s[76:77], v[60:61]
	v_add_u32_e32 v3, 7, v18
	v_cndmask_b32_e64 v10, 0, 1, vcc
	v_lshrrev_b64 v[10:11], v10, v[60:61]
	v_cndmask_b32_e32 v3, v15, v3, vcc
; %bb.2581:                             ;   in Loop: Header=BB6_126 Depth=2
	s_andn2_saveexec_b64 s[22:23], s[22:23]
; %bb.2582:                             ;   in Loop: Header=BB6_126 Depth=2
	v_mov_b32_e32 v10, v60
	v_bfe_u32 v3, v60, 23, 1
	v_mov_b32_e32 v11, v61
; %bb.2583:                             ;   in Loop: Header=BB6_126 Depth=2
	s_or_b64 exec, exec, s[22:23]
	v_lshrrev_b64 v[10:11], 20, v[10:11]
	v_cmp_gt_i32_e32 vcc, 16, v3
	v_cndmask_b32_e32 v11, 0, v11, vcc
	v_cndmask_b32_e32 v10, 7, v10, vcc
	v_cmp_eq_u32_e32 vcc, 0, v3
	v_min_i32_e32 v3, 15, v3
	v_cmp_eq_u64_e64 s[22:23], 0, v[10:11]
	v_lshlrev_b32_e32 v3, 3, v3
	v_and_b32_e32 v3, 0xf8, v3
	v_and_or_b32 v3, v10, 7, v3
	s_and_b64 s[22:23], vcc, s[22:23]
	v_cndmask_b32_e64 v3, v3, 0, s[22:23]
	v_or_b32_e32 v27, v3, v2
.LBB6_2584:                             ;   in Loop: Header=BB6_126 Depth=2
	s_or_b64 exec, exec, s[30:31]
                                        ; implicit-def: $vgpr2
.LBB6_2585:                             ;   in Loop: Header=BB6_126 Depth=2
	s_andn2_saveexec_b64 s[22:23], s[94:95]
; %bb.2586:                             ;   in Loop: Header=BB6_126 Depth=2
	v_or_b32_e32 v27, 0x7e, v2
; %bb.2587:                             ;   in Loop: Header=BB6_126 Depth=2
	s_or_b64 exec, exec, s[22:23]
                                        ; implicit-def: $vgpr3
.LBB6_2588:                             ;   in Loop: Header=BB6_126 Depth=2
	s_andn2_saveexec_b64 s[22:23], s[92:93]
; %bb.2589:                             ;   in Loop: Header=BB6_126 Depth=2
	v_or_b32_sdwa v27, v3, s54 dst_sel:DWORD dst_unused:UNUSED_PAD src0_sel:BYTE_3 src1_sel:DWORD
; %bb.2590:                             ;   in Loop: Header=BB6_126 Depth=2
	s_or_b64 exec, exec, s[22:23]
	v_cmp_ne_u16_sdwa s[22:23], v16, v61 src0_sel:BYTE_0 src1_sel:DWORD
	s_and_b64 vcc, exec, s[20:21]
	s_mov_b64 s[92:93], -1
                                        ; implicit-def: $vgpr3
	s_cbranch_vccnz .LBB6_2604
; %bb.2591:                             ;   in Loop: Header=BB6_126 Depth=2
	v_mov_b32_e32 v3, 0
	v_mov_b32_e32 v2, 0
	s_and_saveexec_b64 s[92:93], s[22:23]
	s_cbranch_execz .LBB6_2597
; %bb.2592:                             ;   in Loop: Header=BB6_126 Depth=2
	v_cmp_ne_u16_sdwa vcc, v16, s53 src0_sel:BYTE_0 src1_sel:DWORD
	v_bfrev_b32_e32 v2, 1
	s_and_saveexec_b64 s[94:95], vcc
	s_cbranch_execz .LBB6_2596
; %bb.2593:                             ;   in Loop: Header=BB6_126 Depth=2
	v_and_b32_e32 v10, 0x7f, v16
	v_cmp_ne_u32_e32 vcc, s54, v10
	v_mov_b32_e32 v2, 0x7f800001
	s_and_saveexec_b64 s[30:31], vcc
	s_cbranch_execz .LBB6_2595
; %bb.2594:                             ;   in Loop: Header=BB6_126 Depth=2
	v_and_b32_e32 v2, 7, v16
	v_ffbh_u32_e32 v2, v2
	v_min_u32_e32 v2, 32, v2
	v_lshrrev_b32_e32 v11, 3, v10
	v_cmp_gt_u32_e32 vcc, 8, v10
	v_subrev_u32_e32 v10, 28, v2
	v_sub_u32_e32 v2, 29, v2
	v_cndmask_b32_e32 v10, 0, v10, vcc
	v_cndmask_b32_e32 v2, v11, v2, vcc
	v_lshlrev_b64 v[10:11], v10, v[16:17]
	v_lshlrev_b32_e32 v11, 24, v16
	v_lshlrev_b32_e32 v10, 20, v10
	v_and_b32_e32 v10, 0x700000, v10
	v_and_b32_e32 v11, 0x80000000, v11
	v_lshl_add_u32 v2, v2, 23, v62
	v_or3_b32 v2, v11, v2, v10
.LBB6_2595:                             ;   in Loop: Header=BB6_126 Depth=2
	s_or_b64 exec, exec, s[30:31]
.LBB6_2596:                             ;   in Loop: Header=BB6_126 Depth=2
	s_or_b64 exec, exec, s[94:95]
.LBB6_2597:                             ;   in Loop: Header=BB6_126 Depth=2
	s_or_b64 exec, exec, s[92:93]
	v_cmp_ne_u16_sdwa s[94:95], v12, v61 src0_sel:BYTE_0 src1_sel:DWORD
	s_and_saveexec_b64 s[92:93], s[94:95]
	s_cbranch_execz .LBB6_2603
; %bb.2598:                             ;   in Loop: Header=BB6_126 Depth=2
	v_cmp_ne_u16_sdwa vcc, v12, s53 src0_sel:BYTE_0 src1_sel:DWORD
	v_bfrev_b32_e32 v3, 1
	s_and_saveexec_b64 s[94:95], vcc
	s_cbranch_execz .LBB6_2602
; %bb.2599:                             ;   in Loop: Header=BB6_126 Depth=2
	v_and_b32_e32 v10, 0x7f, v12
	v_cmp_ne_u32_e32 vcc, s54, v10
	v_mov_b32_e32 v3, 0x7f800001
	s_and_saveexec_b64 s[30:31], vcc
	s_cbranch_execz .LBB6_2601
; %bb.2600:                             ;   in Loop: Header=BB6_126 Depth=2
	v_and_b32_e32 v3, 7, v12
	v_ffbh_u32_e32 v3, v3
	v_min_u32_e32 v3, 32, v3
	v_lshrrev_b32_e32 v11, 3, v10
	v_cmp_gt_u32_e32 vcc, 8, v10
	v_subrev_u32_e32 v10, 28, v3
	v_sub_u32_e32 v3, 29, v3
	v_cndmask_b32_e32 v10, 0, v10, vcc
	v_cndmask_b32_e32 v3, v11, v3, vcc
	v_lshlrev_b64 v[10:11], v10, v[12:13]
	v_lshlrev_b32_e32 v11, 24, v12
	v_lshlrev_b32_e32 v10, 20, v10
	v_and_b32_e32 v10, 0x700000, v10
	v_and_b32_e32 v11, 0x80000000, v11
	v_lshl_add_u32 v3, v3, 23, v62
	v_or3_b32 v3, v11, v3, v10
.LBB6_2601:                             ;   in Loop: Header=BB6_126 Depth=2
	s_or_b64 exec, exec, s[30:31]
.LBB6_2602:                             ;   in Loop: Header=BB6_126 Depth=2
	s_or_b64 exec, exec, s[94:95]
.LBB6_2603:                             ;   in Loop: Header=BB6_126 Depth=2
	s_or_b64 exec, exec, s[92:93]
	v_max_f32_e32 v3, v3, v3
	v_max_f32_e32 v2, v2, v2
	;; [unrolled: 1-line block ×3, first 2 shown]
	s_mov_b64 s[92:93], 0
.LBB6_2604:                             ;   in Loop: Header=BB6_126 Depth=2
	s_and_b64 vcc, exec, s[92:93]
	s_cbranch_vccz .LBB6_2618
; %bb.2605:                             ;   in Loop: Header=BB6_126 Depth=2
	v_mov_b32_e32 v3, 0
	v_mov_b32_e32 v2, 0
	s_and_saveexec_b64 s[92:93], s[22:23]
	s_cbranch_execz .LBB6_2611
; %bb.2606:                             ;   in Loop: Header=BB6_126 Depth=2
	v_cmp_ne_u16_sdwa s[94:95], v16, s53 src0_sel:BYTE_0 src1_sel:DWORD
	v_bfrev_b32_e32 v2, 1
	s_and_saveexec_b64 s[22:23], s[94:95]
	s_cbranch_execz .LBB6_2610
; %bb.2607:                             ;   in Loop: Header=BB6_126 Depth=2
	v_and_b32_e32 v10, 0x7f, v16
	v_cmp_ne_u32_e32 vcc, s54, v10
	v_mov_b32_e32 v2, 0x7f800001
	s_and_saveexec_b64 s[94:95], vcc
	s_cbranch_execz .LBB6_2609
; %bb.2608:                             ;   in Loop: Header=BB6_126 Depth=2
	v_and_b32_e32 v2, 7, v16
	v_ffbh_u32_e32 v2, v2
	v_min_u32_e32 v2, 32, v2
	v_lshrrev_b32_e32 v11, 3, v10
	v_cmp_gt_u32_e32 vcc, 8, v10
	v_subrev_u32_e32 v10, 28, v2
	v_sub_u32_e32 v2, 29, v2
	v_cndmask_b32_e32 v10, 0, v10, vcc
	v_cndmask_b32_e32 v2, v11, v2, vcc
	v_lshlrev_b64 v[10:11], v10, v[16:17]
	v_lshlrev_b32_e32 v11, 24, v16
	v_lshlrev_b32_e32 v10, 20, v10
	v_and_b32_e32 v10, 0x700000, v10
	v_and_b32_e32 v11, 0x80000000, v11
	v_lshl_add_u32 v2, v2, 23, v62
	v_or3_b32 v2, v11, v2, v10
.LBB6_2609:                             ;   in Loop: Header=BB6_126 Depth=2
	s_or_b64 exec, exec, s[94:95]
.LBB6_2610:                             ;   in Loop: Header=BB6_126 Depth=2
	s_or_b64 exec, exec, s[22:23]
.LBB6_2611:                             ;   in Loop: Header=BB6_126 Depth=2
	s_or_b64 exec, exec, s[92:93]
	v_cmp_ne_u16_sdwa s[92:93], v12, v61 src0_sel:BYTE_0 src1_sel:DWORD
	s_and_saveexec_b64 s[22:23], s[92:93]
	s_cbranch_execz .LBB6_2617
; %bb.2612:                             ;   in Loop: Header=BB6_126 Depth=2
	v_cmp_ne_u16_sdwa s[94:95], v12, s53 src0_sel:BYTE_0 src1_sel:DWORD
	v_bfrev_b32_e32 v3, 1
	s_and_saveexec_b64 s[92:93], s[94:95]
	s_cbranch_execz .LBB6_2616
; %bb.2613:                             ;   in Loop: Header=BB6_126 Depth=2
	v_and_b32_e32 v10, 0x7f, v12
	v_cmp_ne_u32_e32 vcc, s54, v10
	v_mov_b32_e32 v3, 0x7f800001
	s_and_saveexec_b64 s[94:95], vcc
	s_cbranch_execz .LBB6_2615
; %bb.2614:                             ;   in Loop: Header=BB6_126 Depth=2
	v_and_b32_e32 v3, 7, v12
	v_ffbh_u32_e32 v3, v3
	v_min_u32_e32 v3, 32, v3
	v_lshrrev_b32_e32 v11, 3, v10
	v_cmp_gt_u32_e32 vcc, 8, v10
	v_subrev_u32_e32 v10, 28, v3
	v_sub_u32_e32 v3, 29, v3
	v_cndmask_b32_e32 v10, 0, v10, vcc
	v_cndmask_b32_e32 v3, v11, v3, vcc
	v_lshlrev_b64 v[10:11], v10, v[12:13]
	v_lshlrev_b32_e32 v11, 24, v12
	v_lshlrev_b32_e32 v10, 20, v10
	v_and_b32_e32 v10, 0x700000, v10
	v_and_b32_e32 v11, 0x80000000, v11
	v_lshl_add_u32 v3, v3, 23, v62
	v_or3_b32 v3, v11, v3, v10
.LBB6_2615:                             ;   in Loop: Header=BB6_126 Depth=2
	s_or_b64 exec, exec, s[94:95]
.LBB6_2616:                             ;   in Loop: Header=BB6_126 Depth=2
	s_or_b64 exec, exec, s[92:93]
.LBB6_2617:                             ;   in Loop: Header=BB6_126 Depth=2
	s_or_b64 exec, exec, s[22:23]
	v_max_f32_e32 v3, v3, v3
	v_max_f32_e32 v2, v2, v2
	v_min_f32_e32 v3, v2, v3
.LBB6_2618:                             ;   in Loop: Header=BB6_126 Depth=2
	v_and_b32_e32 v60, 0x7f800000, v3
	v_cmp_ne_u64_e32 vcc, s[72:73], v[60:61]
                                        ; implicit-def: $vgpr56
	s_and_saveexec_b64 s[22:23], vcc
	s_xor_b64 s[92:93], exec, s[22:23]
	s_cbranch_execz .LBB6_2632
; %bb.2619:                             ;   in Loop: Header=BB6_126 Depth=2
	v_and_b32_e32 v60, 0x7fffffff, v3
	v_cmp_gt_u64_e32 vcc, s[74:75], v[60:61]
	v_and_b32_sdwa v2, v3, s53 dst_sel:DWORD dst_unused:UNUSED_PAD src0_sel:BYTE_3 src1_sel:DWORD
                                        ; implicit-def: $vgpr56
	s_and_saveexec_b64 s[22:23], vcc
	s_xor_b64 s[94:95], exec, s[22:23]
	s_cbranch_execz .LBB6_2629
; %bb.2620:                             ;   in Loop: Header=BB6_126 Depth=2
	v_mov_b32_e32 v56, 0
	v_cmp_ne_u32_e32 vcc, 0, v3
	s_and_saveexec_b64 s[30:31], vcc
	s_cbranch_execz .LBB6_2628
; %bb.2621:                             ;   in Loop: Header=BB6_126 Depth=2
	v_and_b32_e32 v10, 0x7fffff, v3
	v_bfe_u32 v3, v3, 23, 8
	v_cmp_gt_u32_e64 s[22:23], s64, v3
	v_sub_u32_e32 v11, 0x79, v3
	v_cmp_eq_u32_e32 vcc, 0, v3
	v_cndmask_b32_e64 v11, 0, v11, s[22:23]
	v_mov_b32_e32 v15, 0x78
	v_or_b32_e32 v14, 0x800000, v10
	v_cndmask_b32_e32 v18, v11, v15, vcc
	v_cndmask_b32_e32 v60, v14, v10, vcc
	v_add_u32_e32 v10, 20, v18
	v_lshlrev_b64 v[10:11], v10, -1
	v_add_u32_e32 v14, 19, v18
	v_lshlrev_b64 v[14:15], v14, 1
	v_bfi_b32 v11, v11, 0, 0
	v_bfi_b32 v10, v10, 0, v60
	v_cmp_eq_u64_e64 s[22:23], v[10:11], v[14:15]
	v_lshrrev_b64 v[10:11], v18, v[60:61]
	v_mov_b32_e32 v15, v11
	v_mov_b32_e32 v14, v10
	s_and_saveexec_b64 s[34:35], s[22:23]
; %bb.2622:                             ;   in Loop: Header=BB6_126 Depth=2
	v_bfe_u32 v11, v10, 20, 1
	v_add_co_u32_e64 v11, s[22:23], v10, v11
	v_add_co_u32_e64 v14, s[22:23], -1, v11
; %bb.2623:                             ;   in Loop: Header=BB6_126 Depth=2
	s_or_b64 exec, exec, s[34:35]
	v_add_u32_e32 v3, 0xffffff81, v3
	v_cndmask_b32_e32 v3, v3, v41, vcc
	v_lshrrev_b32_e32 v11, 23, v10
	v_add3_u32 v18, v18, v3, v11
	v_add_u32_e32 v15, 6, v18
	v_and_b32_e32 v3, 0xfffff, v14
	v_add_u32_e32 v60, v3, v10
	v_cmp_ne_u32_e32 vcc, 0, v15
                                        ; implicit-def: $vgpr10_vgpr11
                                        ; implicit-def: $vgpr3
	s_and_saveexec_b64 s[22:23], vcc
	s_xor_b64 s[22:23], exec, s[22:23]
; %bb.2624:                             ;   in Loop: Header=BB6_126 Depth=2
	v_cmp_lt_u64_e32 vcc, s[76:77], v[60:61]
	v_add_u32_e32 v3, 7, v18
	v_cndmask_b32_e64 v10, 0, 1, vcc
	v_lshrrev_b64 v[10:11], v10, v[60:61]
	v_cndmask_b32_e32 v3, v15, v3, vcc
; %bb.2625:                             ;   in Loop: Header=BB6_126 Depth=2
	s_andn2_saveexec_b64 s[22:23], s[22:23]
; %bb.2626:                             ;   in Loop: Header=BB6_126 Depth=2
	v_mov_b32_e32 v10, v60
	v_bfe_u32 v3, v60, 23, 1
	v_mov_b32_e32 v11, v61
; %bb.2627:                             ;   in Loop: Header=BB6_126 Depth=2
	s_or_b64 exec, exec, s[22:23]
	v_lshrrev_b64 v[10:11], 20, v[10:11]
	v_cmp_gt_i32_e32 vcc, 16, v3
	v_cndmask_b32_e32 v11, 0, v11, vcc
	v_cndmask_b32_e32 v10, 7, v10, vcc
	v_cmp_eq_u32_e32 vcc, 0, v3
	v_min_i32_e32 v3, 15, v3
	v_cmp_eq_u64_e64 s[22:23], 0, v[10:11]
	v_lshlrev_b32_e32 v3, 3, v3
	v_and_b32_e32 v3, 0xf8, v3
	v_and_or_b32 v3, v10, 7, v3
	s_and_b64 s[22:23], vcc, s[22:23]
	v_cndmask_b32_e64 v3, v3, 0, s[22:23]
	v_or_b32_e32 v56, v3, v2
.LBB6_2628:                             ;   in Loop: Header=BB6_126 Depth=2
	s_or_b64 exec, exec, s[30:31]
                                        ; implicit-def: $vgpr2
.LBB6_2629:                             ;   in Loop: Header=BB6_126 Depth=2
	s_andn2_saveexec_b64 s[22:23], s[94:95]
; %bb.2630:                             ;   in Loop: Header=BB6_126 Depth=2
	v_or_b32_e32 v56, 0x7e, v2
; %bb.2631:                             ;   in Loop: Header=BB6_126 Depth=2
	s_or_b64 exec, exec, s[22:23]
                                        ; implicit-def: $vgpr3
.LBB6_2632:                             ;   in Loop: Header=BB6_126 Depth=2
	s_andn2_saveexec_b64 s[22:23], s[92:93]
; %bb.2633:                             ;   in Loop: Header=BB6_126 Depth=2
	v_or_b32_sdwa v56, v3, s54 dst_sel:DWORD dst_unused:UNUSED_PAD src0_sel:BYTE_3 src1_sel:DWORD
; %bb.2634:                             ;   in Loop: Header=BB6_126 Depth=2
	s_or_b64 exec, exec, s[22:23]
	v_lshrrev_b16_e32 v11, 8, v16
	v_lshrrev_b16_e32 v10, 8, v12
	v_cmp_ne_u16_e64 s[22:23], 0, v11
	s_and_b64 vcc, exec, s[20:21]
	s_mov_b64 s[92:93], -1
                                        ; implicit-def: $vgpr3
	s_cbranch_vccnz .LBB6_2648
; %bb.2635:                             ;   in Loop: Header=BB6_126 Depth=2
	v_mov_b32_e32 v3, 0
	v_mov_b32_e32 v2, 0
	s_and_saveexec_b64 s[92:93], s[22:23]
	s_cbranch_execz .LBB6_2641
; %bb.2636:                             ;   in Loop: Header=BB6_126 Depth=2
	v_cmp_ne_u16_e32 vcc, s53, v11
	v_bfrev_b32_e32 v2, 1
	s_and_saveexec_b64 s[94:95], vcc
	s_cbranch_execz .LBB6_2640
; %bb.2637:                             ;   in Loop: Header=BB6_126 Depth=2
	v_and_b32_e32 v14, 0x7f, v11
	v_cmp_ne_u32_e32 vcc, s54, v14
	v_mov_b32_e32 v2, 0x7f800001
	s_and_saveexec_b64 s[30:31], vcc
	s_cbranch_execz .LBB6_2639
; %bb.2638:                             ;   in Loop: Header=BB6_126 Depth=2
	v_and_b32_e32 v2, 7, v11
	v_lshrrev_b32_e32 v18, 3, v14
	v_cmp_gt_u32_e32 vcc, 8, v14
	v_ffbh_u32_e32 v14, v2
	v_min_u32_e32 v19, 32, v14
	v_subrev_u32_e32 v14, 28, v19
	v_lshlrev_b64 v[14:15], v14, v[11:12]
	v_sub_u32_e32 v15, 29, v19
	v_and_b32_e32 v14, 7, v14
	v_cndmask_b32_e32 v15, v18, v15, vcc
	v_cndmask_b32_e32 v2, v2, v14, vcc
	v_lshlrev_b32_e32 v14, 16, v16
	v_lshlrev_b32_e32 v2, 20, v2
	v_and_b32_e32 v14, 0x80000000, v14
	v_lshl_add_u32 v15, v15, 23, v62
	v_or3_b32 v2, v14, v15, v2
.LBB6_2639:                             ;   in Loop: Header=BB6_126 Depth=2
	s_or_b64 exec, exec, s[30:31]
.LBB6_2640:                             ;   in Loop: Header=BB6_126 Depth=2
	s_or_b64 exec, exec, s[94:95]
.LBB6_2641:                             ;   in Loop: Header=BB6_126 Depth=2
	s_or_b64 exec, exec, s[92:93]
	v_cmp_ne_u16_e32 vcc, 0, v10
	s_and_saveexec_b64 s[92:93], vcc
	s_cbranch_execz .LBB6_2647
; %bb.2642:                             ;   in Loop: Header=BB6_126 Depth=2
	v_cmp_ne_u16_e32 vcc, s53, v10
	v_bfrev_b32_e32 v3, 1
	s_and_saveexec_b64 s[94:95], vcc
	s_cbranch_execz .LBB6_2646
; %bb.2643:                             ;   in Loop: Header=BB6_126 Depth=2
	v_and_b32_e32 v14, 0x7f, v10
	v_cmp_ne_u32_e32 vcc, s54, v14
	v_mov_b32_e32 v3, 0x7f800001
	s_and_saveexec_b64 s[30:31], vcc
	s_cbranch_execz .LBB6_2645
; %bb.2644:                             ;   in Loop: Header=BB6_126 Depth=2
	v_and_b32_e32 v3, 7, v10
	v_lshrrev_b32_e32 v18, 3, v14
	v_cmp_gt_u32_e32 vcc, 8, v14
	v_ffbh_u32_e32 v14, v3
	v_min_u32_e32 v19, 32, v14
	v_subrev_u32_e32 v14, 28, v19
	v_lshlrev_b64 v[14:15], v14, v[10:11]
	v_sub_u32_e32 v15, 29, v19
	v_and_b32_e32 v14, 7, v14
	v_cndmask_b32_e32 v15, v18, v15, vcc
	v_cndmask_b32_e32 v3, v3, v14, vcc
	v_lshlrev_b32_e32 v14, 16, v12
	v_lshlrev_b32_e32 v3, 20, v3
	v_and_b32_e32 v14, 0x80000000, v14
	v_lshl_add_u32 v15, v15, 23, v62
	v_or3_b32 v3, v14, v15, v3
.LBB6_2645:                             ;   in Loop: Header=BB6_126 Depth=2
	s_or_b64 exec, exec, s[30:31]
.LBB6_2646:                             ;   in Loop: Header=BB6_126 Depth=2
	s_or_b64 exec, exec, s[94:95]
.LBB6_2647:                             ;   in Loop: Header=BB6_126 Depth=2
	s_or_b64 exec, exec, s[92:93]
	v_max_f32_e32 v3, v3, v3
	v_max_f32_e32 v2, v2, v2
	;; [unrolled: 1-line block ×3, first 2 shown]
	s_mov_b64 s[92:93], 0
.LBB6_2648:                             ;   in Loop: Header=BB6_126 Depth=2
	s_and_b64 vcc, exec, s[92:93]
	s_cbranch_vccz .LBB6_2662
; %bb.2649:                             ;   in Loop: Header=BB6_126 Depth=2
	v_mov_b32_e32 v3, 0
	v_mov_b32_e32 v2, 0
	s_and_saveexec_b64 s[92:93], s[22:23]
	s_cbranch_execz .LBB6_2655
; %bb.2650:                             ;   in Loop: Header=BB6_126 Depth=2
	v_cmp_ne_u16_e32 vcc, s53, v11
	v_bfrev_b32_e32 v2, 1
	s_and_saveexec_b64 s[22:23], vcc
	s_cbranch_execz .LBB6_2654
; %bb.2651:                             ;   in Loop: Header=BB6_126 Depth=2
	v_and_b32_e32 v14, 0x7f, v11
	v_cmp_ne_u32_e32 vcc, s54, v14
	v_mov_b32_e32 v2, 0x7f800001
	s_and_saveexec_b64 s[94:95], vcc
	s_cbranch_execz .LBB6_2653
; %bb.2652:                             ;   in Loop: Header=BB6_126 Depth=2
	v_and_b32_e32 v2, 7, v11
	v_lshrrev_b32_e32 v18, 3, v14
	v_cmp_gt_u32_e32 vcc, 8, v14
	v_ffbh_u32_e32 v14, v2
	v_min_u32_e32 v19, 32, v14
	v_subrev_u32_e32 v14, 28, v19
	v_lshlrev_b64 v[14:15], v14, v[11:12]
	v_sub_u32_e32 v11, 29, v19
	v_and_b32_e32 v14, 7, v14
	v_cndmask_b32_e32 v11, v18, v11, vcc
	v_cndmask_b32_e32 v2, v2, v14, vcc
	v_lshlrev_b32_e32 v14, 16, v16
	v_lshlrev_b32_e32 v2, 20, v2
	v_and_b32_e32 v14, 0x80000000, v14
	v_lshl_add_u32 v11, v11, 23, v62
	v_or3_b32 v2, v14, v11, v2
.LBB6_2653:                             ;   in Loop: Header=BB6_126 Depth=2
	s_or_b64 exec, exec, s[94:95]
.LBB6_2654:                             ;   in Loop: Header=BB6_126 Depth=2
	s_or_b64 exec, exec, s[22:23]
.LBB6_2655:                             ;   in Loop: Header=BB6_126 Depth=2
	s_or_b64 exec, exec, s[92:93]
	v_cmp_ne_u16_e32 vcc, 0, v10
	s_and_saveexec_b64 s[22:23], vcc
	s_cbranch_execz .LBB6_2661
; %bb.2656:                             ;   in Loop: Header=BB6_126 Depth=2
	v_cmp_ne_u16_e32 vcc, s53, v10
	v_bfrev_b32_e32 v3, 1
	s_and_saveexec_b64 s[92:93], vcc
	s_cbranch_execz .LBB6_2660
; %bb.2657:                             ;   in Loop: Header=BB6_126 Depth=2
	v_and_b32_e32 v11, 0x7f, v10
	v_cmp_ne_u32_e32 vcc, s54, v11
	v_mov_b32_e32 v3, 0x7f800001
	s_and_saveexec_b64 s[94:95], vcc
	s_cbranch_execz .LBB6_2659
; %bb.2658:                             ;   in Loop: Header=BB6_126 Depth=2
	v_and_b32_e32 v3, 7, v10
	v_lshrrev_b32_e32 v14, 3, v11
	v_cmp_gt_u32_e32 vcc, 8, v11
	v_ffbh_u32_e32 v11, v3
	v_min_u32_e32 v15, 32, v11
	v_subrev_u32_e32 v11, 28, v15
	v_lshlrev_b64 v[10:11], v11, v[10:11]
	v_sub_u32_e32 v11, 29, v15
	v_and_b32_e32 v10, 7, v10
	v_cndmask_b32_e32 v11, v14, v11, vcc
	v_cndmask_b32_e32 v3, v3, v10, vcc
	v_lshlrev_b32_e32 v10, 16, v12
	v_lshlrev_b32_e32 v3, 20, v3
	v_and_b32_e32 v10, 0x80000000, v10
	v_lshl_add_u32 v11, v11, 23, v62
	v_or3_b32 v3, v10, v11, v3
.LBB6_2659:                             ;   in Loop: Header=BB6_126 Depth=2
	s_or_b64 exec, exec, s[94:95]
.LBB6_2660:                             ;   in Loop: Header=BB6_126 Depth=2
	s_or_b64 exec, exec, s[92:93]
.LBB6_2661:                             ;   in Loop: Header=BB6_126 Depth=2
	s_or_b64 exec, exec, s[22:23]
	v_max_f32_e32 v3, v3, v3
	v_max_f32_e32 v2, v2, v2
	v_min_f32_e32 v3, v2, v3
.LBB6_2662:                             ;   in Loop: Header=BB6_126 Depth=2
	v_and_b32_e32 v60, 0x7f800000, v3
	v_cmp_ne_u64_e32 vcc, s[72:73], v[60:61]
	v_mov_b32_e32 v44, v57
                                        ; implicit-def: $vgpr57
	s_and_saveexec_b64 s[22:23], vcc
	s_xor_b64 s[92:93], exec, s[22:23]
	s_cbranch_execz .LBB6_2676
; %bb.2663:                             ;   in Loop: Header=BB6_126 Depth=2
	v_and_b32_e32 v60, 0x7fffffff, v3
	v_cmp_gt_u64_e32 vcc, s[74:75], v[60:61]
	v_and_b32_sdwa v2, v3, s53 dst_sel:DWORD dst_unused:UNUSED_PAD src0_sel:BYTE_3 src1_sel:DWORD
                                        ; implicit-def: $vgpr57
	s_and_saveexec_b64 s[22:23], vcc
	s_xor_b64 s[94:95], exec, s[22:23]
	s_cbranch_execz .LBB6_2673
; %bb.2664:                             ;   in Loop: Header=BB6_126 Depth=2
	v_mov_b32_e32 v57, 0
	v_cmp_ne_u32_e32 vcc, 0, v3
	s_and_saveexec_b64 s[30:31], vcc
	s_cbranch_execz .LBB6_2672
; %bb.2665:                             ;   in Loop: Header=BB6_126 Depth=2
	v_and_b32_e32 v10, 0x7fffff, v3
	v_bfe_u32 v3, v3, 23, 8
	v_cmp_gt_u32_e64 s[22:23], s64, v3
	v_sub_u32_e32 v11, 0x79, v3
	v_cmp_eq_u32_e32 vcc, 0, v3
	v_cndmask_b32_e64 v11, 0, v11, s[22:23]
	v_mov_b32_e32 v15, 0x78
	v_or_b32_e32 v14, 0x800000, v10
	v_cndmask_b32_e32 v18, v11, v15, vcc
	v_cndmask_b32_e32 v60, v14, v10, vcc
	v_add_u32_e32 v10, 20, v18
	v_lshlrev_b64 v[10:11], v10, -1
	v_add_u32_e32 v14, 19, v18
	v_lshlrev_b64 v[14:15], v14, 1
	v_bfi_b32 v11, v11, 0, 0
	v_bfi_b32 v10, v10, 0, v60
	v_cmp_eq_u64_e64 s[22:23], v[10:11], v[14:15]
	v_lshrrev_b64 v[10:11], v18, v[60:61]
	v_mov_b32_e32 v15, v11
	v_mov_b32_e32 v14, v10
	s_and_saveexec_b64 s[34:35], s[22:23]
; %bb.2666:                             ;   in Loop: Header=BB6_126 Depth=2
	v_bfe_u32 v11, v10, 20, 1
	v_add_co_u32_e64 v11, s[22:23], v10, v11
	v_add_co_u32_e64 v14, s[22:23], -1, v11
; %bb.2667:                             ;   in Loop: Header=BB6_126 Depth=2
	s_or_b64 exec, exec, s[34:35]
	v_add_u32_e32 v3, 0xffffff81, v3
	v_cndmask_b32_e32 v3, v3, v41, vcc
	v_lshrrev_b32_e32 v11, 23, v10
	v_add3_u32 v18, v18, v3, v11
	v_add_u32_e32 v15, 6, v18
	v_and_b32_e32 v3, 0xfffff, v14
	v_add_u32_e32 v60, v3, v10
	v_cmp_ne_u32_e32 vcc, 0, v15
                                        ; implicit-def: $vgpr10_vgpr11
                                        ; implicit-def: $vgpr3
	s_and_saveexec_b64 s[22:23], vcc
	s_xor_b64 s[22:23], exec, s[22:23]
; %bb.2668:                             ;   in Loop: Header=BB6_126 Depth=2
	v_cmp_lt_u64_e32 vcc, s[76:77], v[60:61]
	v_add_u32_e32 v3, 7, v18
	v_cndmask_b32_e64 v10, 0, 1, vcc
	v_lshrrev_b64 v[10:11], v10, v[60:61]
	v_cndmask_b32_e32 v3, v15, v3, vcc
; %bb.2669:                             ;   in Loop: Header=BB6_126 Depth=2
	s_andn2_saveexec_b64 s[22:23], s[22:23]
; %bb.2670:                             ;   in Loop: Header=BB6_126 Depth=2
	v_mov_b32_e32 v10, v60
	v_bfe_u32 v3, v60, 23, 1
	v_mov_b32_e32 v11, v61
; %bb.2671:                             ;   in Loop: Header=BB6_126 Depth=2
	s_or_b64 exec, exec, s[22:23]
	v_lshrrev_b64 v[10:11], 20, v[10:11]
	v_cmp_gt_i32_e32 vcc, 16, v3
	v_cndmask_b32_e32 v11, 0, v11, vcc
	v_cndmask_b32_e32 v10, 7, v10, vcc
	v_cmp_eq_u32_e32 vcc, 0, v3
	v_min_i32_e32 v3, 15, v3
	v_cmp_eq_u64_e64 s[22:23], 0, v[10:11]
	v_lshlrev_b32_e32 v3, 3, v3
	v_and_b32_e32 v3, 0xf8, v3
	v_and_or_b32 v3, v10, 7, v3
	s_and_b64 s[22:23], vcc, s[22:23]
	v_cndmask_b32_e64 v3, v3, 0, s[22:23]
	v_or_b32_e32 v57, v3, v2
.LBB6_2672:                             ;   in Loop: Header=BB6_126 Depth=2
	s_or_b64 exec, exec, s[30:31]
                                        ; implicit-def: $vgpr2
.LBB6_2673:                             ;   in Loop: Header=BB6_126 Depth=2
	s_andn2_saveexec_b64 s[22:23], s[94:95]
; %bb.2674:                             ;   in Loop: Header=BB6_126 Depth=2
	v_or_b32_e32 v57, 0x7e, v2
; %bb.2675:                             ;   in Loop: Header=BB6_126 Depth=2
	s_or_b64 exec, exec, s[22:23]
                                        ; implicit-def: $vgpr3
.LBB6_2676:                             ;   in Loop: Header=BB6_126 Depth=2
	s_andn2_saveexec_b64 s[22:23], s[92:93]
; %bb.2677:                             ;   in Loop: Header=BB6_126 Depth=2
	v_or_b32_sdwa v57, v3, s54 dst_sel:DWORD dst_unused:UNUSED_PAD src0_sel:BYTE_3 src1_sel:DWORD
; %bb.2678:                             ;   in Loop: Header=BB6_126 Depth=2
	s_or_b64 exec, exec, s[22:23]
	v_lshrrev_b32_e32 v11, 16, v16
	v_lshrrev_b32_e32 v10, 16, v12
	v_cmp_ne_u16_sdwa s[22:23], v11, v61 src0_sel:BYTE_0 src1_sel:DWORD
	s_and_b64 vcc, exec, s[20:21]
	s_mov_b64 s[92:93], -1
                                        ; implicit-def: $vgpr3
	s_cbranch_vccnz .LBB6_2692
; %bb.2679:                             ;   in Loop: Header=BB6_126 Depth=2
	v_mov_b32_e32 v3, 0
	v_mov_b32_e32 v2, 0
	s_and_saveexec_b64 s[92:93], s[22:23]
	s_cbranch_execz .LBB6_2685
; %bb.2680:                             ;   in Loop: Header=BB6_126 Depth=2
	v_cmp_ne_u16_sdwa vcc, v11, s53 src0_sel:BYTE_0 src1_sel:DWORD
	v_bfrev_b32_e32 v2, 1
	s_and_saveexec_b64 s[94:95], vcc
	s_cbranch_execz .LBB6_2684
; %bb.2681:                             ;   in Loop: Header=BB6_126 Depth=2
	v_bfe_u32 v14, v16, 16, 7
	v_cmp_ne_u32_e32 vcc, s54, v14
	v_mov_b32_e32 v2, 0x7f800001
	s_and_saveexec_b64 s[30:31], vcc
	s_cbranch_execz .LBB6_2683
; %bb.2682:                             ;   in Loop: Header=BB6_126 Depth=2
	v_and_b32_e32 v2, 7, v11
	v_lshrrev_b32_e32 v18, 3, v14
	v_cmp_gt_u32_e32 vcc, 8, v14
	v_ffbh_u32_e32 v14, v2
	v_min_u32_e32 v19, 32, v14
	v_subrev_u32_e32 v14, 28, v19
	v_lshlrev_b64 v[14:15], v14, v[11:12]
	v_sub_u32_e32 v15, 29, v19
	v_and_b32_e32 v14, 7, v14
	v_cndmask_b32_e32 v15, v18, v15, vcc
	v_cndmask_b32_e32 v2, v2, v14, vcc
	v_lshlrev_b32_e32 v14, 24, v11
	v_lshlrev_b32_e32 v2, 20, v2
	v_and_b32_e32 v14, 0x80000000, v14
	v_lshl_add_u32 v15, v15, 23, v62
	v_or3_b32 v2, v14, v15, v2
.LBB6_2683:                             ;   in Loop: Header=BB6_126 Depth=2
	s_or_b64 exec, exec, s[30:31]
.LBB6_2684:                             ;   in Loop: Header=BB6_126 Depth=2
	s_or_b64 exec, exec, s[94:95]
.LBB6_2685:                             ;   in Loop: Header=BB6_126 Depth=2
	s_or_b64 exec, exec, s[92:93]
	v_cmp_ne_u16_sdwa s[94:95], v10, v61 src0_sel:BYTE_0 src1_sel:DWORD
	s_and_saveexec_b64 s[92:93], s[94:95]
	s_cbranch_execz .LBB6_2691
; %bb.2686:                             ;   in Loop: Header=BB6_126 Depth=2
	v_cmp_ne_u16_sdwa vcc, v10, s53 src0_sel:BYTE_0 src1_sel:DWORD
	v_bfrev_b32_e32 v3, 1
	s_and_saveexec_b64 s[94:95], vcc
	s_cbranch_execz .LBB6_2690
; %bb.2687:                             ;   in Loop: Header=BB6_126 Depth=2
	v_bfe_u32 v14, v12, 16, 7
	v_cmp_ne_u32_e32 vcc, s54, v14
	v_mov_b32_e32 v3, 0x7f800001
	s_and_saveexec_b64 s[30:31], vcc
	s_cbranch_execz .LBB6_2689
; %bb.2688:                             ;   in Loop: Header=BB6_126 Depth=2
	v_and_b32_e32 v3, 7, v10
	v_lshrrev_b32_e32 v18, 3, v14
	v_cmp_gt_u32_e32 vcc, 8, v14
	v_ffbh_u32_e32 v14, v3
	v_min_u32_e32 v19, 32, v14
	v_subrev_u32_e32 v14, 28, v19
	v_lshlrev_b64 v[14:15], v14, v[10:11]
	v_sub_u32_e32 v15, 29, v19
	v_and_b32_e32 v14, 7, v14
	v_cndmask_b32_e32 v15, v18, v15, vcc
	v_cndmask_b32_e32 v3, v3, v14, vcc
	v_lshlrev_b32_e32 v14, 24, v10
	v_lshlrev_b32_e32 v3, 20, v3
	v_and_b32_e32 v14, 0x80000000, v14
	v_lshl_add_u32 v15, v15, 23, v62
	v_or3_b32 v3, v14, v15, v3
.LBB6_2689:                             ;   in Loop: Header=BB6_126 Depth=2
	s_or_b64 exec, exec, s[30:31]
.LBB6_2690:                             ;   in Loop: Header=BB6_126 Depth=2
	s_or_b64 exec, exec, s[94:95]
.LBB6_2691:                             ;   in Loop: Header=BB6_126 Depth=2
	s_or_b64 exec, exec, s[92:93]
	v_max_f32_e32 v3, v3, v3
	v_max_f32_e32 v2, v2, v2
	;; [unrolled: 1-line block ×3, first 2 shown]
	s_mov_b64 s[92:93], 0
.LBB6_2692:                             ;   in Loop: Header=BB6_126 Depth=2
	s_and_b64 vcc, exec, s[92:93]
	s_cbranch_vccz .LBB6_2706
; %bb.2693:                             ;   in Loop: Header=BB6_126 Depth=2
	v_mov_b32_e32 v3, 0
	v_mov_b32_e32 v2, 0
	s_and_saveexec_b64 s[92:93], s[22:23]
	s_cbranch_execz .LBB6_2699
; %bb.2694:                             ;   in Loop: Header=BB6_126 Depth=2
	v_cmp_ne_u16_sdwa s[94:95], v11, s53 src0_sel:BYTE_0 src1_sel:DWORD
	v_bfrev_b32_e32 v2, 1
	s_and_saveexec_b64 s[22:23], s[94:95]
	s_cbranch_execz .LBB6_2698
; %bb.2695:                             ;   in Loop: Header=BB6_126 Depth=2
	v_bfe_u32 v14, v16, 16, 7
	v_cmp_ne_u32_e32 vcc, s54, v14
	v_mov_b32_e32 v2, 0x7f800001
	s_and_saveexec_b64 s[94:95], vcc
	s_cbranch_execz .LBB6_2697
; %bb.2696:                             ;   in Loop: Header=BB6_126 Depth=2
	v_and_b32_e32 v2, 7, v11
	v_lshrrev_b32_e32 v18, 3, v14
	v_cmp_gt_u32_e32 vcc, 8, v14
	v_ffbh_u32_e32 v14, v2
	v_min_u32_e32 v19, 32, v14
	v_subrev_u32_e32 v14, 28, v19
	v_lshlrev_b64 v[14:15], v14, v[11:12]
	v_sub_u32_e32 v15, 29, v19
	v_and_b32_e32 v14, 7, v14
	v_cndmask_b32_e32 v15, v18, v15, vcc
	v_cndmask_b32_e32 v2, v2, v14, vcc
	v_lshlrev_b32_e32 v11, 24, v11
	v_lshlrev_b32_e32 v2, 20, v2
	v_and_b32_e32 v11, 0x80000000, v11
	v_lshl_add_u32 v14, v15, 23, v62
	v_or3_b32 v2, v11, v14, v2
.LBB6_2697:                             ;   in Loop: Header=BB6_126 Depth=2
	s_or_b64 exec, exec, s[94:95]
.LBB6_2698:                             ;   in Loop: Header=BB6_126 Depth=2
	s_or_b64 exec, exec, s[22:23]
.LBB6_2699:                             ;   in Loop: Header=BB6_126 Depth=2
	s_or_b64 exec, exec, s[92:93]
	v_cmp_ne_u16_sdwa s[92:93], v10, v61 src0_sel:BYTE_0 src1_sel:DWORD
	s_and_saveexec_b64 s[22:23], s[92:93]
	s_cbranch_execz .LBB6_2705
; %bb.2700:                             ;   in Loop: Header=BB6_126 Depth=2
	v_cmp_ne_u16_sdwa s[94:95], v10, s53 src0_sel:BYTE_0 src1_sel:DWORD
	v_bfrev_b32_e32 v3, 1
	s_and_saveexec_b64 s[92:93], s[94:95]
	s_cbranch_execz .LBB6_2704
; %bb.2701:                             ;   in Loop: Header=BB6_126 Depth=2
	v_bfe_u32 v11, v12, 16, 7
	v_cmp_ne_u32_e32 vcc, s54, v11
	v_mov_b32_e32 v3, 0x7f800001
	s_and_saveexec_b64 s[94:95], vcc
	s_cbranch_execz .LBB6_2703
; %bb.2702:                             ;   in Loop: Header=BB6_126 Depth=2
	v_and_b32_e32 v3, 7, v10
	v_lshrrev_b32_e32 v18, 3, v11
	v_cmp_gt_u32_e32 vcc, 8, v11
	v_ffbh_u32_e32 v11, v3
	v_min_u32_e32 v11, 32, v11
	v_subrev_u32_e32 v14, 28, v11
	v_lshlrev_b64 v[14:15], v14, v[10:11]
	v_sub_u32_e32 v11, 29, v11
	v_and_b32_e32 v14, 7, v14
	v_cndmask_b32_e32 v11, v18, v11, vcc
	v_cndmask_b32_e32 v3, v3, v14, vcc
	v_lshlrev_b32_e32 v10, 24, v10
	v_lshlrev_b32_e32 v3, 20, v3
	v_and_b32_e32 v10, 0x80000000, v10
	v_lshl_add_u32 v11, v11, 23, v62
	v_or3_b32 v3, v10, v11, v3
.LBB6_2703:                             ;   in Loop: Header=BB6_126 Depth=2
	s_or_b64 exec, exec, s[94:95]
.LBB6_2704:                             ;   in Loop: Header=BB6_126 Depth=2
	s_or_b64 exec, exec, s[92:93]
.LBB6_2705:                             ;   in Loop: Header=BB6_126 Depth=2
	s_or_b64 exec, exec, s[22:23]
	v_max_f32_e32 v3, v3, v3
	v_max_f32_e32 v2, v2, v2
	v_min_f32_e32 v3, v2, v3
.LBB6_2706:                             ;   in Loop: Header=BB6_126 Depth=2
	v_and_b32_e32 v60, 0x7f800000, v3
	v_cmp_ne_u64_e32 vcc, s[72:73], v[60:61]
                                        ; implicit-def: $vgpr55
	s_and_saveexec_b64 s[22:23], vcc
	s_xor_b64 s[92:93], exec, s[22:23]
	s_cbranch_execz .LBB6_2720
; %bb.2707:                             ;   in Loop: Header=BB6_126 Depth=2
	v_and_b32_e32 v60, 0x7fffffff, v3
	v_cmp_gt_u64_e32 vcc, s[74:75], v[60:61]
	v_and_b32_sdwa v2, v3, s53 dst_sel:DWORD dst_unused:UNUSED_PAD src0_sel:BYTE_3 src1_sel:DWORD
                                        ; implicit-def: $vgpr55
	s_and_saveexec_b64 s[22:23], vcc
	s_xor_b64 s[94:95], exec, s[22:23]
	s_cbranch_execz .LBB6_2717
; %bb.2708:                             ;   in Loop: Header=BB6_126 Depth=2
	v_mov_b32_e32 v55, 0
	v_cmp_ne_u32_e32 vcc, 0, v3
	s_and_saveexec_b64 s[30:31], vcc
	s_cbranch_execz .LBB6_2716
; %bb.2709:                             ;   in Loop: Header=BB6_126 Depth=2
	v_and_b32_e32 v10, 0x7fffff, v3
	v_bfe_u32 v3, v3, 23, 8
	v_cmp_gt_u32_e64 s[22:23], s64, v3
	v_sub_u32_e32 v11, 0x79, v3
	v_cmp_eq_u32_e32 vcc, 0, v3
	v_cndmask_b32_e64 v11, 0, v11, s[22:23]
	v_mov_b32_e32 v15, 0x78
	v_or_b32_e32 v14, 0x800000, v10
	v_cndmask_b32_e32 v18, v11, v15, vcc
	v_cndmask_b32_e32 v60, v14, v10, vcc
	v_add_u32_e32 v10, 20, v18
	v_lshlrev_b64 v[10:11], v10, -1
	v_add_u32_e32 v14, 19, v18
	v_lshlrev_b64 v[14:15], v14, 1
	v_bfi_b32 v11, v11, 0, 0
	v_bfi_b32 v10, v10, 0, v60
	v_cmp_eq_u64_e64 s[22:23], v[10:11], v[14:15]
	v_lshrrev_b64 v[10:11], v18, v[60:61]
	v_mov_b32_e32 v15, v11
	v_mov_b32_e32 v14, v10
	s_and_saveexec_b64 s[34:35], s[22:23]
; %bb.2710:                             ;   in Loop: Header=BB6_126 Depth=2
	v_bfe_u32 v11, v10, 20, 1
	v_add_co_u32_e64 v11, s[22:23], v10, v11
	v_add_co_u32_e64 v14, s[22:23], -1, v11
; %bb.2711:                             ;   in Loop: Header=BB6_126 Depth=2
	s_or_b64 exec, exec, s[34:35]
	v_add_u32_e32 v3, 0xffffff81, v3
	v_cndmask_b32_e32 v3, v3, v41, vcc
	v_lshrrev_b32_e32 v11, 23, v10
	v_add3_u32 v18, v18, v3, v11
	v_add_u32_e32 v15, 6, v18
	v_and_b32_e32 v3, 0xfffff, v14
	v_add_u32_e32 v60, v3, v10
	v_cmp_ne_u32_e32 vcc, 0, v15
                                        ; implicit-def: $vgpr10_vgpr11
                                        ; implicit-def: $vgpr3
	s_and_saveexec_b64 s[22:23], vcc
	s_xor_b64 s[22:23], exec, s[22:23]
; %bb.2712:                             ;   in Loop: Header=BB6_126 Depth=2
	v_cmp_lt_u64_e32 vcc, s[76:77], v[60:61]
	v_add_u32_e32 v3, 7, v18
	v_cndmask_b32_e64 v10, 0, 1, vcc
	v_lshrrev_b64 v[10:11], v10, v[60:61]
	v_cndmask_b32_e32 v3, v15, v3, vcc
; %bb.2713:                             ;   in Loop: Header=BB6_126 Depth=2
	s_andn2_saveexec_b64 s[22:23], s[22:23]
; %bb.2714:                             ;   in Loop: Header=BB6_126 Depth=2
	v_mov_b32_e32 v10, v60
	v_bfe_u32 v3, v60, 23, 1
	v_mov_b32_e32 v11, v61
; %bb.2715:                             ;   in Loop: Header=BB6_126 Depth=2
	s_or_b64 exec, exec, s[22:23]
	v_lshrrev_b64 v[10:11], 20, v[10:11]
	v_cmp_gt_i32_e32 vcc, 16, v3
	v_cndmask_b32_e32 v11, 0, v11, vcc
	v_cndmask_b32_e32 v10, 7, v10, vcc
	v_cmp_eq_u32_e32 vcc, 0, v3
	v_min_i32_e32 v3, 15, v3
	v_cmp_eq_u64_e64 s[22:23], 0, v[10:11]
	v_lshlrev_b32_e32 v3, 3, v3
	v_and_b32_e32 v3, 0xf8, v3
	v_and_or_b32 v3, v10, 7, v3
	s_and_b64 s[22:23], vcc, s[22:23]
	v_cndmask_b32_e64 v3, v3, 0, s[22:23]
	v_or_b32_e32 v55, v3, v2
.LBB6_2716:                             ;   in Loop: Header=BB6_126 Depth=2
	s_or_b64 exec, exec, s[30:31]
                                        ; implicit-def: $vgpr2
.LBB6_2717:                             ;   in Loop: Header=BB6_126 Depth=2
	s_andn2_saveexec_b64 s[22:23], s[94:95]
; %bb.2718:                             ;   in Loop: Header=BB6_126 Depth=2
	v_or_b32_e32 v55, 0x7e, v2
; %bb.2719:                             ;   in Loop: Header=BB6_126 Depth=2
	s_or_b64 exec, exec, s[22:23]
                                        ; implicit-def: $vgpr3
.LBB6_2720:                             ;   in Loop: Header=BB6_126 Depth=2
	s_andn2_saveexec_b64 s[22:23], s[92:93]
; %bb.2721:                             ;   in Loop: Header=BB6_126 Depth=2
	v_or_b32_sdwa v55, v3, s54 dst_sel:DWORD dst_unused:UNUSED_PAD src0_sel:BYTE_3 src1_sel:DWORD
; %bb.2722:                             ;   in Loop: Header=BB6_126 Depth=2
	s_or_b64 exec, exec, s[22:23]
	v_lshrrev_b32_e32 v11, 24, v16
	v_lshrrev_b32_e32 v10, 24, v12
	v_cmp_lt_u32_e64 s[22:23], s79, v16
	s_and_b64 vcc, exec, s[20:21]
	s_mov_b64 s[92:93], -1
                                        ; implicit-def: $vgpr14
	s_cbranch_vccnz .LBB6_2736
; %bb.2723:                             ;   in Loop: Header=BB6_126 Depth=2
	v_mov_b32_e32 v3, 0
	v_mov_b32_e32 v2, 0
	s_and_saveexec_b64 s[92:93], s[22:23]
	s_cbranch_execz .LBB6_2729
; %bb.2724:                             ;   in Loop: Header=BB6_126 Depth=2
	v_cmp_ne_u32_e32 vcc, s53, v11
	v_bfrev_b32_e32 v2, 1
	s_and_saveexec_b64 s[94:95], vcc
	s_cbranch_execz .LBB6_2728
; %bb.2725:                             ;   in Loop: Header=BB6_126 Depth=2
	v_bfe_u32 v14, v16, 24, 7
	v_cmp_ne_u32_e32 vcc, s54, v14
	v_mov_b32_e32 v2, 0x7f800001
	s_and_saveexec_b64 s[30:31], vcc
	s_cbranch_execz .LBB6_2727
; %bb.2726:                             ;   in Loop: Header=BB6_126 Depth=2
	v_and_b32_e32 v2, 7, v11
	v_lshrrev_b32_e32 v18, 3, v14
	v_cmp_gt_u32_e32 vcc, 8, v14
	v_ffbh_u32_e32 v14, v2
	v_min_u32_e32 v19, 32, v14
	v_subrev_u32_e32 v14, 28, v19
	v_lshlrev_b64 v[14:15], v14, v[11:12]
	v_sub_u32_e32 v15, 29, v19
	v_and_b32_e32 v14, 7, v14
	v_cndmask_b32_e32 v15, v18, v15, vcc
	v_cndmask_b32_e32 v2, v2, v14, vcc
	v_lshlrev_b32_e32 v14, 24, v11
	v_lshlrev_b32_e32 v2, 20, v2
	v_and_b32_e32 v14, 0x80000000, v14
	v_lshl_add_u32 v15, v15, 23, v62
	v_or3_b32 v2, v14, v15, v2
.LBB6_2727:                             ;   in Loop: Header=BB6_126 Depth=2
	s_or_b64 exec, exec, s[30:31]
.LBB6_2728:                             ;   in Loop: Header=BB6_126 Depth=2
	s_or_b64 exec, exec, s[94:95]
.LBB6_2729:                             ;   in Loop: Header=BB6_126 Depth=2
	s_or_b64 exec, exec, s[92:93]
	v_cmp_lt_u32_e32 vcc, s79, v12
	s_and_saveexec_b64 s[92:93], vcc
	s_cbranch_execz .LBB6_2735
; %bb.2730:                             ;   in Loop: Header=BB6_126 Depth=2
	v_cmp_ne_u32_e32 vcc, s53, v10
	v_bfrev_b32_e32 v3, 1
	s_and_saveexec_b64 s[94:95], vcc
	s_cbranch_execz .LBB6_2734
; %bb.2731:                             ;   in Loop: Header=BB6_126 Depth=2
	v_bfe_u32 v14, v12, 24, 7
	v_cmp_ne_u32_e32 vcc, s54, v14
	v_mov_b32_e32 v3, 0x7f800001
	s_and_saveexec_b64 s[30:31], vcc
	s_cbranch_execz .LBB6_2733
; %bb.2732:                             ;   in Loop: Header=BB6_126 Depth=2
	v_and_b32_e32 v3, 7, v10
	v_lshrrev_b32_e32 v18, 3, v14
	v_cmp_gt_u32_e32 vcc, 8, v14
	v_ffbh_u32_e32 v14, v3
	v_min_u32_e32 v19, 32, v14
	v_subrev_u32_e32 v14, 28, v19
	v_lshlrev_b64 v[14:15], v14, v[10:11]
	v_sub_u32_e32 v15, 29, v19
	v_and_b32_e32 v14, 7, v14
	v_cndmask_b32_e32 v15, v18, v15, vcc
	v_cndmask_b32_e32 v3, v3, v14, vcc
	v_lshlrev_b32_e32 v14, 24, v10
	v_lshlrev_b32_e32 v3, 20, v3
	v_and_b32_e32 v14, 0x80000000, v14
	v_lshl_add_u32 v15, v15, 23, v62
	v_or3_b32 v3, v14, v15, v3
.LBB6_2733:                             ;   in Loop: Header=BB6_126 Depth=2
	s_or_b64 exec, exec, s[30:31]
.LBB6_2734:                             ;   in Loop: Header=BB6_126 Depth=2
	s_or_b64 exec, exec, s[94:95]
.LBB6_2735:                             ;   in Loop: Header=BB6_126 Depth=2
	s_or_b64 exec, exec, s[92:93]
	v_max_f32_e32 v3, v3, v3
	v_max_f32_e32 v2, v2, v2
	;; [unrolled: 1-line block ×3, first 2 shown]
	s_mov_b64 s[92:93], 0
.LBB6_2736:                             ;   in Loop: Header=BB6_126 Depth=2
	s_and_b64 vcc, exec, s[92:93]
	s_cbranch_vccz .LBB6_2750
; %bb.2737:                             ;   in Loop: Header=BB6_126 Depth=2
	v_mov_b32_e32 v3, 0
	v_mov_b32_e32 v2, 0
	s_and_saveexec_b64 s[92:93], s[22:23]
	s_cbranch_execz .LBB6_2743
; %bb.2738:                             ;   in Loop: Header=BB6_126 Depth=2
	v_cmp_ne_u32_e32 vcc, s53, v11
	v_bfrev_b32_e32 v2, 1
	s_and_saveexec_b64 s[22:23], vcc
	s_cbranch_execz .LBB6_2742
; %bb.2739:                             ;   in Loop: Header=BB6_126 Depth=2
	v_bfe_u32 v14, v16, 24, 7
	v_cmp_ne_u32_e32 vcc, s54, v14
	v_mov_b32_e32 v2, 0x7f800001
	s_and_saveexec_b64 s[94:95], vcc
	s_cbranch_execz .LBB6_2741
; %bb.2740:                             ;   in Loop: Header=BB6_126 Depth=2
	v_and_b32_e32 v2, 7, v11
	v_lshrrev_b32_e32 v18, 3, v14
	v_cmp_gt_u32_e32 vcc, 8, v14
	v_ffbh_u32_e32 v14, v2
	v_min_u32_e32 v19, 32, v14
	v_subrev_u32_e32 v14, 28, v19
	v_lshlrev_b64 v[14:15], v14, v[11:12]
	v_sub_u32_e32 v15, 29, v19
	v_and_b32_e32 v14, 7, v14
	v_cndmask_b32_e32 v15, v18, v15, vcc
	v_cndmask_b32_e32 v2, v2, v14, vcc
	v_lshlrev_b32_e32 v11, 24, v11
	v_lshlrev_b32_e32 v2, 20, v2
	v_and_b32_e32 v11, 0x80000000, v11
	v_lshl_add_u32 v14, v15, 23, v62
	v_or3_b32 v2, v11, v14, v2
.LBB6_2741:                             ;   in Loop: Header=BB6_126 Depth=2
	s_or_b64 exec, exec, s[94:95]
.LBB6_2742:                             ;   in Loop: Header=BB6_126 Depth=2
	s_or_b64 exec, exec, s[22:23]
.LBB6_2743:                             ;   in Loop: Header=BB6_126 Depth=2
	s_or_b64 exec, exec, s[92:93]
	v_cmp_lt_u32_e32 vcc, s79, v12
	s_and_saveexec_b64 s[22:23], vcc
	s_cbranch_execz .LBB6_2749
; %bb.2744:                             ;   in Loop: Header=BB6_126 Depth=2
	v_cmp_ne_u32_e32 vcc, s53, v10
	v_bfrev_b32_e32 v3, 1
	s_and_saveexec_b64 s[92:93], vcc
	s_cbranch_execz .LBB6_2748
; %bb.2745:                             ;   in Loop: Header=BB6_126 Depth=2
	v_bfe_u32 v11, v12, 24, 7
	v_cmp_ne_u32_e32 vcc, s54, v11
	v_mov_b32_e32 v3, 0x7f800001
	s_and_saveexec_b64 s[94:95], vcc
	s_cbranch_execz .LBB6_2747
; %bb.2746:                             ;   in Loop: Header=BB6_126 Depth=2
	v_and_b32_e32 v3, 7, v10
	v_lshrrev_b32_e32 v18, 3, v11
	v_cmp_gt_u32_e32 vcc, 8, v11
	v_ffbh_u32_e32 v11, v3
	v_min_u32_e32 v11, 32, v11
	v_subrev_u32_e32 v14, 28, v11
	v_lshlrev_b64 v[14:15], v14, v[10:11]
	v_sub_u32_e32 v11, 29, v11
	v_and_b32_e32 v14, 7, v14
	v_cndmask_b32_e32 v11, v18, v11, vcc
	v_cndmask_b32_e32 v3, v3, v14, vcc
	v_lshlrev_b32_e32 v10, 24, v10
	v_lshlrev_b32_e32 v3, 20, v3
	v_and_b32_e32 v10, 0x80000000, v10
	v_lshl_add_u32 v11, v11, 23, v62
	v_or3_b32 v3, v10, v11, v3
.LBB6_2747:                             ;   in Loop: Header=BB6_126 Depth=2
	s_or_b64 exec, exec, s[94:95]
.LBB6_2748:                             ;   in Loop: Header=BB6_126 Depth=2
	s_or_b64 exec, exec, s[92:93]
.LBB6_2749:                             ;   in Loop: Header=BB6_126 Depth=2
	s_or_b64 exec, exec, s[22:23]
	v_max_f32_e32 v3, v3, v3
	v_max_f32_e32 v2, v2, v2
	v_min_f32_e32 v14, v2, v3
.LBB6_2750:                             ;   in Loop: Header=BB6_126 Depth=2
	v_and_b32_e32 v60, 0x7f800000, v14
	v_cmp_ne_u64_e32 vcc, s[72:73], v[60:61]
                                        ; implicit-def: $vgpr2
	s_and_saveexec_b64 s[22:23], vcc
	s_xor_b64 s[92:93], exec, s[22:23]
	s_cbranch_execz .LBB6_2764
; %bb.2751:                             ;   in Loop: Header=BB6_126 Depth=2
	v_and_b32_e32 v60, 0x7fffffff, v14
	v_cmp_gt_u64_e32 vcc, s[74:75], v[60:61]
	v_and_b32_sdwa v3, v14, s53 dst_sel:DWORD dst_unused:UNUSED_PAD src0_sel:BYTE_3 src1_sel:DWORD
                                        ; implicit-def: $vgpr2
	s_and_saveexec_b64 s[22:23], vcc
	s_xor_b64 s[94:95], exec, s[22:23]
	s_cbranch_execz .LBB6_2761
; %bb.2752:                             ;   in Loop: Header=BB6_126 Depth=2
	v_mov_b32_e32 v2, 0
	v_cmp_ne_u32_e32 vcc, 0, v14
	s_and_saveexec_b64 s[30:31], vcc
	s_cbranch_execz .LBB6_2760
; %bb.2753:                             ;   in Loop: Header=BB6_126 Depth=2
	v_bfe_u32 v2, v14, 23, 8
	v_cmp_gt_u32_e64 s[22:23], s64, v2
	v_sub_u32_e32 v11, 0x79, v2
	v_and_b32_e32 v10, 0x7fffff, v14
	v_cmp_eq_u32_e32 vcc, 0, v2
	v_cndmask_b32_e64 v11, 0, v11, s[22:23]
	v_mov_b32_e32 v15, 0x78
	v_or_b32_e32 v14, 0x800000, v10
	v_cndmask_b32_e32 v18, v11, v15, vcc
	v_cndmask_b32_e32 v60, v14, v10, vcc
	v_add_u32_e32 v10, 20, v18
	v_lshlrev_b64 v[10:11], v10, -1
	v_add_u32_e32 v14, 19, v18
	v_lshlrev_b64 v[14:15], v14, 1
	v_bfi_b32 v11, v11, 0, 0
	v_bfi_b32 v10, v10, 0, v60
	v_cmp_eq_u64_e64 s[22:23], v[10:11], v[14:15]
	v_lshrrev_b64 v[10:11], v18, v[60:61]
	v_mov_b32_e32 v15, v11
	v_mov_b32_e32 v14, v10
	s_and_saveexec_b64 s[34:35], s[22:23]
; %bb.2754:                             ;   in Loop: Header=BB6_126 Depth=2
	v_bfe_u32 v11, v10, 20, 1
	v_add_co_u32_e64 v11, s[22:23], v10, v11
	v_add_co_u32_e64 v14, s[22:23], -1, v11
; %bb.2755:                             ;   in Loop: Header=BB6_126 Depth=2
	s_or_b64 exec, exec, s[34:35]
	v_add_u32_e32 v2, 0xffffff81, v2
	v_cndmask_b32_e32 v2, v2, v41, vcc
	v_lshrrev_b32_e32 v11, 23, v10
	v_add3_u32 v18, v18, v2, v11
	v_add_u32_e32 v15, 6, v18
	v_and_b32_e32 v2, 0xfffff, v14
	v_add_u32_e32 v60, v2, v10
	v_cmp_ne_u32_e32 vcc, 0, v15
                                        ; implicit-def: $vgpr10_vgpr11
                                        ; implicit-def: $vgpr2
	s_and_saveexec_b64 s[22:23], vcc
	s_xor_b64 s[22:23], exec, s[22:23]
; %bb.2756:                             ;   in Loop: Header=BB6_126 Depth=2
	v_cmp_lt_u64_e32 vcc, s[76:77], v[60:61]
	v_add_u32_e32 v2, 7, v18
	v_cndmask_b32_e64 v10, 0, 1, vcc
	v_lshrrev_b64 v[10:11], v10, v[60:61]
	v_cndmask_b32_e32 v2, v15, v2, vcc
; %bb.2757:                             ;   in Loop: Header=BB6_126 Depth=2
	s_andn2_saveexec_b64 s[22:23], s[22:23]
; %bb.2758:                             ;   in Loop: Header=BB6_126 Depth=2
	v_mov_b32_e32 v10, v60
	v_bfe_u32 v2, v60, 23, 1
	v_mov_b32_e32 v11, v61
; %bb.2759:                             ;   in Loop: Header=BB6_126 Depth=2
	s_or_b64 exec, exec, s[22:23]
	v_lshrrev_b64 v[10:11], 20, v[10:11]
	v_cmp_gt_i32_e32 vcc, 16, v2
	v_cndmask_b32_e32 v11, 0, v11, vcc
	v_cndmask_b32_e32 v10, 7, v10, vcc
	v_cmp_eq_u32_e32 vcc, 0, v2
	v_min_i32_e32 v2, 15, v2
	v_cmp_eq_u64_e64 s[22:23], 0, v[10:11]
	v_lshlrev_b32_e32 v2, 3, v2
	v_and_b32_e32 v2, 0xf8, v2
	v_and_or_b32 v2, v10, 7, v2
	s_and_b64 s[22:23], vcc, s[22:23]
	v_cndmask_b32_e64 v2, v2, 0, s[22:23]
	v_or_b32_e32 v2, v2, v3
.LBB6_2760:                             ;   in Loop: Header=BB6_126 Depth=2
	s_or_b64 exec, exec, s[30:31]
                                        ; implicit-def: $vgpr3
.LBB6_2761:                             ;   in Loop: Header=BB6_126 Depth=2
	s_andn2_saveexec_b64 s[22:23], s[94:95]
; %bb.2762:                             ;   in Loop: Header=BB6_126 Depth=2
	v_or_b32_e32 v2, 0x7e, v3
; %bb.2763:                             ;   in Loop: Header=BB6_126 Depth=2
	s_or_b64 exec, exec, s[22:23]
                                        ; implicit-def: $vgpr14
.LBB6_2764:                             ;   in Loop: Header=BB6_126 Depth=2
	s_andn2_saveexec_b64 s[22:23], s[92:93]
; %bb.2765:                             ;   in Loop: Header=BB6_126 Depth=2
	v_or_b32_sdwa v2, v14, s54 dst_sel:DWORD dst_unused:UNUSED_PAD src0_sel:BYTE_3 src1_sel:DWORD
; %bb.2766:                             ;   in Loop: Header=BB6_126 Depth=2
	s_or_b64 exec, exec, s[22:23]
	v_mov_b32_e32 v60, v17
	v_mov_b32_e32 v10, v13
	;; [unrolled: 1-line block ×3, first 2 shown]
	v_cmp_ne_u16_sdwa s[22:23], v17, v61 src0_sel:BYTE_0 src1_sel:DWORD
	s_and_b64 vcc, exec, s[20:21]
	s_mov_b64 s[92:93], -1
                                        ; implicit-def: $vgpr14
	s_cbranch_vccnz .LBB6_2780
; %bb.2767:                             ;   in Loop: Header=BB6_126 Depth=2
	v_mov_b32_e32 v14, 0
	v_mov_b32_e32 v3, 0
	s_and_saveexec_b64 s[92:93], s[22:23]
	s_cbranch_execz .LBB6_2773
; %bb.2768:                             ;   in Loop: Header=BB6_126 Depth=2
	v_cmp_ne_u16_sdwa vcc, v17, s53 src0_sel:BYTE_0 src1_sel:DWORD
	v_bfrev_b32_e32 v3, 1
	s_and_saveexec_b64 s[94:95], vcc
	s_cbranch_execz .LBB6_2772
; %bb.2769:                             ;   in Loop: Header=BB6_126 Depth=2
	v_and_b32_e32 v15, 0x7f, v17
	v_cmp_ne_u32_e32 vcc, s54, v15
	v_mov_b32_e32 v3, 0x7f800001
	s_and_saveexec_b64 s[30:31], vcc
	s_cbranch_execz .LBB6_2771
; %bb.2770:                             ;   in Loop: Header=BB6_126 Depth=2
	v_and_b32_e32 v3, 7, v17
	v_ffbh_u32_e32 v3, v3
	v_min_u32_e32 v3, 32, v3
	v_lshrrev_b32_e32 v18, 3, v15
	v_cmp_gt_u32_e32 vcc, 8, v15
	v_subrev_u32_e32 v15, 28, v3
	v_sub_u32_e32 v3, 29, v3
	v_cndmask_b32_e32 v15, 0, v15, vcc
	v_cndmask_b32_e32 v3, v18, v3, vcc
	v_lshlrev_b64 v[18:19], v15, v[60:61]
	v_lshl_add_u32 v3, v3, 23, v62
	v_lshlrev_b32_e32 v15, 20, v18
	v_lshlrev_b32_e32 v18, 24, v60
	v_and_b32_e32 v15, 0x700000, v15
	v_and_b32_e32 v18, 0x80000000, v18
	v_or3_b32 v3, v18, v3, v15
.LBB6_2771:                             ;   in Loop: Header=BB6_126 Depth=2
	s_or_b64 exec, exec, s[30:31]
.LBB6_2772:                             ;   in Loop: Header=BB6_126 Depth=2
	s_or_b64 exec, exec, s[94:95]
.LBB6_2773:                             ;   in Loop: Header=BB6_126 Depth=2
	s_or_b64 exec, exec, s[92:93]
	v_cmp_ne_u16_sdwa s[94:95], v13, v61 src0_sel:BYTE_0 src1_sel:DWORD
	s_and_saveexec_b64 s[92:93], s[94:95]
	s_cbranch_execz .LBB6_2779
; %bb.2774:                             ;   in Loop: Header=BB6_126 Depth=2
	v_cmp_ne_u16_sdwa vcc, v13, s53 src0_sel:BYTE_0 src1_sel:DWORD
	v_bfrev_b32_e32 v14, 1
	s_and_saveexec_b64 s[94:95], vcc
	s_cbranch_execz .LBB6_2778
; %bb.2775:                             ;   in Loop: Header=BB6_126 Depth=2
	v_and_b32_e32 v15, 0x7f, v13
	v_cmp_ne_u32_e32 vcc, s54, v15
	v_mov_b32_e32 v14, 0x7f800001
	s_and_saveexec_b64 s[30:31], vcc
	s_cbranch_execz .LBB6_2777
; %bb.2776:                             ;   in Loop: Header=BB6_126 Depth=2
	v_and_b32_e32 v14, 7, v13
	v_ffbh_u32_e32 v14, v14
	v_min_u32_e32 v14, 32, v14
	v_lshrrev_b32_e32 v18, 3, v15
	v_cmp_gt_u32_e32 vcc, 8, v15
	v_subrev_u32_e32 v15, 28, v14
	v_sub_u32_e32 v14, 29, v14
	v_cndmask_b32_e32 v18, v18, v14, vcc
	v_cndmask_b32_e32 v14, 0, v15, vcc
	v_lshlrev_b64 v[14:15], v14, v[10:11]
	v_lshlrev_b32_e32 v15, 24, v10
	v_lshlrev_b32_e32 v14, 20, v14
	v_and_b32_e32 v14, 0x700000, v14
	v_and_b32_e32 v15, 0x80000000, v15
	v_lshl_add_u32 v18, v18, 23, v62
	v_or3_b32 v14, v15, v18, v14
.LBB6_2777:                             ;   in Loop: Header=BB6_126 Depth=2
	s_or_b64 exec, exec, s[30:31]
.LBB6_2778:                             ;   in Loop: Header=BB6_126 Depth=2
	s_or_b64 exec, exec, s[94:95]
.LBB6_2779:                             ;   in Loop: Header=BB6_126 Depth=2
	s_or_b64 exec, exec, s[92:93]
	v_max_f32_e32 v14, v14, v14
	v_max_f32_e32 v3, v3, v3
	;; [unrolled: 1-line block ×3, first 2 shown]
	s_mov_b64 s[92:93], 0
.LBB6_2780:                             ;   in Loop: Header=BB6_126 Depth=2
	s_and_b64 vcc, exec, s[92:93]
	s_cbranch_vccz .LBB6_2794
; %bb.2781:                             ;   in Loop: Header=BB6_126 Depth=2
	v_mov_b32_e32 v14, 0
	v_mov_b32_e32 v3, 0
	s_and_saveexec_b64 s[92:93], s[22:23]
	s_cbranch_execz .LBB6_2787
; %bb.2782:                             ;   in Loop: Header=BB6_126 Depth=2
	v_cmp_ne_u16_sdwa s[94:95], v17, s53 src0_sel:BYTE_0 src1_sel:DWORD
	v_bfrev_b32_e32 v3, 1
	s_and_saveexec_b64 s[22:23], s[94:95]
	s_cbranch_execz .LBB6_2786
; %bb.2783:                             ;   in Loop: Header=BB6_126 Depth=2
	v_and_b32_e32 v15, 0x7f, v17
	v_cmp_ne_u32_e32 vcc, s54, v15
	v_mov_b32_e32 v3, 0x7f800001
	s_and_saveexec_b64 s[94:95], vcc
	s_cbranch_execz .LBB6_2785
; %bb.2784:                             ;   in Loop: Header=BB6_126 Depth=2
	v_and_b32_e32 v3, 7, v17
	v_ffbh_u32_e32 v3, v3
	v_min_u32_e32 v3, 32, v3
	v_lshrrev_b32_e32 v18, 3, v15
	v_cmp_gt_u32_e32 vcc, 8, v15
	v_subrev_u32_e32 v15, 28, v3
	v_sub_u32_e32 v3, 29, v3
	v_cndmask_b32_e32 v15, 0, v15, vcc
	v_cndmask_b32_e32 v3, v18, v3, vcc
	v_lshlrev_b64 v[18:19], v15, v[60:61]
	v_lshl_add_u32 v3, v3, 23, v62
	v_lshlrev_b32_e32 v15, 20, v18
	v_lshlrev_b32_e32 v18, 24, v60
	v_and_b32_e32 v15, 0x700000, v15
	v_and_b32_e32 v18, 0x80000000, v18
	v_or3_b32 v3, v18, v3, v15
.LBB6_2785:                             ;   in Loop: Header=BB6_126 Depth=2
	s_or_b64 exec, exec, s[94:95]
.LBB6_2786:                             ;   in Loop: Header=BB6_126 Depth=2
	s_or_b64 exec, exec, s[22:23]
.LBB6_2787:                             ;   in Loop: Header=BB6_126 Depth=2
	s_or_b64 exec, exec, s[92:93]
	v_cmp_ne_u16_sdwa s[92:93], v13, v61 src0_sel:BYTE_0 src1_sel:DWORD
	s_and_saveexec_b64 s[22:23], s[92:93]
	s_cbranch_execz .LBB6_2793
; %bb.2788:                             ;   in Loop: Header=BB6_126 Depth=2
	v_cmp_ne_u16_sdwa s[94:95], v13, s53 src0_sel:BYTE_0 src1_sel:DWORD
	v_bfrev_b32_e32 v14, 1
	s_and_saveexec_b64 s[92:93], s[94:95]
	s_cbranch_execz .LBB6_2792
; %bb.2789:                             ;   in Loop: Header=BB6_126 Depth=2
	v_and_b32_e32 v15, 0x7f, v13
	v_cmp_ne_u32_e32 vcc, s54, v15
	v_mov_b32_e32 v14, 0x7f800001
	s_and_saveexec_b64 s[94:95], vcc
	s_cbranch_execz .LBB6_2791
; %bb.2790:                             ;   in Loop: Header=BB6_126 Depth=2
	v_and_b32_e32 v14, 7, v13
	v_ffbh_u32_e32 v14, v14
	v_min_u32_e32 v14, 32, v14
	v_lshrrev_b32_e32 v18, 3, v15
	v_cmp_gt_u32_e32 vcc, 8, v15
	v_subrev_u32_e32 v15, 28, v14
	v_sub_u32_e32 v14, 29, v14
	v_cndmask_b32_e32 v18, v18, v14, vcc
	v_cndmask_b32_e32 v14, 0, v15, vcc
	v_lshlrev_b64 v[14:15], v14, v[10:11]
	v_lshl_add_u32 v15, v18, 23, v62
	v_lshlrev_b32_e32 v11, 20, v14
	v_lshlrev_b32_e32 v14, 24, v10
	v_and_b32_e32 v11, 0x700000, v11
	v_and_b32_e32 v14, 0x80000000, v14
	v_or3_b32 v14, v14, v15, v11
.LBB6_2791:                             ;   in Loop: Header=BB6_126 Depth=2
	s_or_b64 exec, exec, s[94:95]
.LBB6_2792:                             ;   in Loop: Header=BB6_126 Depth=2
	s_or_b64 exec, exec, s[92:93]
.LBB6_2793:                             ;   in Loop: Header=BB6_126 Depth=2
	s_or_b64 exec, exec, s[22:23]
	v_max_f32_e32 v11, v14, v14
	v_max_f32_e32 v3, v3, v3
	v_min_f32_e32 v14, v3, v11
.LBB6_2794:                             ;   in Loop: Header=BB6_126 Depth=2
	v_and_b32_e32 v18, 0x7f800000, v14
	v_mov_b32_e32 v19, v61
	v_cmp_ne_u64_e32 vcc, s[72:73], v[18:19]
                                        ; implicit-def: $vgpr3
	s_and_saveexec_b64 s[22:23], vcc
	s_xor_b64 s[92:93], exec, s[22:23]
	s_cbranch_execz .LBB6_2808
; %bb.2795:                             ;   in Loop: Header=BB6_126 Depth=2
	v_and_b32_e32 v18, 0x7fffffff, v14
	v_mov_b32_e32 v19, v61
	v_cmp_gt_u64_e32 vcc, s[74:75], v[18:19]
	v_and_b32_sdwa v11, v14, s53 dst_sel:DWORD dst_unused:UNUSED_PAD src0_sel:BYTE_3 src1_sel:DWORD
                                        ; implicit-def: $vgpr3
	s_and_saveexec_b64 s[22:23], vcc
	s_xor_b64 s[94:95], exec, s[22:23]
	s_cbranch_execz .LBB6_2805
; %bb.2796:                             ;   in Loop: Header=BB6_126 Depth=2
	v_mov_b32_e32 v3, 0
	v_cmp_ne_u32_e32 vcc, 0, v14
	s_and_saveexec_b64 s[30:31], vcc
	s_cbranch_execz .LBB6_2804
; %bb.2797:                             ;   in Loop: Header=BB6_126 Depth=2
	v_bfe_u32 v3, v14, 23, 8
	v_and_b32_e32 v15, 0x7fffff, v14
	v_cmp_gt_u32_e64 s[22:23], s64, v3
	v_sub_u32_e32 v14, 0x79, v3
	v_cmp_eq_u32_e32 vcc, 0, v3
	v_cndmask_b32_e64 v14, 0, v14, s[22:23]
	v_mov_b32_e32 v19, 0x78
	v_or_b32_e32 v18, 0x800000, v15
	v_cndmask_b32_e32 v40, v14, v19, vcc
	v_cndmask_b32_e32 v14, v18, v15, vcc
	v_add_u32_e32 v18, 20, v40
	v_lshlrev_b64 v[18:19], v18, -1
	v_mov_b32_e32 v15, v61
	v_add_u32_e32 v33, 19, v40
	v_bfi_b32 v18, v18, 0, v14
	v_lshlrev_b64 v[36:37], v33, 1
	v_lshrrev_b64 v[14:15], v40, v[14:15]
	v_bfi_b32 v19, v19, 0, 0
	v_cmp_eq_u64_e64 s[22:23], v[18:19], v[36:37]
	v_mov_b32_e32 v19, v15
	v_mov_b32_e32 v18, v14
	s_and_saveexec_b64 s[34:35], s[22:23]
; %bb.2798:                             ;   in Loop: Header=BB6_126 Depth=2
	v_bfe_u32 v15, v14, 20, 1
	v_add_co_u32_e64 v15, s[22:23], v14, v15
	v_add_co_u32_e64 v18, s[22:23], -1, v15
; %bb.2799:                             ;   in Loop: Header=BB6_126 Depth=2
	s_or_b64 exec, exec, s[34:35]
	v_add_u32_e32 v3, 0xffffff81, v3
	v_cndmask_b32_e32 v3, v3, v41, vcc
	v_lshrrev_b32_e32 v15, 23, v14
	v_add3_u32 v40, v40, v3, v15
	v_add_u32_e32 v19, 6, v40
	v_and_b32_e32 v3, 0xfffff, v18
	v_add_u32_e32 v14, v3, v14
	v_mov_b32_e32 v15, v61
	v_cmp_ne_u32_e32 vcc, 0, v19
                                        ; implicit-def: $vgpr3
	s_and_saveexec_b64 s[22:23], vcc
	s_xor_b64 s[22:23], exec, s[22:23]
; %bb.2800:                             ;   in Loop: Header=BB6_126 Depth=2
	v_cmp_lt_u64_e32 vcc, s[76:77], v[14:15]
	v_add_u32_e32 v3, 7, v40
	v_cndmask_b32_e64 v18, 0, 1, vcc
	v_lshrrev_b64 v[14:15], v18, v[14:15]
	v_cndmask_b32_e32 v3, v19, v3, vcc
; %bb.2801:                             ;   in Loop: Header=BB6_126 Depth=2
	s_andn2_saveexec_b64 s[22:23], s[22:23]
; %bb.2802:                             ;   in Loop: Header=BB6_126 Depth=2
	v_bfe_u32 v3, v14, 23, 1
; %bb.2803:                             ;   in Loop: Header=BB6_126 Depth=2
	s_or_b64 exec, exec, s[22:23]
	v_lshrrev_b64 v[14:15], 20, v[14:15]
	v_cmp_gt_i32_e32 vcc, 16, v3
	v_cndmask_b32_e32 v15, 0, v15, vcc
	v_cndmask_b32_e32 v14, 7, v14, vcc
	v_cmp_eq_u32_e32 vcc, 0, v3
	v_min_i32_e32 v3, 15, v3
	v_cmp_eq_u64_e64 s[22:23], 0, v[14:15]
	v_lshlrev_b32_e32 v3, 3, v3
	v_and_b32_e32 v3, 0xf8, v3
	v_and_or_b32 v3, v14, 7, v3
	s_and_b64 s[22:23], vcc, s[22:23]
	v_cndmask_b32_e64 v3, v3, 0, s[22:23]
	v_or_b32_e32 v3, v3, v11
.LBB6_2804:                             ;   in Loop: Header=BB6_126 Depth=2
	s_or_b64 exec, exec, s[30:31]
                                        ; implicit-def: $vgpr11
.LBB6_2805:                             ;   in Loop: Header=BB6_126 Depth=2
	s_andn2_saveexec_b64 s[22:23], s[94:95]
; %bb.2806:                             ;   in Loop: Header=BB6_126 Depth=2
	v_or_b32_e32 v3, 0x7e, v11
; %bb.2807:                             ;   in Loop: Header=BB6_126 Depth=2
	s_or_b64 exec, exec, s[22:23]
                                        ; implicit-def: $vgpr14
.LBB6_2808:                             ;   in Loop: Header=BB6_126 Depth=2
	s_andn2_saveexec_b64 s[22:23], s[92:93]
; %bb.2809:                             ;   in Loop: Header=BB6_126 Depth=2
	v_or_b32_sdwa v3, v14, s54 dst_sel:DWORD dst_unused:UNUSED_PAD src0_sel:BYTE_3 src1_sel:DWORD
; %bb.2810:                             ;   in Loop: Header=BB6_126 Depth=2
	s_or_b64 exec, exec, s[22:23]
	v_lshrrev_b16_e32 v14, 8, v60
	v_lshrrev_b16_e32 v11, 8, v10
	v_cmp_ne_u16_e64 s[22:23], 0, v14
	s_and_b64 vcc, exec, s[20:21]
	s_mov_b64 s[92:93], -1
                                        ; implicit-def: $vgpr15
	s_cbranch_vccnz .LBB6_2824
; %bb.2811:                             ;   in Loop: Header=BB6_126 Depth=2
	v_mov_b32_e32 v18, 0
	v_mov_b32_e32 v15, 0
	s_and_saveexec_b64 s[92:93], s[22:23]
	s_cbranch_execz .LBB6_2817
; %bb.2812:                             ;   in Loop: Header=BB6_126 Depth=2
	v_cmp_ne_u16_e32 vcc, s53, v14
	v_bfrev_b32_e32 v15, 1
	s_and_saveexec_b64 s[94:95], vcc
	s_cbranch_execz .LBB6_2816
; %bb.2813:                             ;   in Loop: Header=BB6_126 Depth=2
	v_and_b32_e32 v19, 0x7f, v14
	v_cmp_ne_u32_e32 vcc, s54, v19
	v_mov_b32_e32 v15, 0x7f800001
	s_and_saveexec_b64 s[30:31], vcc
	s_cbranch_execz .LBB6_2815
; %bb.2814:                             ;   in Loop: Header=BB6_126 Depth=2
	v_and_b32_e32 v15, 7, v14
	v_lshrrev_b32_e32 v33, 3, v19
	v_cmp_gt_u32_e32 vcc, 8, v19
	v_ffbh_u32_e32 v19, v15
	v_min_u32_e32 v19, 32, v19
	v_subrev_u32_e32 v36, 28, v19
	v_lshlrev_b64 v[36:37], v36, v[14:15]
	v_sub_u32_e32 v19, 29, v19
	v_and_b32_e32 v36, 7, v36
	v_cndmask_b32_e32 v19, v33, v19, vcc
	v_cndmask_b32_e32 v15, v15, v36, vcc
	v_lshlrev_b32_e32 v33, 16, v60
	v_lshlrev_b32_e32 v15, 20, v15
	v_and_b32_e32 v33, 0x80000000, v33
	v_lshl_add_u32 v19, v19, 23, v62
	v_or3_b32 v15, v33, v19, v15
.LBB6_2815:                             ;   in Loop: Header=BB6_126 Depth=2
	s_or_b64 exec, exec, s[30:31]
.LBB6_2816:                             ;   in Loop: Header=BB6_126 Depth=2
	s_or_b64 exec, exec, s[94:95]
.LBB6_2817:                             ;   in Loop: Header=BB6_126 Depth=2
	s_or_b64 exec, exec, s[92:93]
	v_cmp_ne_u16_e32 vcc, 0, v11
	s_and_saveexec_b64 s[92:93], vcc
	s_cbranch_execz .LBB6_2823
; %bb.2818:                             ;   in Loop: Header=BB6_126 Depth=2
	v_cmp_ne_u16_e32 vcc, s53, v11
	v_bfrev_b32_e32 v18, 1
	s_and_saveexec_b64 s[94:95], vcc
	s_cbranch_execz .LBB6_2822
; %bb.2819:                             ;   in Loop: Header=BB6_126 Depth=2
	v_and_b32_e32 v19, 0x7f, v11
	v_cmp_ne_u32_e32 vcc, s54, v19
	v_mov_b32_e32 v18, 0x7f800001
	s_and_saveexec_b64 s[30:31], vcc
	s_cbranch_execz .LBB6_2821
; %bb.2820:                             ;   in Loop: Header=BB6_126 Depth=2
	v_and_b32_e32 v33, 7, v11
	v_ffbh_u32_e32 v18, v33
	v_min_u32_e32 v37, 32, v18
	v_subrev_u32_e32 v18, 28, v37
	v_lshrrev_b32_e32 v36, 3, v19
	v_cmp_gt_u32_e32 vcc, 8, v19
	v_lshlrev_b64 v[18:19], v18, v[11:12]
	v_sub_u32_e32 v19, 29, v37
	v_and_b32_e32 v18, 7, v18
	v_cndmask_b32_e32 v19, v36, v19, vcc
	v_cndmask_b32_e32 v18, v33, v18, vcc
	v_lshlrev_b32_e32 v33, 16, v10
	v_lshlrev_b32_e32 v18, 20, v18
	v_and_b32_e32 v33, 0x80000000, v33
	v_lshl_add_u32 v19, v19, 23, v62
	v_or3_b32 v18, v33, v19, v18
.LBB6_2821:                             ;   in Loop: Header=BB6_126 Depth=2
	s_or_b64 exec, exec, s[30:31]
.LBB6_2822:                             ;   in Loop: Header=BB6_126 Depth=2
	s_or_b64 exec, exec, s[94:95]
.LBB6_2823:                             ;   in Loop: Header=BB6_126 Depth=2
	s_or_b64 exec, exec, s[92:93]
	v_max_f32_e32 v18, v18, v18
	v_max_f32_e32 v15, v15, v15
	;; [unrolled: 1-line block ×3, first 2 shown]
	s_mov_b64 s[92:93], 0
.LBB6_2824:                             ;   in Loop: Header=BB6_126 Depth=2
	s_and_b64 vcc, exec, s[92:93]
	s_cbranch_vccz .LBB6_2838
; %bb.2825:                             ;   in Loop: Header=BB6_126 Depth=2
	v_mov_b32_e32 v18, 0
	v_mov_b32_e32 v15, 0
	s_and_saveexec_b64 s[92:93], s[22:23]
	s_cbranch_execz .LBB6_2831
; %bb.2826:                             ;   in Loop: Header=BB6_126 Depth=2
	v_cmp_ne_u16_e32 vcc, s53, v14
	v_bfrev_b32_e32 v15, 1
	s_and_saveexec_b64 s[22:23], vcc
	s_cbranch_execz .LBB6_2830
; %bb.2827:                             ;   in Loop: Header=BB6_126 Depth=2
	v_and_b32_e32 v19, 0x7f, v14
	v_cmp_ne_u32_e32 vcc, s54, v19
	v_mov_b32_e32 v15, 0x7f800001
	s_and_saveexec_b64 s[94:95], vcc
	s_cbranch_execz .LBB6_2829
; %bb.2828:                             ;   in Loop: Header=BB6_126 Depth=2
	v_and_b32_e32 v33, 7, v14
	v_ffbh_u32_e32 v15, v33
	v_lshrrev_b32_e32 v36, 3, v19
	v_cmp_gt_u32_e32 vcc, 8, v19
	v_min_u32_e32 v19, 32, v15
	v_subrev_u32_e32 v15, 28, v19
	v_lshlrev_b64 v[14:15], v15, v[14:15]
	v_sub_u32_e32 v15, 29, v19
	v_and_b32_e32 v14, 7, v14
	v_cndmask_b32_e32 v15, v36, v15, vcc
	v_cndmask_b32_e32 v14, v33, v14, vcc
	v_lshlrev_b32_e32 v19, 16, v60
	v_lshlrev_b32_e32 v14, 20, v14
	v_and_b32_e32 v19, 0x80000000, v19
	v_lshl_add_u32 v15, v15, 23, v62
	v_or3_b32 v15, v19, v15, v14
.LBB6_2829:                             ;   in Loop: Header=BB6_126 Depth=2
	s_or_b64 exec, exec, s[94:95]
.LBB6_2830:                             ;   in Loop: Header=BB6_126 Depth=2
	s_or_b64 exec, exec, s[22:23]
.LBB6_2831:                             ;   in Loop: Header=BB6_126 Depth=2
	s_or_b64 exec, exec, s[92:93]
	v_cmp_ne_u16_e32 vcc, 0, v11
	s_and_saveexec_b64 s[22:23], vcc
	s_cbranch_execz .LBB6_2837
; %bb.2832:                             ;   in Loop: Header=BB6_126 Depth=2
	v_cmp_ne_u16_e32 vcc, s53, v11
	v_bfrev_b32_e32 v18, 1
	s_and_saveexec_b64 s[92:93], vcc
	s_cbranch_execz .LBB6_2836
; %bb.2833:                             ;   in Loop: Header=BB6_126 Depth=2
	v_and_b32_e32 v14, 0x7f, v11
	v_cmp_ne_u32_e32 vcc, s54, v14
	v_mov_b32_e32 v18, 0x7f800001
	s_and_saveexec_b64 s[94:95], vcc
	s_cbranch_execz .LBB6_2835
; %bb.2834:                             ;   in Loop: Header=BB6_126 Depth=2
	v_and_b32_e32 v33, 7, v11
	v_lshrrev_b32_e32 v36, 3, v14
	v_cmp_gt_u32_e32 vcc, 8, v14
	v_ffbh_u32_e32 v14, v33
	v_min_u32_e32 v14, 32, v14
	v_subrev_u32_e32 v18, 28, v14
	v_lshlrev_b64 v[18:19], v18, v[11:12]
	v_sub_u32_e32 v11, 29, v14
	v_and_b32_e32 v14, 7, v18
	v_cndmask_b32_e32 v11, v36, v11, vcc
	v_cndmask_b32_e32 v14, v33, v14, vcc
	v_lshlrev_b32_e32 v10, 16, v10
	v_lshlrev_b32_e32 v14, 20, v14
	v_and_b32_e32 v10, 0x80000000, v10
	v_lshl_add_u32 v11, v11, 23, v62
	v_or3_b32 v18, v10, v11, v14
.LBB6_2835:                             ;   in Loop: Header=BB6_126 Depth=2
	s_or_b64 exec, exec, s[94:95]
.LBB6_2836:                             ;   in Loop: Header=BB6_126 Depth=2
	s_or_b64 exec, exec, s[92:93]
.LBB6_2837:                             ;   in Loop: Header=BB6_126 Depth=2
	s_or_b64 exec, exec, s[22:23]
	v_max_f32_e32 v10, v18, v18
	v_max_f32_e32 v11, v15, v15
	v_min_f32_e32 v15, v11, v10
.LBB6_2838:                             ;   in Loop: Header=BB6_126 Depth=2
	v_and_b32_e32 v60, 0x7f800000, v15
	v_cmp_ne_u64_e32 vcc, s[72:73], v[60:61]
                                        ; implicit-def: $vgpr18
	s_and_saveexec_b64 s[22:23], vcc
	s_xor_b64 s[92:93], exec, s[22:23]
	s_cbranch_execz .LBB6_2852
; %bb.2839:                             ;   in Loop: Header=BB6_126 Depth=2
	v_and_b32_e32 v60, 0x7fffffff, v15
	v_cmp_gt_u64_e32 vcc, s[74:75], v[60:61]
	v_and_b32_sdwa v19, v15, s53 dst_sel:DWORD dst_unused:UNUSED_PAD src0_sel:BYTE_3 src1_sel:DWORD
                                        ; implicit-def: $vgpr18
	s_and_saveexec_b64 s[22:23], vcc
	s_xor_b64 s[94:95], exec, s[22:23]
	s_cbranch_execz .LBB6_2849
; %bb.2840:                             ;   in Loop: Header=BB6_126 Depth=2
	v_mov_b32_e32 v18, 0
	v_cmp_ne_u32_e32 vcc, 0, v15
	s_and_saveexec_b64 s[30:31], vcc
	s_cbranch_execz .LBB6_2848
; %bb.2841:                             ;   in Loop: Header=BB6_126 Depth=2
	v_bfe_u32 v18, v15, 23, 8
	v_cmp_gt_u32_e64 s[22:23], s64, v18
	v_sub_u32_e32 v11, 0x79, v18
	v_and_b32_e32 v10, 0x7fffff, v15
	v_cmp_eq_u32_e32 vcc, 0, v18
	v_cndmask_b32_e64 v11, 0, v11, s[22:23]
	v_mov_b32_e32 v15, 0x78
	v_or_b32_e32 v14, 0x800000, v10
	v_cndmask_b32_e32 v40, v11, v15, vcc
	v_cndmask_b32_e32 v60, v14, v10, vcc
	v_add_u32_e32 v10, 20, v40
	v_lshlrev_b64 v[10:11], v10, -1
	v_add_u32_e32 v14, 19, v40
	v_lshlrev_b64 v[14:15], v14, 1
	v_bfi_b32 v11, v11, 0, 0
	v_bfi_b32 v10, v10, 0, v60
	v_cmp_eq_u64_e64 s[22:23], v[10:11], v[14:15]
	v_lshrrev_b64 v[10:11], v40, v[60:61]
	v_mov_b32_e32 v15, v11
	v_mov_b32_e32 v14, v10
	s_and_saveexec_b64 s[34:35], s[22:23]
; %bb.2842:                             ;   in Loop: Header=BB6_126 Depth=2
	v_bfe_u32 v11, v10, 20, 1
	v_add_co_u32_e64 v11, s[22:23], v10, v11
	v_add_co_u32_e64 v14, s[22:23], -1, v11
; %bb.2843:                             ;   in Loop: Header=BB6_126 Depth=2
	s_or_b64 exec, exec, s[34:35]
	v_add_u32_e32 v11, 0xffffff81, v18
	v_cndmask_b32_e32 v11, v11, v41, vcc
	v_lshrrev_b32_e32 v15, 23, v10
	v_add3_u32 v18, v40, v11, v15
	v_add_u32_e32 v15, 6, v18
	v_and_b32_e32 v11, 0xfffff, v14
	v_add_u32_e32 v60, v11, v10
	v_cmp_ne_u32_e32 vcc, 0, v15
                                        ; implicit-def: $vgpr10_vgpr11
                                        ; implicit-def: $vgpr14
	s_and_saveexec_b64 s[22:23], vcc
	s_xor_b64 s[22:23], exec, s[22:23]
; %bb.2844:                             ;   in Loop: Header=BB6_126 Depth=2
	v_cmp_lt_u64_e32 vcc, s[76:77], v[60:61]
	v_add_u32_e32 v10, 7, v18
	v_cndmask_b32_e32 v14, v15, v10, vcc
	v_cndmask_b32_e64 v10, 0, 1, vcc
	v_lshrrev_b64 v[10:11], v10, v[60:61]
; %bb.2845:                             ;   in Loop: Header=BB6_126 Depth=2
	s_andn2_saveexec_b64 s[22:23], s[22:23]
; %bb.2846:                             ;   in Loop: Header=BB6_126 Depth=2
	v_mov_b32_e32 v10, v60
	v_bfe_u32 v14, v60, 23, 1
	v_mov_b32_e32 v11, v61
; %bb.2847:                             ;   in Loop: Header=BB6_126 Depth=2
	s_or_b64 exec, exec, s[22:23]
	v_lshrrev_b64 v[10:11], 20, v[10:11]
	v_cmp_gt_i32_e32 vcc, 16, v14
	v_cndmask_b32_e32 v11, 0, v11, vcc
	v_cndmask_b32_e32 v10, 7, v10, vcc
	v_cmp_eq_u64_e64 s[22:23], 0, v[10:11]
	v_min_i32_e32 v11, 15, v14
	v_lshlrev_b32_e32 v11, 3, v11
	v_cmp_eq_u32_e32 vcc, 0, v14
	v_and_b32_e32 v11, 0xf8, v11
	v_and_or_b32 v10, v10, 7, v11
	s_and_b64 s[22:23], vcc, s[22:23]
	v_cndmask_b32_e64 v10, v10, 0, s[22:23]
	v_or_b32_e32 v18, v10, v19
.LBB6_2848:                             ;   in Loop: Header=BB6_126 Depth=2
	s_or_b64 exec, exec, s[30:31]
                                        ; implicit-def: $vgpr19
.LBB6_2849:                             ;   in Loop: Header=BB6_126 Depth=2
	s_andn2_saveexec_b64 s[22:23], s[94:95]
; %bb.2850:                             ;   in Loop: Header=BB6_126 Depth=2
	v_or_b32_e32 v18, 0x7e, v19
; %bb.2851:                             ;   in Loop: Header=BB6_126 Depth=2
	s_or_b64 exec, exec, s[22:23]
                                        ; implicit-def: $vgpr15
.LBB6_2852:                             ;   in Loop: Header=BB6_126 Depth=2
	s_andn2_saveexec_b64 s[22:23], s[92:93]
; %bb.2853:                             ;   in Loop: Header=BB6_126 Depth=2
	v_or_b32_sdwa v18, v15, s54 dst_sel:DWORD dst_unused:UNUSED_PAD src0_sel:BYTE_3 src1_sel:DWORD
; %bb.2854:                             ;   in Loop: Header=BB6_126 Depth=2
	s_or_b64 exec, exec, s[22:23]
	v_lshrrev_b32_e32 v11, 16, v17
	v_lshrrev_b32_e32 v10, 16, v13
	v_cmp_ne_u16_sdwa s[22:23], v11, v61 src0_sel:BYTE_0 src1_sel:DWORD
	s_and_b64 vcc, exec, s[20:21]
	s_mov_b64 s[92:93], -1
                                        ; implicit-def: $vgpr15
	s_cbranch_vccnz .LBB6_2868
; %bb.2855:                             ;   in Loop: Header=BB6_126 Depth=2
	v_mov_b32_e32 v15, 0
	v_mov_b32_e32 v14, 0
	s_and_saveexec_b64 s[92:93], s[22:23]
	s_cbranch_execz .LBB6_2861
; %bb.2856:                             ;   in Loop: Header=BB6_126 Depth=2
	v_cmp_ne_u16_sdwa vcc, v11, s53 src0_sel:BYTE_0 src1_sel:DWORD
	v_bfrev_b32_e32 v14, 1
	s_and_saveexec_b64 s[94:95], vcc
	s_cbranch_execz .LBB6_2860
; %bb.2857:                             ;   in Loop: Header=BB6_126 Depth=2
	v_bfe_u32 v19, v17, 16, 7
	v_cmp_ne_u32_e32 vcc, s54, v19
	v_mov_b32_e32 v14, 0x7f800001
	s_and_saveexec_b64 s[30:31], vcc
	s_cbranch_execz .LBB6_2859
; %bb.2858:                             ;   in Loop: Header=BB6_126 Depth=2
	v_and_b32_e32 v14, 7, v11
	v_lshrrev_b32_e32 v33, 3, v19
	v_cmp_gt_u32_e32 vcc, 8, v19
	v_ffbh_u32_e32 v19, v14
	v_min_u32_e32 v19, 32, v19
	v_subrev_u32_e32 v36, 28, v19
	v_lshlrev_b64 v[36:37], v36, v[11:12]
	v_sub_u32_e32 v19, 29, v19
	v_and_b32_e32 v36, 7, v36
	v_cndmask_b32_e32 v19, v33, v19, vcc
	v_cndmask_b32_e32 v14, v14, v36, vcc
	v_lshlrev_b32_e32 v33, 24, v11
	v_lshlrev_b32_e32 v14, 20, v14
	v_and_b32_e32 v33, 0x80000000, v33
	v_lshl_add_u32 v19, v19, 23, v62
	v_or3_b32 v14, v33, v19, v14
.LBB6_2859:                             ;   in Loop: Header=BB6_126 Depth=2
	s_or_b64 exec, exec, s[30:31]
.LBB6_2860:                             ;   in Loop: Header=BB6_126 Depth=2
	s_or_b64 exec, exec, s[94:95]
.LBB6_2861:                             ;   in Loop: Header=BB6_126 Depth=2
	s_or_b64 exec, exec, s[92:93]
	v_cmp_ne_u16_sdwa s[94:95], v10, v61 src0_sel:BYTE_0 src1_sel:DWORD
	s_and_saveexec_b64 s[92:93], s[94:95]
	s_cbranch_execz .LBB6_2867
; %bb.2862:                             ;   in Loop: Header=BB6_126 Depth=2
	v_cmp_ne_u16_sdwa vcc, v10, s53 src0_sel:BYTE_0 src1_sel:DWORD
	v_bfrev_b32_e32 v15, 1
	s_and_saveexec_b64 s[94:95], vcc
	s_cbranch_execz .LBB6_2866
; %bb.2863:                             ;   in Loop: Header=BB6_126 Depth=2
	v_bfe_u32 v19, v13, 16, 7
	v_cmp_ne_u32_e32 vcc, s54, v19
	v_mov_b32_e32 v15, 0x7f800001
	s_and_saveexec_b64 s[30:31], vcc
	s_cbranch_execz .LBB6_2865
; %bb.2864:                             ;   in Loop: Header=BB6_126 Depth=2
	v_and_b32_e32 v15, 7, v10
	v_lshrrev_b32_e32 v33, 3, v19
	v_cmp_gt_u32_e32 vcc, 8, v19
	v_ffbh_u32_e32 v19, v15
	v_min_u32_e32 v19, 32, v19
	v_subrev_u32_e32 v36, 28, v19
	v_lshlrev_b64 v[36:37], v36, v[10:11]
	v_sub_u32_e32 v19, 29, v19
	v_and_b32_e32 v36, 7, v36
	v_cndmask_b32_e32 v19, v33, v19, vcc
	v_cndmask_b32_e32 v15, v15, v36, vcc
	v_lshlrev_b32_e32 v33, 24, v10
	v_lshlrev_b32_e32 v15, 20, v15
	v_and_b32_e32 v33, 0x80000000, v33
	v_lshl_add_u32 v19, v19, 23, v62
	v_or3_b32 v15, v33, v19, v15
.LBB6_2865:                             ;   in Loop: Header=BB6_126 Depth=2
	s_or_b64 exec, exec, s[30:31]
.LBB6_2866:                             ;   in Loop: Header=BB6_126 Depth=2
	s_or_b64 exec, exec, s[94:95]
.LBB6_2867:                             ;   in Loop: Header=BB6_126 Depth=2
	s_or_b64 exec, exec, s[92:93]
	v_max_f32_e32 v15, v15, v15
	v_max_f32_e32 v14, v14, v14
	;; [unrolled: 1-line block ×3, first 2 shown]
	s_mov_b64 s[92:93], 0
.LBB6_2868:                             ;   in Loop: Header=BB6_126 Depth=2
	s_and_b64 vcc, exec, s[92:93]
	s_cbranch_vccz .LBB6_2882
; %bb.2869:                             ;   in Loop: Header=BB6_126 Depth=2
	v_mov_b32_e32 v15, 0
	v_mov_b32_e32 v14, 0
	s_and_saveexec_b64 s[92:93], s[22:23]
	s_cbranch_execz .LBB6_2875
; %bb.2870:                             ;   in Loop: Header=BB6_126 Depth=2
	v_cmp_ne_u16_sdwa s[94:95], v11, s53 src0_sel:BYTE_0 src1_sel:DWORD
	v_bfrev_b32_e32 v14, 1
	s_and_saveexec_b64 s[22:23], s[94:95]
	s_cbranch_execz .LBB6_2874
; %bb.2871:                             ;   in Loop: Header=BB6_126 Depth=2
	v_bfe_u32 v19, v17, 16, 7
	v_cmp_ne_u32_e32 vcc, s54, v19
	v_mov_b32_e32 v14, 0x7f800001
	s_and_saveexec_b64 s[94:95], vcc
	s_cbranch_execz .LBB6_2873
; %bb.2872:                             ;   in Loop: Header=BB6_126 Depth=2
	v_and_b32_e32 v14, 7, v11
	v_lshrrev_b32_e32 v33, 3, v19
	v_cmp_gt_u32_e32 vcc, 8, v19
	v_ffbh_u32_e32 v19, v14
	v_min_u32_e32 v19, 32, v19
	v_subrev_u32_e32 v36, 28, v19
	v_lshlrev_b64 v[36:37], v36, v[11:12]
	v_sub_u32_e32 v19, 29, v19
	v_and_b32_e32 v36, 7, v36
	v_cndmask_b32_e32 v19, v33, v19, vcc
	v_cndmask_b32_e32 v14, v14, v36, vcc
	v_lshlrev_b32_e32 v11, 24, v11
	v_lshlrev_b32_e32 v14, 20, v14
	v_and_b32_e32 v11, 0x80000000, v11
	v_lshl_add_u32 v19, v19, 23, v62
	v_or3_b32 v14, v11, v19, v14
.LBB6_2873:                             ;   in Loop: Header=BB6_126 Depth=2
	s_or_b64 exec, exec, s[94:95]
.LBB6_2874:                             ;   in Loop: Header=BB6_126 Depth=2
	s_or_b64 exec, exec, s[22:23]
.LBB6_2875:                             ;   in Loop: Header=BB6_126 Depth=2
	s_or_b64 exec, exec, s[92:93]
	v_cmp_ne_u16_sdwa s[92:93], v10, v61 src0_sel:BYTE_0 src1_sel:DWORD
	s_and_saveexec_b64 s[22:23], s[92:93]
	s_cbranch_execz .LBB6_2881
; %bb.2876:                             ;   in Loop: Header=BB6_126 Depth=2
	v_cmp_ne_u16_sdwa s[94:95], v10, s53 src0_sel:BYTE_0 src1_sel:DWORD
	v_bfrev_b32_e32 v15, 1
	s_and_saveexec_b64 s[92:93], s[94:95]
	s_cbranch_execz .LBB6_2880
; %bb.2877:                             ;   in Loop: Header=BB6_126 Depth=2
	v_bfe_u32 v11, v13, 16, 7
	v_cmp_ne_u32_e32 vcc, s54, v11
	v_mov_b32_e32 v15, 0x7f800001
	s_and_saveexec_b64 s[94:95], vcc
	s_cbranch_execz .LBB6_2879
; %bb.2878:                             ;   in Loop: Header=BB6_126 Depth=2
	v_and_b32_e32 v15, 7, v10
	v_lshrrev_b32_e32 v19, 3, v11
	v_cmp_gt_u32_e32 vcc, 8, v11
	v_ffbh_u32_e32 v11, v15
	v_min_u32_e32 v11, 32, v11
	v_subrev_u32_e32 v33, 28, v11
	v_lshlrev_b64 v[36:37], v33, v[10:11]
	v_sub_u32_e32 v11, 29, v11
	v_and_b32_e32 v33, 7, v36
	v_cndmask_b32_e32 v11, v19, v11, vcc
	v_cndmask_b32_e32 v15, v15, v33, vcc
	v_lshlrev_b32_e32 v10, 24, v10
	v_lshlrev_b32_e32 v15, 20, v15
	v_and_b32_e32 v10, 0x80000000, v10
	v_lshl_add_u32 v11, v11, 23, v62
	v_or3_b32 v15, v10, v11, v15
.LBB6_2879:                             ;   in Loop: Header=BB6_126 Depth=2
	s_or_b64 exec, exec, s[94:95]
.LBB6_2880:                             ;   in Loop: Header=BB6_126 Depth=2
	s_or_b64 exec, exec, s[92:93]
.LBB6_2881:                             ;   in Loop: Header=BB6_126 Depth=2
	s_or_b64 exec, exec, s[22:23]
	v_max_f32_e32 v10, v15, v15
	v_max_f32_e32 v11, v14, v14
	v_min_f32_e32 v15, v11, v10
.LBB6_2882:                             ;   in Loop: Header=BB6_126 Depth=2
	v_and_b32_e32 v60, 0x7f800000, v15
	v_cmp_ne_u64_e32 vcc, s[72:73], v[60:61]
                                        ; implicit-def: $vgpr14
	s_and_saveexec_b64 s[22:23], vcc
	s_xor_b64 s[92:93], exec, s[22:23]
	s_cbranch_execz .LBB6_2896
; %bb.2883:                             ;   in Loop: Header=BB6_126 Depth=2
	v_and_b32_e32 v60, 0x7fffffff, v15
	v_cmp_gt_u64_e32 vcc, s[74:75], v[60:61]
	v_and_b32_sdwa v19, v15, s53 dst_sel:DWORD dst_unused:UNUSED_PAD src0_sel:BYTE_3 src1_sel:DWORD
                                        ; implicit-def: $vgpr14
	s_and_saveexec_b64 s[22:23], vcc
	s_xor_b64 s[94:95], exec, s[22:23]
	s_cbranch_execz .LBB6_2893
; %bb.2884:                             ;   in Loop: Header=BB6_126 Depth=2
	v_mov_b32_e32 v14, 0
	v_cmp_ne_u32_e32 vcc, 0, v15
	s_and_saveexec_b64 s[30:31], vcc
	s_cbranch_execz .LBB6_2892
; %bb.2885:                             ;   in Loop: Header=BB6_126 Depth=2
	v_bfe_u32 v40, v15, 23, 8
	v_cmp_gt_u32_e64 s[22:23], s64, v40
	v_sub_u32_e32 v11, 0x79, v40
	v_and_b32_e32 v10, 0x7fffff, v15
	v_cmp_eq_u32_e32 vcc, 0, v40
	v_cndmask_b32_e64 v11, 0, v11, s[22:23]
	v_mov_b32_e32 v15, 0x78
	v_or_b32_e32 v14, 0x800000, v10
	v_cndmask_b32_e32 v41, v11, v15, vcc
	v_cndmask_b32_e32 v60, v14, v10, vcc
	v_add_u32_e32 v10, 20, v41
	v_lshlrev_b64 v[10:11], v10, -1
	v_add_u32_e32 v14, 19, v41
	v_lshlrev_b64 v[14:15], v14, 1
	v_bfi_b32 v11, v11, 0, 0
	v_bfi_b32 v10, v10, 0, v60
	v_cmp_eq_u64_e64 s[22:23], v[10:11], v[14:15]
	v_lshrrev_b64 v[10:11], v41, v[60:61]
	v_mov_b32_e32 v33, 0xffffff82
	v_mov_b32_e32 v15, v11
	v_mov_b32_e32 v14, v10
	s_and_saveexec_b64 s[34:35], s[22:23]
; %bb.2886:                             ;   in Loop: Header=BB6_126 Depth=2
	v_bfe_u32 v11, v10, 20, 1
	v_add_co_u32_e64 v11, s[22:23], v10, v11
	v_add_co_u32_e64 v14, s[22:23], -1, v11
; %bb.2887:                             ;   in Loop: Header=BB6_126 Depth=2
	s_or_b64 exec, exec, s[34:35]
	v_add_u32_e32 v11, 0xffffff81, v40
	v_cndmask_b32_e32 v11, v11, v33, vcc
	v_lshrrev_b32_e32 v15, 23, v10
	v_add3_u32 v40, v41, v11, v15
	v_add_u32_e32 v15, 6, v40
	v_and_b32_e32 v11, 0xfffff, v14
	v_add_u32_e32 v60, v11, v10
	v_cmp_ne_u32_e32 vcc, 0, v15
                                        ; implicit-def: $vgpr10_vgpr11
                                        ; implicit-def: $vgpr14
	s_and_saveexec_b64 s[22:23], vcc
	s_xor_b64 s[22:23], exec, s[22:23]
; %bb.2888:                             ;   in Loop: Header=BB6_126 Depth=2
	v_cmp_lt_u64_e32 vcc, s[76:77], v[60:61]
	v_add_u32_e32 v10, 7, v40
	v_cndmask_b32_e32 v14, v15, v10, vcc
	v_cndmask_b32_e64 v10, 0, 1, vcc
	v_lshrrev_b64 v[10:11], v10, v[60:61]
; %bb.2889:                             ;   in Loop: Header=BB6_126 Depth=2
	s_andn2_saveexec_b64 s[22:23], s[22:23]
; %bb.2890:                             ;   in Loop: Header=BB6_126 Depth=2
	v_mov_b32_e32 v10, v60
	v_bfe_u32 v14, v60, 23, 1
	v_mov_b32_e32 v11, v61
; %bb.2891:                             ;   in Loop: Header=BB6_126 Depth=2
	s_or_b64 exec, exec, s[22:23]
	v_lshrrev_b64 v[10:11], 20, v[10:11]
	v_cmp_gt_i32_e32 vcc, 16, v14
	v_cndmask_b32_e32 v11, 0, v11, vcc
	v_cndmask_b32_e32 v10, 7, v10, vcc
	v_cmp_eq_u64_e64 s[22:23], 0, v[10:11]
	v_min_i32_e32 v11, 15, v14
	v_lshlrev_b32_e32 v11, 3, v11
	v_cmp_eq_u32_e32 vcc, 0, v14
	v_and_b32_e32 v11, 0xf8, v11
	v_and_or_b32 v10, v10, 7, v11
	s_and_b64 s[22:23], vcc, s[22:23]
	v_cndmask_b32_e64 v10, v10, 0, s[22:23]
	v_or_b32_e32 v14, v10, v19
	v_mov_b32_e32 v41, 0xffffff82
.LBB6_2892:                             ;   in Loop: Header=BB6_126 Depth=2
	s_or_b64 exec, exec, s[30:31]
                                        ; implicit-def: $vgpr19
.LBB6_2893:                             ;   in Loop: Header=BB6_126 Depth=2
	s_andn2_saveexec_b64 s[22:23], s[94:95]
; %bb.2894:                             ;   in Loop: Header=BB6_126 Depth=2
	v_or_b32_e32 v14, 0x7e, v19
; %bb.2895:                             ;   in Loop: Header=BB6_126 Depth=2
	s_or_b64 exec, exec, s[22:23]
                                        ; implicit-def: $vgpr15
.LBB6_2896:                             ;   in Loop: Header=BB6_126 Depth=2
	s_andn2_saveexec_b64 s[22:23], s[92:93]
; %bb.2897:                             ;   in Loop: Header=BB6_126 Depth=2
	v_or_b32_sdwa v14, v15, s54 dst_sel:DWORD dst_unused:UNUSED_PAD src0_sel:BYTE_3 src1_sel:DWORD
; %bb.2898:                             ;   in Loop: Header=BB6_126 Depth=2
	s_or_b64 exec, exec, s[22:23]
	v_cmp_lt_u64_e64 s[22:23], s[78:79], v[16:17]
	v_lshrrev_b32_e32 v11, 24, v17
	v_lshrrev_b32_e32 v10, 24, v13
	s_and_b64 vcc, exec, s[20:21]
	s_mov_b64 s[20:21], -1
                                        ; implicit-def: $vgpr15
	s_cbranch_vccnz .LBB6_2912
; %bb.2899:                             ;   in Loop: Header=BB6_126 Depth=2
	v_mov_b32_e32 v16, 0
	v_mov_b32_e32 v15, 0
	s_and_saveexec_b64 s[20:21], s[22:23]
	s_cbranch_execz .LBB6_2905
; %bb.2900:                             ;   in Loop: Header=BB6_126 Depth=2
	v_cmp_ne_u32_e32 vcc, s53, v11
	v_bfrev_b32_e32 v15, 1
	s_and_saveexec_b64 s[92:93], vcc
	s_cbranch_execz .LBB6_2904
; %bb.2901:                             ;   in Loop: Header=BB6_126 Depth=2
	v_bfe_u32 v19, v17, 24, 7
	v_cmp_ne_u32_e32 vcc, s54, v19
	v_mov_b32_e32 v15, 0x7f800001
	s_and_saveexec_b64 s[94:95], vcc
	s_cbranch_execz .LBB6_2903
; %bb.2902:                             ;   in Loop: Header=BB6_126 Depth=2
	v_and_b32_e32 v15, 7, v11
	v_lshrrev_b32_e32 v33, 3, v19
	v_cmp_gt_u32_e32 vcc, 8, v19
	v_ffbh_u32_e32 v19, v15
	v_min_u32_e32 v19, 32, v19
	v_subrev_u32_e32 v36, 28, v19
	v_lshlrev_b64 v[36:37], v36, v[11:12]
	v_sub_u32_e32 v19, 29, v19
	v_and_b32_e32 v36, 7, v36
	v_cndmask_b32_e32 v19, v33, v19, vcc
	v_cndmask_b32_e32 v15, v15, v36, vcc
	v_lshlrev_b32_e32 v33, 24, v11
	v_lshlrev_b32_e32 v15, 20, v15
	v_and_b32_e32 v33, 0x80000000, v33
	v_lshl_add_u32 v19, v19, 23, v62
	v_or3_b32 v15, v33, v19, v15
.LBB6_2903:                             ;   in Loop: Header=BB6_126 Depth=2
	s_or_b64 exec, exec, s[94:95]
.LBB6_2904:                             ;   in Loop: Header=BB6_126 Depth=2
	s_or_b64 exec, exec, s[92:93]
.LBB6_2905:                             ;   in Loop: Header=BB6_126 Depth=2
	s_or_b64 exec, exec, s[20:21]
	v_cmp_lt_u64_e32 vcc, s[78:79], v[12:13]
	s_and_saveexec_b64 s[20:21], vcc
	s_cbranch_execz .LBB6_2911
; %bb.2906:                             ;   in Loop: Header=BB6_126 Depth=2
	v_cmp_ne_u32_e32 vcc, s53, v10
	v_bfrev_b32_e32 v16, 1
	s_and_saveexec_b64 s[92:93], vcc
	s_cbranch_execz .LBB6_2910
; %bb.2907:                             ;   in Loop: Header=BB6_126 Depth=2
	v_bfe_u32 v19, v13, 24, 7
	v_cmp_ne_u32_e32 vcc, s54, v19
	v_mov_b32_e32 v16, 0x7f800001
	s_and_saveexec_b64 s[94:95], vcc
	s_cbranch_execz .LBB6_2909
; %bb.2908:                             ;   in Loop: Header=BB6_126 Depth=2
	v_and_b32_e32 v16, 7, v10
	v_lshrrev_b32_e32 v33, 3, v19
	v_cmp_gt_u32_e32 vcc, 8, v19
	v_ffbh_u32_e32 v19, v16
	v_min_u32_e32 v19, 32, v19
	v_subrev_u32_e32 v36, 28, v19
	v_lshlrev_b64 v[36:37], v36, v[10:11]
	v_sub_u32_e32 v19, 29, v19
	v_and_b32_e32 v36, 7, v36
	v_cndmask_b32_e32 v19, v33, v19, vcc
	v_cndmask_b32_e32 v16, v16, v36, vcc
	v_lshlrev_b32_e32 v33, 24, v10
	v_lshlrev_b32_e32 v16, 20, v16
	v_and_b32_e32 v33, 0x80000000, v33
	v_lshl_add_u32 v19, v19, 23, v62
	v_or3_b32 v16, v33, v19, v16
.LBB6_2909:                             ;   in Loop: Header=BB6_126 Depth=2
	s_or_b64 exec, exec, s[94:95]
.LBB6_2910:                             ;   in Loop: Header=BB6_126 Depth=2
	s_or_b64 exec, exec, s[92:93]
.LBB6_2911:                             ;   in Loop: Header=BB6_126 Depth=2
	s_or_b64 exec, exec, s[20:21]
	v_max_f32_e32 v16, v16, v16
	v_max_f32_e32 v15, v15, v15
	;; [unrolled: 1-line block ×3, first 2 shown]
	s_mov_b64 s[20:21], 0
.LBB6_2912:                             ;   in Loop: Header=BB6_126 Depth=2
	s_and_b64 vcc, exec, s[20:21]
	s_cbranch_vccz .LBB6_2926
; %bb.2913:                             ;   in Loop: Header=BB6_126 Depth=2
	v_mov_b32_e32 v16, 0
	v_mov_b32_e32 v15, 0
	s_and_saveexec_b64 s[20:21], s[22:23]
	s_cbranch_execz .LBB6_2919
; %bb.2914:                             ;   in Loop: Header=BB6_126 Depth=2
	v_cmp_ne_u32_e32 vcc, s53, v11
	v_bfrev_b32_e32 v15, 1
	s_and_saveexec_b64 s[22:23], vcc
	s_cbranch_execz .LBB6_2918
; %bb.2915:                             ;   in Loop: Header=BB6_126 Depth=2
	v_bfe_u32 v17, v17, 24, 7
	v_cmp_ne_u32_e32 vcc, s54, v17
	v_mov_b32_e32 v15, 0x7f800001
	s_and_saveexec_b64 s[92:93], vcc
	s_cbranch_execz .LBB6_2917
; %bb.2916:                             ;   in Loop: Header=BB6_126 Depth=2
	v_and_b32_e32 v15, 7, v11
	v_lshrrev_b32_e32 v19, 3, v17
	v_cmp_gt_u32_e32 vcc, 8, v17
	v_ffbh_u32_e32 v17, v15
	v_min_u32_e32 v17, 32, v17
	v_subrev_u32_e32 v33, 28, v17
	v_lshlrev_b64 v[36:37], v33, v[11:12]
	v_sub_u32_e32 v17, 29, v17
	v_and_b32_e32 v33, 7, v36
	v_cndmask_b32_e32 v17, v19, v17, vcc
	v_cndmask_b32_e32 v15, v15, v33, vcc
	v_lshlrev_b32_e32 v11, 24, v11
	v_lshlrev_b32_e32 v15, 20, v15
	v_and_b32_e32 v11, 0x80000000, v11
	v_lshl_add_u32 v17, v17, 23, v62
	v_or3_b32 v15, v11, v17, v15
.LBB6_2917:                             ;   in Loop: Header=BB6_126 Depth=2
	s_or_b64 exec, exec, s[92:93]
.LBB6_2918:                             ;   in Loop: Header=BB6_126 Depth=2
	s_or_b64 exec, exec, s[22:23]
.LBB6_2919:                             ;   in Loop: Header=BB6_126 Depth=2
	s_or_b64 exec, exec, s[20:21]
	v_cmp_lt_u64_e32 vcc, s[78:79], v[12:13]
	s_and_saveexec_b64 s[20:21], vcc
	s_cbranch_execz .LBB6_2925
; %bb.2920:                             ;   in Loop: Header=BB6_126 Depth=2
	v_cmp_ne_u32_e32 vcc, s53, v10
	v_bfrev_b32_e32 v16, 1
	s_and_saveexec_b64 s[22:23], vcc
	s_cbranch_execz .LBB6_2924
; %bb.2921:                             ;   in Loop: Header=BB6_126 Depth=2
	v_bfe_u32 v11, v13, 24, 7
	v_cmp_ne_u32_e32 vcc, s54, v11
	v_mov_b32_e32 v16, 0x7f800001
	s_and_saveexec_b64 s[92:93], vcc
	s_cbranch_execz .LBB6_2923
; %bb.2922:                             ;   in Loop: Header=BB6_126 Depth=2
	v_and_b32_e32 v13, 7, v10
	v_lshrrev_b32_e32 v16, 3, v11
	v_cmp_gt_u32_e32 vcc, 8, v11
	v_ffbh_u32_e32 v11, v13
	v_min_u32_e32 v17, 32, v11
	v_subrev_u32_e32 v11, 28, v17
	v_lshlrev_b64 v[11:12], v11, v[10:11]
	v_sub_u32_e32 v12, 29, v17
	v_and_b32_e32 v11, 7, v11
	v_cndmask_b32_e32 v12, v16, v12, vcc
	v_cndmask_b32_e32 v11, v13, v11, vcc
	v_lshlrev_b32_e32 v10, 24, v10
	v_lshlrev_b32_e32 v11, 20, v11
	v_and_b32_e32 v10, 0x80000000, v10
	v_lshl_add_u32 v12, v12, 23, v62
	v_or3_b32 v16, v10, v12, v11
.LBB6_2923:                             ;   in Loop: Header=BB6_126 Depth=2
	s_or_b64 exec, exec, s[92:93]
.LBB6_2924:                             ;   in Loop: Header=BB6_126 Depth=2
	s_or_b64 exec, exec, s[22:23]
.LBB6_2925:                             ;   in Loop: Header=BB6_126 Depth=2
	s_or_b64 exec, exec, s[20:21]
	v_max_f32_e32 v10, v16, v16
	v_max_f32_e32 v11, v15, v15
	v_min_f32_e32 v15, v11, v10
.LBB6_2926:                             ;   in Loop: Header=BB6_126 Depth=2
	v_and_b32_e32 v60, 0x7f800000, v15
	v_cmp_ne_u64_e32 vcc, s[72:73], v[60:61]
                                        ; implicit-def: $vgpr10
	s_and_saveexec_b64 s[20:21], vcc
	s_xor_b64 s[22:23], exec, s[20:21]
	s_cbranch_execz .LBB6_2940
; %bb.2927:                             ;   in Loop: Header=BB6_126 Depth=2
	v_and_b32_e32 v60, 0x7fffffff, v15
	v_cmp_gt_u64_e32 vcc, s[74:75], v[60:61]
	v_and_b32_sdwa v13, v15, s53 dst_sel:DWORD dst_unused:UNUSED_PAD src0_sel:BYTE_3 src1_sel:DWORD
                                        ; implicit-def: $vgpr10
	s_and_saveexec_b64 s[20:21], vcc
	s_xor_b64 s[92:93], exec, s[20:21]
	s_cbranch_execz .LBB6_2937
; %bb.2928:                             ;   in Loop: Header=BB6_126 Depth=2
	v_mov_b32_e32 v10, 0
	v_cmp_ne_u32_e32 vcc, 0, v15
	s_and_saveexec_b64 s[94:95], vcc
	s_cbranch_execz .LBB6_2936
; %bb.2929:                             ;   in Loop: Header=BB6_126 Depth=2
	v_and_b32_e32 v10, 0x7fffff, v15
	v_bfe_u32 v15, v15, 23, 8
	v_cmp_gt_u32_e64 s[20:21], s64, v15
	v_sub_u32_e32 v11, 0x79, v15
	v_cmp_eq_u32_e32 vcc, 0, v15
	v_cndmask_b32_e64 v11, 0, v11, s[20:21]
	v_mov_b32_e32 v16, 0x78
	v_or_b32_e32 v12, 0x800000, v10
	v_cndmask_b32_e32 v16, v11, v16, vcc
	v_cndmask_b32_e32 v60, v12, v10, vcc
	v_add_u32_e32 v10, 20, v16
	v_lshlrev_b64 v[10:11], v10, -1
	v_add_u32_e32 v12, 19, v16
	v_lshlrev_b64 v[36:37], v12, 1
	v_bfi_b32 v11, v11, 0, 0
	v_bfi_b32 v10, v10, 0, v60
	v_cmp_eq_u64_e64 s[20:21], v[10:11], v[36:37]
	v_lshrrev_b64 v[10:11], v16, v[60:61]
	v_mov_b32_e32 v12, v11
	v_mov_b32_e32 v11, v10
	s_and_saveexec_b64 s[30:31], s[20:21]
; %bb.2930:                             ;   in Loop: Header=BB6_126 Depth=2
	v_bfe_u32 v11, v10, 20, 1
	v_add_co_u32_e64 v11, s[20:21], v10, v11
	v_add_co_u32_e64 v11, s[20:21], -1, v11
; %bb.2931:                             ;   in Loop: Header=BB6_126 Depth=2
	s_or_b64 exec, exec, s[30:31]
	v_add_u32_e32 v12, 0xffffff81, v15
	v_cndmask_b32_e32 v12, v12, v41, vcc
	v_lshrrev_b32_e32 v15, 23, v10
	v_add3_u32 v16, v16, v12, v15
	v_add_u32_e32 v15, 6, v16
	v_and_b32_e32 v11, 0xfffff, v11
	v_add_u32_e32 v60, v11, v10
	v_cmp_ne_u32_e32 vcc, 0, v15
                                        ; implicit-def: $vgpr10_vgpr11
                                        ; implicit-def: $vgpr12
	s_and_saveexec_b64 s[20:21], vcc
	s_xor_b64 s[20:21], exec, s[20:21]
; %bb.2932:                             ;   in Loop: Header=BB6_126 Depth=2
	v_cmp_lt_u64_e32 vcc, s[76:77], v[60:61]
	v_add_u32_e32 v10, 7, v16
	v_cndmask_b32_e32 v12, v15, v10, vcc
	v_cndmask_b32_e64 v10, 0, 1, vcc
	v_lshrrev_b64 v[10:11], v10, v[60:61]
; %bb.2933:                             ;   in Loop: Header=BB6_126 Depth=2
	s_andn2_saveexec_b64 s[20:21], s[20:21]
; %bb.2934:                             ;   in Loop: Header=BB6_126 Depth=2
	v_mov_b32_e32 v10, v60
	v_bfe_u32 v12, v60, 23, 1
	v_mov_b32_e32 v11, v61
; %bb.2935:                             ;   in Loop: Header=BB6_126 Depth=2
	s_or_b64 exec, exec, s[20:21]
	v_lshrrev_b64 v[10:11], 20, v[10:11]
	v_cmp_gt_i32_e32 vcc, 16, v12
	v_cndmask_b32_e32 v11, 0, v11, vcc
	v_cndmask_b32_e32 v10, 7, v10, vcc
	v_cmp_eq_u64_e64 s[20:21], 0, v[10:11]
	v_min_i32_e32 v11, 15, v12
	v_lshlrev_b32_e32 v11, 3, v11
	v_cmp_eq_u32_e32 vcc, 0, v12
	v_and_b32_e32 v11, 0xf8, v11
	v_and_or_b32 v10, v10, 7, v11
	s_and_b64 s[20:21], vcc, s[20:21]
	v_cndmask_b32_e64 v10, v10, 0, s[20:21]
	v_or_b32_e32 v10, v10, v13
.LBB6_2936:                             ;   in Loop: Header=BB6_126 Depth=2
	s_or_b64 exec, exec, s[94:95]
                                        ; implicit-def: $vgpr13
.LBB6_2937:                             ;   in Loop: Header=BB6_126 Depth=2
	s_andn2_saveexec_b64 s[20:21], s[92:93]
; %bb.2938:                             ;   in Loop: Header=BB6_126 Depth=2
	v_or_b32_e32 v10, 0x7e, v13
; %bb.2939:                             ;   in Loop: Header=BB6_126 Depth=2
	s_or_b64 exec, exec, s[20:21]
                                        ; implicit-def: $vgpr15
.LBB6_2940:                             ;   in Loop: Header=BB6_126 Depth=2
	s_or_saveexec_b64 s[20:21], s[22:23]
	buffer_load_dword v19, off, s[0:3], s33 offset:116 ; 4-byte Folded Reload
	buffer_load_dword v37, off, s[0:3], s33 offset:120 ; 4-byte Folded Reload
	;; [unrolled: 1-line block ×4, first 2 shown]
	s_xor_b64 exec, exec, s[20:21]
	s_cbranch_execz .LBB6_125
; %bb.2941:                             ;   in Loop: Header=BB6_126 Depth=2
	v_or_b32_sdwa v10, v15, s54 dst_sel:DWORD dst_unused:UNUSED_PAD src0_sel:BYTE_3 src1_sel:DWORD
	s_branch .LBB6_125
.LBB6_2942:                             ;   in Loop: Header=BB6_49 Depth=1
	s_or_b64 exec, exec, s[26:27]
	buffer_load_dword v36, off, s[0:3], s33 offset:268 ; 4-byte Folded Reload
	buffer_load_dword v37, off, s[0:3], s33 offset:272 ; 4-byte Folded Reload
	;; [unrolled: 1-line block ×16, first 2 shown]
	v_mov_b32_e32 v51, 1
	v_mov_b32_e32 v52, 0xc8
	;; [unrolled: 1-line block ×3, first 2 shown]
	v_bfrev_b32_e32 v54, 1
	v_mov_b32_e32 v40, 0x7f800001
	s_waitcnt vmcnt(12)
	v_lshlrev_b32_e32 v39, 10, v0
.LBB6_2943:                             ;   in Loop: Header=BB6_49 Depth=1
	s_or_b64 exec, exec, s[24:25]
	s_waitcnt vmcnt(4)
	v_and_b32_e32 v0, 0x3ffff000, v55
	v_cmp_ne_u32_e32 vcc, v55, v0
	s_mov_b64 s[20:21], 0
	v_mov_b32_e32 v7, 0
                                        ; implicit-def: $vgpr3
                                        ; implicit-def: $vgpr2
	s_and_saveexec_b64 s[92:93], vcc
	s_cbranch_execz .LBB6_3653
; %bb.2944:                             ;   in Loop: Header=BB6_49 Depth=1
	buffer_load_dword v3, off, s[0:3], s33 offset:352 ; 4-byte Folded Reload
	v_lshlrev_b32_e32 v1, 6, v5
	v_and_b32_e32 v2, 0xfff, v55
	v_and_b32_e32 v5, 0x3ff, v55
	v_cmp_lt_u32_e64 s[20:21], 15, v5
	s_waitcnt vmcnt(0)
	v_sub_u32_e32 v1, v3, v1
	v_ashrrev_i32_e32 v3, 31, v1
	v_lshrrev_b32_e32 v3, 26, v3
	v_add_u32_e32 v3, v1, v3
	v_ashrrev_i32_e32 v6, 6, v3
	v_and_b32_e32 v3, 0xffffffc0, v3
	v_sub_u32_e32 v4, v1, v3
	v_lshlrev_b32_e32 v1, 4, v4
	v_lshl_add_u32 v1, v6, 10, v1
	v_sub_u32_e32 v7, v2, v1
	v_bfe_u32 v2, v55, 10, 2
	v_addc_co_u32_e64 v2, vcc, 0, v2, s[20:21]
	v_sub_u32_e32 v6, v2, v6
	v_cmp_lt_i32_e32 vcc, 15, v7
	s_and_saveexec_b64 s[94:95], vcc
	s_cbranch_execz .LBB6_3652
; %bb.2945:                             ;   in Loop: Header=BB6_49 Depth=1
	s_trap 2
	ds_read_b64 v[2:3], v0
	v_add_u32_e32 v8, v1, v0
	v_ashrrev_i32_e32 v9, 31, v8
	v_add_co_u32_e32 v0, vcc, v8, v56
	v_addc_co_u32_e32 v1, vcc, v9, v57, vcc
	s_waitcnt lgkmcnt(0)
	v_add_co_u32_e32 v18, vcc, v2, v8
	v_addc_co_u32_e32 v19, vcc, v3, v9, vcc
	v_add_co_u32_e32 v20, vcc, v8, v44
	s_bitcmp1_b32 s67, 0
	v_addc_co_u32_e32 v21, vcc, v9, v45, vcc
	s_mov_b64 s[30:31], 0
	s_cselect_b64 s[34:35], -1, 0
	s_branch .LBB6_2947
.LBB6_2946:                             ;   in Loop: Header=BB6_2947 Depth=2
	s_or_b64 exec, exec, s[22:23]
	v_lshl_or_b32 v11, v28, 8, v25
	v_lshlrev_b32_e32 v12, 16, v24
	v_lshlrev_b32_e32 v13, 24, v29
	v_or3_b32 v12, v11, v12, v13
	v_lshl_or_b32 v8, v9, 8, v8
	v_lshlrev_b32_e32 v9, 16, v26
	v_lshlrev_b32_e32 v11, 24, v27
	v_or3_b32 v11, v8, v9, v11
	;; [unrolled: 4-line block ×3, first 2 shown]
	v_lshlrev_b32_e32 v2, 24, v10
	v_lshlrev_b32_e32 v8, 16, v14
	v_lshl_or_b32 v3, v22, 8, v3
	v_or3_b32 v14, v3, v8, v2
	buffer_load_dword v2, off, s[0:3], s33 offset:100 ; 4-byte Folded Reload
	v_add_co_u32_e32 v0, vcc, v0, v39
	v_addc_co_u32_e32 v1, vcc, 0, v1, vcc
	v_add_co_u32_e32 v18, vcc, v18, v39
	v_addc_co_u32_e32 v19, vcc, 0, v19, vcc
	global_store_dwordx4 v[20:21], v[11:14], off glc slc
	v_add_co_u32_e32 v20, vcc, v20, v39
	v_addc_co_u32_e32 v21, vcc, 0, v21, vcc
	v_sub_u32_e32 v7, v7, v39
	v_cmp_gt_i32_e32 vcc, 16, v7
	s_or_b64 s[30:31], vcc, s[30:31]
	s_waitcnt vmcnt(1)
	v_sub_u32_e32 v6, v6, v2
	s_andn2_b64 exec, exec, s[30:31]
	s_cbranch_execz .LBB6_3651
.LBB6_2947:                             ;   Parent Loop BB6_49 Depth=1
                                        ; =>  This Inner Loop Header: Depth=2
	global_load_dwordx4 v[10:13], v[0:1], off glc slc
	global_load_dwordx4 v[14:17], v[18:19], off glc slc
	s_mov_b64 s[26:27], -1
	s_waitcnt vmcnt(1)
	v_cmp_ne_u16_sdwa s[24:25], v10, v61 src0_sel:BYTE_0 src1_sel:DWORD
	s_waitcnt vmcnt(0)
	v_and_b32_e32 v2, 7, v14
	v_ffbh_u32_e32 v2, v2
	v_and_b32_e32 v3, 0x7f, v14
	v_min_u32_e32 v2, 32, v2
	v_bfe_u32 v8, v14, 3, 4
	v_cmp_eq_u32_e64 s[22:23], s54, v3
	v_cmp_gt_u32_e32 vcc, 8, v3
	v_subrev_u32_e32 v3, 28, v2
	v_sub_u32_e32 v2, 29, v2
	v_cndmask_b32_e32 v8, v8, v2, vcc
	v_cndmask_b32_e32 v2, 0, v3, vcc
	v_lshlrev_b64 v[2:3], v2, v[14:15]
	v_lshlrev_b32_e32 v3, 24, v14
	v_lshlrev_b32_e32 v2, 20, v2
	v_and_b32_e32 v2, 0x700000, v2
	v_and_b32_e32 v3, 0x80000000, v3
	v_lshl_add_u32 v8, v8, 23, v62
	v_or3_b32 v2, v3, v8, v2
	s_and_b64 vcc, exec, s[34:35]
                                        ; implicit-def: $vgpr3
	s_cbranch_vccz .LBB6_2961
; %bb.2948:                             ;   in Loop: Header=BB6_2947 Depth=2
	v_mov_b32_e32 v3, 0
	s_and_saveexec_b64 s[26:27], s[24:25]
	s_cbranch_execz .LBB6_2954
; %bb.2949:                             ;   in Loop: Header=BB6_2947 Depth=2
	v_cmp_ne_u16_sdwa vcc, v10, s53 src0_sel:BYTE_0 src1_sel:DWORD
	v_bfrev_b32_e32 v3, 1
	s_and_saveexec_b64 s[28:29], vcc
	s_cbranch_execz .LBB6_2953
; %bb.2950:                             ;   in Loop: Header=BB6_2947 Depth=2
	v_and_b32_e32 v8, 0x7f, v10
	v_cmp_ne_u32_e32 vcc, s54, v8
	v_mov_b32_e32 v3, 0x7f800001
	s_and_saveexec_b64 s[36:37], vcc
	s_cbranch_execz .LBB6_2952
; %bb.2951:                             ;   in Loop: Header=BB6_2947 Depth=2
	v_and_b32_e32 v3, 7, v10
	v_ffbh_u32_e32 v3, v3
	v_min_u32_e32 v3, 32, v3
	v_lshrrev_b32_e32 v9, 3, v8
	v_cmp_gt_u32_e32 vcc, 8, v8
	v_subrev_u32_e32 v8, 28, v3
	v_sub_u32_e32 v3, 29, v3
	v_cndmask_b32_e32 v8, 0, v8, vcc
	v_cndmask_b32_e32 v3, v9, v3, vcc
	v_lshlrev_b64 v[8:9], v8, v[10:11]
	v_lshlrev_b32_e32 v9, 24, v10
	v_lshlrev_b32_e32 v8, 20, v8
	v_and_b32_e32 v8, 0x700000, v8
	v_and_b32_e32 v9, 0x80000000, v9
	v_lshl_add_u32 v3, v3, 23, v62
	v_or3_b32 v3, v9, v3, v8
.LBB6_2952:                             ;   in Loop: Header=BB6_2947 Depth=2
	s_or_b64 exec, exec, s[36:37]
.LBB6_2953:                             ;   in Loop: Header=BB6_2947 Depth=2
	s_or_b64 exec, exec, s[28:29]
.LBB6_2954:                             ;   in Loop: Header=BB6_2947 Depth=2
	s_or_b64 exec, exec, s[26:27]
	v_cmp_gt_i16_sdwa s[28:29], v14, s54 src0_sel:BYTE_0 src1_sel:DWORD
	s_mov_b64 s[26:27], 0
	s_and_saveexec_b64 vcc, s[28:29]
	s_xor_b64 s[28:29], exec, vcc
	s_cbranch_execz .LBB6_3603
; %bb.2955:                             ;   in Loop: Header=BB6_2947 Depth=2
	v_cmp_eq_u16_sdwa s[36:37], v14, s53 src0_sel:BYTE_0 src1_sel:DWORD
	s_mov_b64 s[26:27], -1
	s_and_saveexec_b64 vcc, s[36:37]
; %bb.2956:                             ;   in Loop: Header=BB6_2947 Depth=2
	s_xor_b64 s[26:27], exec, -1
; %bb.2957:                             ;   in Loop: Header=BB6_2947 Depth=2
	s_or_b64 exec, exec, vcc
	s_and_b64 s[26:27], s[26:27], exec
	s_or_saveexec_b64 s[28:29], s[28:29]
	v_bfrev_b32_e32 v8, 1
	s_xor_b64 exec, exec, s[28:29]
	s_cbranch_execnz .LBB6_3604
.LBB6_2958:                             ;   in Loop: Header=BB6_2947 Depth=2
	s_or_b64 exec, exec, s[28:29]
	s_and_saveexec_b64 s[28:29], s[26:27]
.LBB6_2959:                             ;   in Loop: Header=BB6_2947 Depth=2
	v_cndmask_b32_e64 v8, v2, v40, s[22:23]
.LBB6_2960:                             ;   in Loop: Header=BB6_2947 Depth=2
	s_or_b64 exec, exec, s[28:29]
	v_max_f32_e32 v8, v8, v8
	v_max_f32_e32 v3, v3, v3
	;; [unrolled: 1-line block ×3, first 2 shown]
	s_mov_b64 s[26:27], 0
.LBB6_2961:                             ;   in Loop: Header=BB6_2947 Depth=2
	s_and_b64 vcc, exec, s[26:27]
	s_cbranch_vccz .LBB6_2975
; %bb.2962:                             ;   in Loop: Header=BB6_2947 Depth=2
	v_mov_b32_e32 v3, 0
	s_and_saveexec_b64 s[26:27], s[24:25]
	s_cbranch_execz .LBB6_2968
; %bb.2963:                             ;   in Loop: Header=BB6_2947 Depth=2
	v_cmp_ne_u16_sdwa s[28:29], v10, s53 src0_sel:BYTE_0 src1_sel:DWORD
	v_bfrev_b32_e32 v3, 1
	s_and_saveexec_b64 s[24:25], s[28:29]
	s_cbranch_execz .LBB6_2967
; %bb.2964:                             ;   in Loop: Header=BB6_2947 Depth=2
	v_and_b32_e32 v8, 0x7f, v10
	v_cmp_ne_u32_e32 vcc, s54, v8
	v_mov_b32_e32 v3, 0x7f800001
	s_and_saveexec_b64 s[28:29], vcc
	s_cbranch_execz .LBB6_2966
; %bb.2965:                             ;   in Loop: Header=BB6_2947 Depth=2
	v_and_b32_e32 v3, 7, v10
	v_ffbh_u32_e32 v3, v3
	v_min_u32_e32 v3, 32, v3
	v_lshrrev_b32_e32 v9, 3, v8
	v_cmp_gt_u32_e32 vcc, 8, v8
	v_subrev_u32_e32 v8, 28, v3
	v_sub_u32_e32 v3, 29, v3
	v_cndmask_b32_e32 v8, 0, v8, vcc
	v_cndmask_b32_e32 v3, v9, v3, vcc
	v_lshlrev_b64 v[8:9], v8, v[10:11]
	v_lshlrev_b32_e32 v9, 24, v10
	v_lshlrev_b32_e32 v8, 20, v8
	v_and_b32_e32 v8, 0x700000, v8
	v_and_b32_e32 v9, 0x80000000, v9
	v_lshl_add_u32 v3, v3, 23, v62
	v_or3_b32 v3, v9, v3, v8
.LBB6_2966:                             ;   in Loop: Header=BB6_2947 Depth=2
	s_or_b64 exec, exec, s[28:29]
.LBB6_2967:                             ;   in Loop: Header=BB6_2947 Depth=2
	s_or_b64 exec, exec, s[24:25]
.LBB6_2968:                             ;   in Loop: Header=BB6_2947 Depth=2
	s_or_b64 exec, exec, s[26:27]
	v_cmp_gt_i16_sdwa s[26:27], v14, s54 src0_sel:BYTE_0 src1_sel:DWORD
	s_mov_b64 s[24:25], 0
	s_and_saveexec_b64 s[28:29], s[26:27]
	s_xor_b64 s[26:27], exec, s[28:29]
	s_cbranch_execz .LBB6_3605
; %bb.2969:                             ;   in Loop: Header=BB6_2947 Depth=2
	v_cmp_eq_u16_sdwa vcc, v14, s53 src0_sel:BYTE_0 src1_sel:DWORD
	s_mov_b64 s[24:25], -1
	s_and_saveexec_b64 s[28:29], vcc
; %bb.2970:                             ;   in Loop: Header=BB6_2947 Depth=2
	s_xor_b64 s[24:25], exec, -1
; %bb.2971:                             ;   in Loop: Header=BB6_2947 Depth=2
	s_or_b64 exec, exec, s[28:29]
	s_and_b64 s[24:25], s[24:25], exec
	s_or_saveexec_b64 s[26:27], s[26:27]
	v_bfrev_b32_e32 v8, 1
	s_xor_b64 exec, exec, s[26:27]
	s_cbranch_execnz .LBB6_3606
.LBB6_2972:                             ;   in Loop: Header=BB6_2947 Depth=2
	s_or_b64 exec, exec, s[26:27]
	s_and_saveexec_b64 s[26:27], s[24:25]
.LBB6_2973:                             ;   in Loop: Header=BB6_2947 Depth=2
	v_cndmask_b32_e64 v8, v2, v40, s[22:23]
.LBB6_2974:                             ;   in Loop: Header=BB6_2947 Depth=2
	s_or_b64 exec, exec, s[26:27]
	v_max_f32_e32 v2, v8, v8
	v_max_f32_e32 v3, v3, v3
	v_min_f32_e32 v3, v3, v2
.LBB6_2975:                             ;   in Loop: Header=BB6_2947 Depth=2
	v_and_b32_e32 v60, 0x7f800000, v3
	v_cmp_ne_u64_e32 vcc, s[72:73], v[60:61]
                                        ; implicit-def: $vgpr8
	s_and_saveexec_b64 s[22:23], vcc
	s_xor_b64 s[24:25], exec, s[22:23]
	s_cbranch_execz .LBB6_2989
; %bb.2976:                             ;   in Loop: Header=BB6_2947 Depth=2
	v_and_b32_e32 v60, 0x7fffffff, v3
	v_cmp_gt_u64_e32 vcc, s[74:75], v[60:61]
	v_and_b32_sdwa v2, v3, s53 dst_sel:DWORD dst_unused:UNUSED_PAD src0_sel:BYTE_3 src1_sel:DWORD
                                        ; implicit-def: $vgpr8
	s_and_saveexec_b64 s[22:23], vcc
	s_xor_b64 s[26:27], exec, s[22:23]
	s_cbranch_execz .LBB6_2986
; %bb.2977:                             ;   in Loop: Header=BB6_2947 Depth=2
	v_mov_b32_e32 v8, 0
	v_cmp_ne_u32_e32 vcc, 0, v3
	s_and_saveexec_b64 s[28:29], vcc
	s_cbranch_execz .LBB6_2985
; %bb.2978:                             ;   in Loop: Header=BB6_2947 Depth=2
	v_and_b32_e32 v9, 0x7fffff, v3
	v_bfe_u32 v3, v3, 23, 8
	v_cmp_gt_u32_e64 s[22:23], s64, v3
	v_sub_u32_e32 v8, 0x79, v3
	v_cmp_eq_u32_e32 vcc, 0, v3
	v_cndmask_b32_e64 v8, 0, v8, s[22:23]
	v_mov_b32_e32 v23, 0x78
	v_or_b32_e32 v22, 0x800000, v9
	v_cndmask_b32_e32 v8, v8, v23, vcc
	v_cndmask_b32_e32 v60, v22, v9, vcc
	v_add_u32_e32 v9, 20, v8
	v_lshlrev_b64 v[22:23], v9, -1
	v_add_u32_e32 v9, 19, v8
	v_lshlrev_b64 v[24:25], v9, 1
	v_bfi_b32 v23, v23, 0, 0
	v_bfi_b32 v22, v22, 0, v60
	v_cmp_eq_u64_e64 s[22:23], v[22:23], v[24:25]
	v_lshrrev_b64 v[22:23], v8, v[60:61]
	v_mov_b32_e32 v24, v23
	v_mov_b32_e32 v23, v22
	s_and_saveexec_b64 s[36:37], s[22:23]
; %bb.2979:                             ;   in Loop: Header=BB6_2947 Depth=2
	v_bfe_u32 v9, v22, 20, 1
	v_add_co_u32_e64 v9, s[22:23], v22, v9
	v_add_co_u32_e64 v23, s[22:23], -1, v9
; %bb.2980:                             ;   in Loop: Header=BB6_2947 Depth=2
	s_or_b64 exec, exec, s[36:37]
	v_add_u32_e32 v3, 0xffffff81, v3
	v_cndmask_b32_e32 v3, v3, v41, vcc
	v_lshrrev_b32_e32 v9, 23, v22
	v_add3_u32 v9, v8, v3, v9
	v_add_u32_e32 v8, 6, v9
	v_and_b32_e32 v3, 0xfffff, v23
	v_add_u32_e32 v60, v3, v22
	v_cmp_ne_u32_e32 vcc, 0, v8
                                        ; implicit-def: $vgpr22_vgpr23
                                        ; implicit-def: $vgpr3
	s_and_saveexec_b64 s[22:23], vcc
	s_xor_b64 s[22:23], exec, s[22:23]
; %bb.2981:                             ;   in Loop: Header=BB6_2947 Depth=2
	v_cmp_lt_u64_e32 vcc, s[76:77], v[60:61]
	v_add_u32_e32 v3, 7, v9
	v_cndmask_b32_e32 v3, v8, v3, vcc
	v_cndmask_b32_e64 v8, 0, 1, vcc
	v_lshrrev_b64 v[22:23], v8, v[60:61]
; %bb.2982:                             ;   in Loop: Header=BB6_2947 Depth=2
	s_andn2_saveexec_b64 s[22:23], s[22:23]
; %bb.2983:                             ;   in Loop: Header=BB6_2947 Depth=2
	v_mov_b32_e32 v22, v60
	v_bfe_u32 v3, v60, 23, 1
	v_mov_b32_e32 v23, v61
; %bb.2984:                             ;   in Loop: Header=BB6_2947 Depth=2
	s_or_b64 exec, exec, s[22:23]
	v_lshrrev_b64 v[8:9], 20, v[22:23]
	v_cmp_gt_i32_e32 vcc, 16, v3
	v_cndmask_b32_e32 v9, 0, v9, vcc
	v_cndmask_b32_e32 v8, 7, v8, vcc
	v_cmp_eq_u32_e32 vcc, 0, v3
	v_min_i32_e32 v3, 15, v3
	v_cmp_eq_u64_e64 s[22:23], 0, v[8:9]
	v_lshlrev_b32_e32 v3, 3, v3
	v_and_b32_e32 v3, 0xf8, v3
	v_and_or_b32 v3, v8, 7, v3
	s_and_b64 s[22:23], vcc, s[22:23]
	v_cndmask_b32_e64 v3, v3, 0, s[22:23]
	v_or_b32_e32 v8, v3, v2
.LBB6_2985:                             ;   in Loop: Header=BB6_2947 Depth=2
	s_or_b64 exec, exec, s[28:29]
                                        ; implicit-def: $vgpr2
.LBB6_2986:                             ;   in Loop: Header=BB6_2947 Depth=2
	s_andn2_saveexec_b64 s[22:23], s[26:27]
; %bb.2987:                             ;   in Loop: Header=BB6_2947 Depth=2
	v_or_b32_e32 v8, 0x7e, v2
; %bb.2988:                             ;   in Loop: Header=BB6_2947 Depth=2
	s_or_b64 exec, exec, s[22:23]
                                        ; implicit-def: $vgpr3
.LBB6_2989:                             ;   in Loop: Header=BB6_2947 Depth=2
	s_andn2_saveexec_b64 s[22:23], s[24:25]
; %bb.2990:                             ;   in Loop: Header=BB6_2947 Depth=2
	v_or_b32_sdwa v8, v3, s54 dst_sel:DWORD dst_unused:UNUSED_PAD src0_sel:BYTE_3 src1_sel:DWORD
; %bb.2991:                             ;   in Loop: Header=BB6_2947 Depth=2
	s_or_b64 exec, exec, s[22:23]
	v_lshrrev_b16_e32 v60, 8, v14
	v_and_b32_e32 v9, 7, v60
	v_and_b32_e32 v2, 0x7f, v60
	v_cmp_eq_u32_e64 s[22:23], s54, v2
	v_cmp_gt_u32_e32 vcc, 8, v2
	v_ffbh_u32_e32 v2, v9
	v_min_u32_e32 v23, 32, v2
	v_subrev_u32_e32 v2, 28, v23
	v_lshlrev_b64 v[2:3], v2, v[60:61]
	v_bfe_u32 v22, v60, 3, 4
	v_sub_u32_e32 v3, 29, v23
	v_and_b32_e32 v2, 7, v2
	v_cndmask_b32_e32 v3, v22, v3, vcc
	v_cndmask_b32_e32 v2, v9, v2, vcc
	v_lshlrev_b32_e32 v9, 24, v60
	v_lshlrev_b32_e32 v2, 20, v2
	v_and_b32_e32 v9, 0x80000000, v9
	v_lshl_add_u32 v3, v3, 23, v62
	v_lshrrev_b16_e32 v22, 8, v10
	v_or3_b32 v2, v9, v3, v2
	v_cmp_ne_u16_e64 s[24:25], 0, v22
	s_mov_b64 s[26:27], -1
	s_and_b64 vcc, exec, s[34:35]
                                        ; implicit-def: $vgpr3
	s_cbranch_vccz .LBB6_3005
; %bb.2992:                             ;   in Loop: Header=BB6_2947 Depth=2
	v_mov_b32_e32 v3, 0
	s_and_saveexec_b64 s[26:27], s[24:25]
	s_cbranch_execz .LBB6_2998
; %bb.2993:                             ;   in Loop: Header=BB6_2947 Depth=2
	v_cmp_ne_u16_e32 vcc, s53, v22
	v_bfrev_b32_e32 v3, 1
	s_and_saveexec_b64 s[28:29], vcc
	s_cbranch_execz .LBB6_2997
; %bb.2994:                             ;   in Loop: Header=BB6_2947 Depth=2
	v_and_b32_e32 v9, 0x7f, v22
	v_cmp_ne_u32_e32 vcc, s54, v9
	v_mov_b32_e32 v3, 0x7f800001
	s_and_saveexec_b64 s[36:37], vcc
	s_cbranch_execz .LBB6_2996
; %bb.2995:                             ;   in Loop: Header=BB6_2947 Depth=2
	v_and_b32_e32 v3, 7, v22
	v_lshrrev_b32_e32 v25, 3, v9
	v_cmp_gt_u32_e32 vcc, 8, v9
	v_ffbh_u32_e32 v9, v3
	v_min_u32_e32 v9, 32, v9
	v_subrev_u32_e32 v23, 28, v9
	v_lshlrev_b64 v[23:24], v23, v[22:23]
	v_sub_u32_e32 v9, 29, v9
	v_and_b32_e32 v23, 7, v23
	v_cndmask_b32_e32 v9, v25, v9, vcc
	v_cndmask_b32_e32 v3, v3, v23, vcc
	v_lshlrev_b32_e32 v23, 16, v10
	v_lshlrev_b32_e32 v3, 20, v3
	v_and_b32_e32 v23, 0x80000000, v23
	v_lshl_add_u32 v9, v9, 23, v62
	v_or3_b32 v3, v23, v9, v3
.LBB6_2996:                             ;   in Loop: Header=BB6_2947 Depth=2
	s_or_b64 exec, exec, s[36:37]
.LBB6_2997:                             ;   in Loop: Header=BB6_2947 Depth=2
	s_or_b64 exec, exec, s[28:29]
.LBB6_2998:                             ;   in Loop: Header=BB6_2947 Depth=2
	s_or_b64 exec, exec, s[26:27]
	v_cmp_lt_i16_e32 vcc, s54, v60
	s_mov_b64 s[26:27], 0
	s_and_saveexec_b64 s[28:29], vcc
	s_xor_b64 s[28:29], exec, s[28:29]
	s_cbranch_execz .LBB6_3607
; %bb.2999:                             ;   in Loop: Header=BB6_2947 Depth=2
	v_cmp_eq_u16_e32 vcc, s53, v60
	s_mov_b64 s[26:27], -1
	s_and_saveexec_b64 s[36:37], vcc
; %bb.3000:                             ;   in Loop: Header=BB6_2947 Depth=2
	s_xor_b64 s[26:27], exec, -1
; %bb.3001:                             ;   in Loop: Header=BB6_2947 Depth=2
	s_or_b64 exec, exec, s[36:37]
	s_and_b64 s[26:27], s[26:27], exec
	s_or_saveexec_b64 s[28:29], s[28:29]
	v_bfrev_b32_e32 v9, 1
	s_xor_b64 exec, exec, s[28:29]
	s_cbranch_execnz .LBB6_3608
.LBB6_3002:                             ;   in Loop: Header=BB6_2947 Depth=2
	s_or_b64 exec, exec, s[28:29]
	s_and_saveexec_b64 s[28:29], s[26:27]
.LBB6_3003:                             ;   in Loop: Header=BB6_2947 Depth=2
	v_cndmask_b32_e64 v9, v2, v40, s[22:23]
.LBB6_3004:                             ;   in Loop: Header=BB6_2947 Depth=2
	s_or_b64 exec, exec, s[28:29]
	v_max_f32_e32 v9, v9, v9
	v_max_f32_e32 v3, v3, v3
	;; [unrolled: 1-line block ×3, first 2 shown]
	s_mov_b64 s[26:27], 0
.LBB6_3005:                             ;   in Loop: Header=BB6_2947 Depth=2
	s_and_b64 vcc, exec, s[26:27]
	s_cbranch_vccz .LBB6_3019
; %bb.3006:                             ;   in Loop: Header=BB6_2947 Depth=2
	v_mov_b32_e32 v3, 0
	s_and_saveexec_b64 s[26:27], s[24:25]
	s_cbranch_execz .LBB6_3012
; %bb.3007:                             ;   in Loop: Header=BB6_2947 Depth=2
	v_cmp_ne_u16_e32 vcc, s53, v22
	v_bfrev_b32_e32 v3, 1
	s_and_saveexec_b64 s[24:25], vcc
	s_cbranch_execz .LBB6_3011
; %bb.3008:                             ;   in Loop: Header=BB6_2947 Depth=2
	v_and_b32_e32 v9, 0x7f, v22
	v_cmp_ne_u32_e32 vcc, s54, v9
	v_mov_b32_e32 v3, 0x7f800001
	s_and_saveexec_b64 s[28:29], vcc
	s_cbranch_execz .LBB6_3010
; %bb.3009:                             ;   in Loop: Header=BB6_2947 Depth=2
	v_and_b32_e32 v3, 7, v22
	v_lshrrev_b32_e32 v24, 3, v9
	v_cmp_gt_u32_e32 vcc, 8, v9
	v_ffbh_u32_e32 v9, v3
	v_min_u32_e32 v9, 32, v9
	v_subrev_u32_e32 v23, 28, v9
	v_lshlrev_b64 v[22:23], v23, v[22:23]
	v_sub_u32_e32 v9, 29, v9
	v_and_b32_e32 v22, 7, v22
	v_cndmask_b32_e32 v9, v24, v9, vcc
	v_cndmask_b32_e32 v3, v3, v22, vcc
	v_lshlrev_b32_e32 v22, 16, v10
	v_lshlrev_b32_e32 v3, 20, v3
	v_and_b32_e32 v22, 0x80000000, v22
	v_lshl_add_u32 v9, v9, 23, v62
	v_or3_b32 v3, v22, v9, v3
.LBB6_3010:                             ;   in Loop: Header=BB6_2947 Depth=2
	s_or_b64 exec, exec, s[28:29]
.LBB6_3011:                             ;   in Loop: Header=BB6_2947 Depth=2
	s_or_b64 exec, exec, s[24:25]
.LBB6_3012:                             ;   in Loop: Header=BB6_2947 Depth=2
	s_or_b64 exec, exec, s[26:27]
	v_cmp_lt_i16_e32 vcc, s54, v60
	s_mov_b64 s[24:25], 0
	s_and_saveexec_b64 s[26:27], vcc
	s_xor_b64 s[26:27], exec, s[26:27]
	s_cbranch_execz .LBB6_3609
; %bb.3013:                             ;   in Loop: Header=BB6_2947 Depth=2
	v_cmp_eq_u16_e32 vcc, s53, v60
	s_mov_b64 s[24:25], -1
	s_and_saveexec_b64 s[28:29], vcc
; %bb.3014:                             ;   in Loop: Header=BB6_2947 Depth=2
	s_xor_b64 s[24:25], exec, -1
; %bb.3015:                             ;   in Loop: Header=BB6_2947 Depth=2
	s_or_b64 exec, exec, s[28:29]
	s_and_b64 s[24:25], s[24:25], exec
	s_or_saveexec_b64 s[26:27], s[26:27]
	v_bfrev_b32_e32 v9, 1
	s_xor_b64 exec, exec, s[26:27]
	s_cbranch_execnz .LBB6_3610
.LBB6_3016:                             ;   in Loop: Header=BB6_2947 Depth=2
	s_or_b64 exec, exec, s[26:27]
	s_and_saveexec_b64 s[26:27], s[24:25]
.LBB6_3017:                             ;   in Loop: Header=BB6_2947 Depth=2
	v_cndmask_b32_e64 v9, v2, v40, s[22:23]
.LBB6_3018:                             ;   in Loop: Header=BB6_2947 Depth=2
	s_or_b64 exec, exec, s[26:27]
	v_max_f32_e32 v2, v9, v9
	v_max_f32_e32 v3, v3, v3
	v_min_f32_e32 v3, v3, v2
.LBB6_3019:                             ;   in Loop: Header=BB6_2947 Depth=2
	v_and_b32_e32 v60, 0x7f800000, v3
	v_cmp_ne_u64_e32 vcc, s[72:73], v[60:61]
                                        ; implicit-def: $vgpr9
	s_and_saveexec_b64 s[22:23], vcc
	s_xor_b64 s[24:25], exec, s[22:23]
	s_cbranch_execz .LBB6_3033
; %bb.3020:                             ;   in Loop: Header=BB6_2947 Depth=2
	v_and_b32_e32 v60, 0x7fffffff, v3
	v_cmp_gt_u64_e32 vcc, s[74:75], v[60:61]
	v_and_b32_sdwa v2, v3, s53 dst_sel:DWORD dst_unused:UNUSED_PAD src0_sel:BYTE_3 src1_sel:DWORD
                                        ; implicit-def: $vgpr9
	s_and_saveexec_b64 s[22:23], vcc
	s_xor_b64 s[26:27], exec, s[22:23]
	s_cbranch_execz .LBB6_3030
; %bb.3021:                             ;   in Loop: Header=BB6_2947 Depth=2
	v_mov_b32_e32 v9, 0
	v_cmp_ne_u32_e32 vcc, 0, v3
	s_and_saveexec_b64 s[28:29], vcc
	s_cbranch_execz .LBB6_3029
; %bb.3022:                             ;   in Loop: Header=BB6_2947 Depth=2
	v_and_b32_e32 v22, 0x7fffff, v3
	v_bfe_u32 v3, v3, 23, 8
	v_cmp_gt_u32_e64 s[22:23], s64, v3
	v_sub_u32_e32 v9, 0x79, v3
	v_cmp_eq_u32_e32 vcc, 0, v3
	v_cndmask_b32_e64 v9, 0, v9, s[22:23]
	v_mov_b32_e32 v24, 0x78
	v_or_b32_e32 v23, 0x800000, v22
	v_cndmask_b32_e32 v9, v9, v24, vcc
	v_cndmask_b32_e32 v60, v23, v22, vcc
	v_add_u32_e32 v22, 20, v9
	v_lshlrev_b64 v[22:23], v22, -1
	v_add_u32_e32 v24, 19, v9
	v_lshlrev_b64 v[24:25], v24, 1
	v_bfi_b32 v23, v23, 0, 0
	v_bfi_b32 v22, v22, 0, v60
	v_cmp_eq_u64_e64 s[22:23], v[22:23], v[24:25]
	v_lshrrev_b64 v[22:23], v9, v[60:61]
	v_mov_b32_e32 v24, v23
	v_mov_b32_e32 v23, v22
	s_and_saveexec_b64 s[36:37], s[22:23]
; %bb.3023:                             ;   in Loop: Header=BB6_2947 Depth=2
	v_bfe_u32 v23, v22, 20, 1
	v_add_co_u32_e64 v23, s[22:23], v22, v23
	v_add_co_u32_e64 v23, s[22:23], -1, v23
; %bb.3024:                             ;   in Loop: Header=BB6_2947 Depth=2
	s_or_b64 exec, exec, s[36:37]
	v_add_u32_e32 v3, 0xffffff81, v3
	v_cndmask_b32_e32 v3, v3, v41, vcc
	v_lshrrev_b32_e32 v24, 23, v22
	v_add3_u32 v24, v9, v3, v24
	v_add_u32_e32 v9, 6, v24
	v_and_b32_e32 v3, 0xfffff, v23
	v_add_u32_e32 v60, v3, v22
	v_cmp_ne_u32_e32 vcc, 0, v9
                                        ; implicit-def: $vgpr22_vgpr23
                                        ; implicit-def: $vgpr3
	s_and_saveexec_b64 s[22:23], vcc
	s_xor_b64 s[22:23], exec, s[22:23]
; %bb.3025:                             ;   in Loop: Header=BB6_2947 Depth=2
	v_cmp_lt_u64_e32 vcc, s[76:77], v[60:61]
	v_add_u32_e32 v3, 7, v24
	v_cndmask_b32_e32 v3, v9, v3, vcc
	v_cndmask_b32_e64 v9, 0, 1, vcc
	v_lshrrev_b64 v[22:23], v9, v[60:61]
; %bb.3026:                             ;   in Loop: Header=BB6_2947 Depth=2
	s_andn2_saveexec_b64 s[22:23], s[22:23]
; %bb.3027:                             ;   in Loop: Header=BB6_2947 Depth=2
	v_mov_b32_e32 v22, v60
	v_bfe_u32 v3, v60, 23, 1
	v_mov_b32_e32 v23, v61
; %bb.3028:                             ;   in Loop: Header=BB6_2947 Depth=2
	s_or_b64 exec, exec, s[22:23]
	v_lshrrev_b64 v[22:23], 20, v[22:23]
	v_cmp_gt_i32_e32 vcc, 16, v3
	v_cndmask_b32_e32 v23, 0, v23, vcc
	v_cndmask_b32_e32 v22, 7, v22, vcc
	v_cmp_eq_u32_e32 vcc, 0, v3
	v_min_i32_e32 v3, 15, v3
	v_cmp_eq_u64_e64 s[22:23], 0, v[22:23]
	v_lshlrev_b32_e32 v3, 3, v3
	v_and_b32_e32 v3, 0xf8, v3
	v_and_or_b32 v3, v22, 7, v3
	s_and_b64 s[22:23], vcc, s[22:23]
	v_cndmask_b32_e64 v3, v3, 0, s[22:23]
	v_or_b32_e32 v9, v3, v2
.LBB6_3029:                             ;   in Loop: Header=BB6_2947 Depth=2
	s_or_b64 exec, exec, s[28:29]
                                        ; implicit-def: $vgpr2
.LBB6_3030:                             ;   in Loop: Header=BB6_2947 Depth=2
	s_andn2_saveexec_b64 s[22:23], s[26:27]
; %bb.3031:                             ;   in Loop: Header=BB6_2947 Depth=2
	v_or_b32_e32 v9, 0x7e, v2
; %bb.3032:                             ;   in Loop: Header=BB6_2947 Depth=2
	s_or_b64 exec, exec, s[22:23]
                                        ; implicit-def: $vgpr3
.LBB6_3033:                             ;   in Loop: Header=BB6_2947 Depth=2
	s_andn2_saveexec_b64 s[22:23], s[24:25]
; %bb.3034:                             ;   in Loop: Header=BB6_2947 Depth=2
	v_or_b32_sdwa v9, v3, s54 dst_sel:DWORD dst_unused:UNUSED_PAD src0_sel:BYTE_3 src1_sel:DWORD
; %bb.3035:                             ;   in Loop: Header=BB6_2947 Depth=2
	s_or_b64 exec, exec, s[22:23]
	v_bfe_u32 v23, v14, 16, 3
	v_bfe_u32 v2, v14, 16, 7
	v_cmp_eq_u32_e64 s[22:23], s54, v2
	v_cmp_gt_u32_e32 vcc, 8, v2
	v_ffbh_u32_e32 v2, v23
	v_min_u32_e32 v25, 32, v2
	v_lshrrev_b32_e32 v22, 16, v14
	v_subrev_u32_e32 v2, 28, v25
	v_lshlrev_b64 v[2:3], v2, v[22:23]
	v_bfe_u32 v24, v22, 3, 4
	v_sub_u32_e32 v3, 29, v25
	v_and_b32_e32 v2, 7, v2
	v_cndmask_b32_e32 v3, v24, v3, vcc
	v_cndmask_b32_e32 v2, v23, v2, vcc
	v_lshlrev_b32_e32 v23, 8, v14
	v_lshlrev_b32_e32 v2, 20, v2
	v_and_b32_e32 v23, 0x80000000, v23
	v_lshl_add_u32 v3, v3, 23, v62
	v_or3_b32 v2, v23, v3, v2
	v_lshrrev_b32_e32 v23, 16, v10
	v_cmp_ne_u16_sdwa s[24:25], v23, v61 src0_sel:BYTE_0 src1_sel:DWORD
	s_mov_b64 s[26:27], -1
	s_and_b64 vcc, exec, s[34:35]
                                        ; implicit-def: $vgpr3
	s_cbranch_vccz .LBB6_3049
; %bb.3036:                             ;   in Loop: Header=BB6_2947 Depth=2
	v_mov_b32_e32 v3, 0
	s_and_saveexec_b64 s[26:27], s[24:25]
	s_cbranch_execz .LBB6_3042
; %bb.3037:                             ;   in Loop: Header=BB6_2947 Depth=2
	v_cmp_ne_u16_sdwa vcc, v23, s53 src0_sel:BYTE_0 src1_sel:DWORD
	v_bfrev_b32_e32 v3, 1
	s_and_saveexec_b64 s[28:29], vcc
	s_cbranch_execz .LBB6_3041
; %bb.3038:                             ;   in Loop: Header=BB6_2947 Depth=2
	v_bfe_u32 v24, v10, 16, 7
	v_cmp_ne_u32_e32 vcc, s54, v24
	v_mov_b32_e32 v3, 0x7f800001
	s_and_saveexec_b64 s[36:37], vcc
	s_cbranch_execz .LBB6_3040
; %bb.3039:                             ;   in Loop: Header=BB6_2947 Depth=2
	v_and_b32_e32 v3, 7, v23
	v_lshrrev_b32_e32 v26, 3, v24
	v_cmp_gt_u32_e32 vcc, 8, v24
	v_ffbh_u32_e32 v24, v3
	v_min_u32_e32 v27, 32, v24
	v_subrev_u32_e32 v24, 28, v27
	v_lshlrev_b64 v[24:25], v24, v[23:24]
	v_sub_u32_e32 v25, 29, v27
	v_and_b32_e32 v24, 7, v24
	v_cndmask_b32_e32 v25, v26, v25, vcc
	v_cndmask_b32_e32 v3, v3, v24, vcc
	v_lshlrev_b32_e32 v24, 24, v23
	v_lshlrev_b32_e32 v3, 20, v3
	v_and_b32_e32 v24, 0x80000000, v24
	v_lshl_add_u32 v25, v25, 23, v62
	v_or3_b32 v3, v24, v25, v3
.LBB6_3040:                             ;   in Loop: Header=BB6_2947 Depth=2
	s_or_b64 exec, exec, s[36:37]
.LBB6_3041:                             ;   in Loop: Header=BB6_2947 Depth=2
	s_or_b64 exec, exec, s[28:29]
.LBB6_3042:                             ;   in Loop: Header=BB6_2947 Depth=2
	s_or_b64 exec, exec, s[26:27]
	v_cmp_gt_i16_sdwa s[28:29], v22, s54 src0_sel:BYTE_0 src1_sel:DWORD
	s_mov_b64 s[26:27], 0
	s_and_saveexec_b64 vcc, s[28:29]
	s_xor_b64 s[28:29], exec, vcc
	s_cbranch_execz .LBB6_3611
; %bb.3043:                             ;   in Loop: Header=BB6_2947 Depth=2
	v_cmp_eq_u16_sdwa s[36:37], v22, s53 src0_sel:BYTE_0 src1_sel:DWORD
	s_mov_b64 s[26:27], -1
	s_and_saveexec_b64 vcc, s[36:37]
; %bb.3044:                             ;   in Loop: Header=BB6_2947 Depth=2
	s_xor_b64 s[26:27], exec, -1
; %bb.3045:                             ;   in Loop: Header=BB6_2947 Depth=2
	s_or_b64 exec, exec, vcc
	s_and_b64 s[26:27], s[26:27], exec
	s_or_saveexec_b64 s[28:29], s[28:29]
	v_bfrev_b32_e32 v24, 1
	s_xor_b64 exec, exec, s[28:29]
	s_cbranch_execnz .LBB6_3612
.LBB6_3046:                             ;   in Loop: Header=BB6_2947 Depth=2
	s_or_b64 exec, exec, s[28:29]
	s_and_saveexec_b64 s[28:29], s[26:27]
.LBB6_3047:                             ;   in Loop: Header=BB6_2947 Depth=2
	v_cndmask_b32_e64 v24, v2, v40, s[22:23]
.LBB6_3048:                             ;   in Loop: Header=BB6_2947 Depth=2
	s_or_b64 exec, exec, s[28:29]
	v_max_f32_e32 v24, v24, v24
	v_max_f32_e32 v3, v3, v3
	;; [unrolled: 1-line block ×3, first 2 shown]
	s_mov_b64 s[26:27], 0
.LBB6_3049:                             ;   in Loop: Header=BB6_2947 Depth=2
	s_and_b64 vcc, exec, s[26:27]
	s_cbranch_vccz .LBB6_3063
; %bb.3050:                             ;   in Loop: Header=BB6_2947 Depth=2
	v_mov_b32_e32 v3, 0
	s_and_saveexec_b64 s[26:27], s[24:25]
	s_cbranch_execz .LBB6_3056
; %bb.3051:                             ;   in Loop: Header=BB6_2947 Depth=2
	v_cmp_ne_u16_sdwa s[28:29], v23, s53 src0_sel:BYTE_0 src1_sel:DWORD
	v_bfrev_b32_e32 v3, 1
	s_and_saveexec_b64 s[24:25], s[28:29]
	s_cbranch_execz .LBB6_3055
; %bb.3052:                             ;   in Loop: Header=BB6_2947 Depth=2
	v_bfe_u32 v24, v10, 16, 7
	v_cmp_ne_u32_e32 vcc, s54, v24
	v_mov_b32_e32 v3, 0x7f800001
	s_and_saveexec_b64 s[28:29], vcc
	s_cbranch_execz .LBB6_3054
; %bb.3053:                             ;   in Loop: Header=BB6_2947 Depth=2
	v_and_b32_e32 v3, 7, v23
	v_lshrrev_b32_e32 v26, 3, v24
	v_cmp_gt_u32_e32 vcc, 8, v24
	v_ffbh_u32_e32 v24, v3
	v_min_u32_e32 v27, 32, v24
	v_subrev_u32_e32 v24, 28, v27
	v_lshlrev_b64 v[24:25], v24, v[23:24]
	v_sub_u32_e32 v25, 29, v27
	v_and_b32_e32 v24, 7, v24
	v_cndmask_b32_e32 v25, v26, v25, vcc
	v_cndmask_b32_e32 v3, v3, v24, vcc
	v_lshlrev_b32_e32 v23, 24, v23
	v_lshlrev_b32_e32 v3, 20, v3
	v_and_b32_e32 v23, 0x80000000, v23
	v_lshl_add_u32 v24, v25, 23, v62
	v_or3_b32 v3, v23, v24, v3
.LBB6_3054:                             ;   in Loop: Header=BB6_2947 Depth=2
	s_or_b64 exec, exec, s[28:29]
.LBB6_3055:                             ;   in Loop: Header=BB6_2947 Depth=2
	s_or_b64 exec, exec, s[24:25]
.LBB6_3056:                             ;   in Loop: Header=BB6_2947 Depth=2
	s_or_b64 exec, exec, s[26:27]
	v_cmp_gt_i16_sdwa s[26:27], v22, s54 src0_sel:BYTE_0 src1_sel:DWORD
	s_mov_b64 s[24:25], 0
	s_and_saveexec_b64 s[28:29], s[26:27]
	s_xor_b64 s[26:27], exec, s[28:29]
	s_cbranch_execz .LBB6_3613
; %bb.3057:                             ;   in Loop: Header=BB6_2947 Depth=2
	v_cmp_eq_u16_sdwa vcc, v22, s53 src0_sel:BYTE_0 src1_sel:DWORD
	s_mov_b64 s[24:25], -1
	s_and_saveexec_b64 s[28:29], vcc
; %bb.3058:                             ;   in Loop: Header=BB6_2947 Depth=2
	s_xor_b64 s[24:25], exec, -1
; %bb.3059:                             ;   in Loop: Header=BB6_2947 Depth=2
	s_or_b64 exec, exec, s[28:29]
	s_and_b64 s[24:25], s[24:25], exec
                                        ; implicit-def: $vgpr22
	s_or_saveexec_b64 s[26:27], s[26:27]
	v_bfrev_b32_e32 v23, 1
	s_xor_b64 exec, exec, s[26:27]
	s_cbranch_execnz .LBB6_3614
.LBB6_3060:                             ;   in Loop: Header=BB6_2947 Depth=2
	s_or_b64 exec, exec, s[26:27]
	s_and_saveexec_b64 s[26:27], s[24:25]
.LBB6_3061:                             ;   in Loop: Header=BB6_2947 Depth=2
	v_cndmask_b32_e64 v23, v2, v40, s[22:23]
.LBB6_3062:                             ;   in Loop: Header=BB6_2947 Depth=2
	s_or_b64 exec, exec, s[26:27]
	v_max_f32_e32 v2, v23, v23
	v_max_f32_e32 v3, v3, v3
	v_min_f32_e32 v3, v3, v2
.LBB6_3063:                             ;   in Loop: Header=BB6_2947 Depth=2
	v_and_b32_e32 v60, 0x7f800000, v3
	v_cmp_ne_u64_e32 vcc, s[72:73], v[60:61]
                                        ; implicit-def: $vgpr26
	s_and_saveexec_b64 s[22:23], vcc
	s_xor_b64 s[24:25], exec, s[22:23]
	s_cbranch_execz .LBB6_3077
; %bb.3064:                             ;   in Loop: Header=BB6_2947 Depth=2
	v_and_b32_e32 v60, 0x7fffffff, v3
	v_cmp_gt_u64_e32 vcc, s[74:75], v[60:61]
	v_and_b32_sdwa v2, v3, s53 dst_sel:DWORD dst_unused:UNUSED_PAD src0_sel:BYTE_3 src1_sel:DWORD
                                        ; implicit-def: $vgpr26
	s_and_saveexec_b64 s[22:23], vcc
	s_xor_b64 s[26:27], exec, s[22:23]
	s_cbranch_execz .LBB6_3074
; %bb.3065:                             ;   in Loop: Header=BB6_2947 Depth=2
	v_mov_b32_e32 v26, 0
	v_cmp_ne_u32_e32 vcc, 0, v3
	s_and_saveexec_b64 s[28:29], vcc
	s_cbranch_execz .LBB6_3073
; %bb.3066:                             ;   in Loop: Header=BB6_2947 Depth=2
	v_and_b32_e32 v22, 0x7fffff, v3
	v_bfe_u32 v3, v3, 23, 8
	v_cmp_gt_u32_e64 s[22:23], s64, v3
	v_sub_u32_e32 v23, 0x79, v3
	v_cmp_eq_u32_e32 vcc, 0, v3
	v_cndmask_b32_e64 v23, 0, v23, s[22:23]
	v_mov_b32_e32 v25, 0x78
	v_or_b32_e32 v24, 0x800000, v22
	v_cndmask_b32_e32 v25, v23, v25, vcc
	v_cndmask_b32_e32 v60, v24, v22, vcc
	v_add_u32_e32 v22, 20, v25
	v_lshlrev_b64 v[22:23], v22, -1
	v_add_u32_e32 v24, 19, v25
	v_lshlrev_b64 v[26:27], v24, 1
	v_bfi_b32 v23, v23, 0, 0
	v_bfi_b32 v22, v22, 0, v60
	v_cmp_eq_u64_e64 s[22:23], v[22:23], v[26:27]
	v_lshrrev_b64 v[22:23], v25, v[60:61]
	v_mov_b32_e32 v24, v23
	v_mov_b32_e32 v23, v22
	s_and_saveexec_b64 s[36:37], s[22:23]
; %bb.3067:                             ;   in Loop: Header=BB6_2947 Depth=2
	v_bfe_u32 v23, v22, 20, 1
	v_add_co_u32_e64 v23, s[22:23], v22, v23
	v_add_co_u32_e64 v23, s[22:23], -1, v23
; %bb.3068:                             ;   in Loop: Header=BB6_2947 Depth=2
	s_or_b64 exec, exec, s[36:37]
	v_add_u32_e32 v3, 0xffffff81, v3
	v_cndmask_b32_e32 v3, v3, v41, vcc
	v_lshrrev_b32_e32 v24, 23, v22
	v_add3_u32 v25, v25, v3, v24
	v_add_u32_e32 v24, 6, v25
	v_and_b32_e32 v3, 0xfffff, v23
	v_add_u32_e32 v60, v3, v22
	v_cmp_ne_u32_e32 vcc, 0, v24
                                        ; implicit-def: $vgpr22_vgpr23
                                        ; implicit-def: $vgpr3
	s_and_saveexec_b64 s[22:23], vcc
	s_xor_b64 s[22:23], exec, s[22:23]
; %bb.3069:                             ;   in Loop: Header=BB6_2947 Depth=2
	v_cmp_lt_u64_e32 vcc, s[76:77], v[60:61]
	v_add_u32_e32 v3, 7, v25
	v_cndmask_b32_e64 v22, 0, 1, vcc
	v_cndmask_b32_e32 v3, v24, v3, vcc
	v_lshrrev_b64 v[22:23], v22, v[60:61]
; %bb.3070:                             ;   in Loop: Header=BB6_2947 Depth=2
	s_andn2_saveexec_b64 s[22:23], s[22:23]
; %bb.3071:                             ;   in Loop: Header=BB6_2947 Depth=2
	v_mov_b32_e32 v22, v60
	v_bfe_u32 v3, v60, 23, 1
	v_mov_b32_e32 v23, v61
; %bb.3072:                             ;   in Loop: Header=BB6_2947 Depth=2
	s_or_b64 exec, exec, s[22:23]
	v_lshrrev_b64 v[22:23], 20, v[22:23]
	v_cmp_gt_i32_e32 vcc, 16, v3
	v_cndmask_b32_e32 v23, 0, v23, vcc
	v_cndmask_b32_e32 v22, 7, v22, vcc
	v_cmp_eq_u32_e32 vcc, 0, v3
	v_min_i32_e32 v3, 15, v3
	v_cmp_eq_u64_e64 s[22:23], 0, v[22:23]
	v_lshlrev_b32_e32 v3, 3, v3
	v_and_b32_e32 v3, 0xf8, v3
	v_and_or_b32 v3, v22, 7, v3
	s_and_b64 s[22:23], vcc, s[22:23]
	v_cndmask_b32_e64 v3, v3, 0, s[22:23]
	v_or_b32_e32 v26, v3, v2
.LBB6_3073:                             ;   in Loop: Header=BB6_2947 Depth=2
	s_or_b64 exec, exec, s[28:29]
                                        ; implicit-def: $vgpr2
.LBB6_3074:                             ;   in Loop: Header=BB6_2947 Depth=2
	s_andn2_saveexec_b64 s[22:23], s[26:27]
; %bb.3075:                             ;   in Loop: Header=BB6_2947 Depth=2
	v_or_b32_e32 v26, 0x7e, v2
; %bb.3076:                             ;   in Loop: Header=BB6_2947 Depth=2
	s_or_b64 exec, exec, s[22:23]
                                        ; implicit-def: $vgpr3
.LBB6_3077:                             ;   in Loop: Header=BB6_2947 Depth=2
	s_andn2_saveexec_b64 s[22:23], s[24:25]
; %bb.3078:                             ;   in Loop: Header=BB6_2947 Depth=2
	v_or_b32_sdwa v26, v3, s54 dst_sel:DWORD dst_unused:UNUSED_PAD src0_sel:BYTE_3 src1_sel:DWORD
; %bb.3079:                             ;   in Loop: Header=BB6_2947 Depth=2
	s_or_b64 exec, exec, s[22:23]
	v_bfe_u32 v23, v14, 24, 3
	v_bfe_u32 v3, v14, 24, 7
	v_cmp_eq_u32_e64 s[26:27], s54, v3
	v_cmp_gt_u32_e32 vcc, 8, v3
	v_ffbh_u32_e32 v3, v23
	v_min_u32_e32 v25, 32, v3
	v_lshrrev_b32_e32 v2, 24, v14
	v_subrev_u32_e32 v3, 28, v25
	v_bfe_u32 v24, v2, 3, 4
	v_cmp_eq_u32_e64 s[24:25], s53, v2
	v_lshlrev_b64 v[2:3], v3, v[2:3]
	v_sub_u32_e32 v3, 29, v25
	v_and_b32_e32 v2, 7, v2
	v_cndmask_b32_e32 v3, v24, v3, vcc
	v_cndmask_b32_e32 v2, v23, v2, vcc
	v_lshlrev_b32_e32 v2, 20, v2
	v_and_b32_e32 v23, 0x80000000, v14
	v_lshl_add_u32 v3, v3, 23, v62
	v_lshrrev_b32_e32 v22, 24, v10
	v_cmp_gt_u32_e64 s[22:23], s59, v14
	v_or3_b32 v2, v23, v3, v2
	v_cmp_lt_u32_e64 s[28:29], s79, v10
	s_mov_b64 s[36:37], -1
	s_and_b64 vcc, exec, s[34:35]
                                        ; implicit-def: $vgpr3
	s_cbranch_vccz .LBB6_3087
; %bb.3080:                             ;   in Loop: Header=BB6_2947 Depth=2
	v_mov_b32_e32 v3, 0
	s_and_saveexec_b64 s[36:37], s[28:29]
	s_cbranch_execz .LBB6_3086
; %bb.3081:                             ;   in Loop: Header=BB6_2947 Depth=2
	v_cmp_ne_u32_e32 vcc, s53, v22
	v_bfrev_b32_e32 v3, 1
	s_and_saveexec_b64 s[38:39], vcc
	s_cbranch_execz .LBB6_3085
; %bb.3082:                             ;   in Loop: Header=BB6_2947 Depth=2
	v_bfe_u32 v23, v10, 24, 7
	v_cmp_ne_u32_e32 vcc, s54, v23
	v_mov_b32_e32 v3, 0x7f800001
	s_and_saveexec_b64 s[48:49], vcc
	s_cbranch_execz .LBB6_3084
; %bb.3083:                             ;   in Loop: Header=BB6_2947 Depth=2
	v_and_b32_e32 v3, 7, v22
	v_lshrrev_b32_e32 v25, 3, v23
	v_cmp_gt_u32_e32 vcc, 8, v23
	v_ffbh_u32_e32 v23, v3
	v_min_u32_e32 v27, 32, v23
	v_subrev_u32_e32 v23, 28, v27
	v_lshlrev_b64 v[23:24], v23, v[22:23]
	v_sub_u32_e32 v24, 29, v27
	v_and_b32_e32 v23, 7, v23
	v_cndmask_b32_e32 v24, v25, v24, vcc
	v_cndmask_b32_e32 v3, v3, v23, vcc
	v_lshlrev_b32_e32 v23, 24, v22
	v_lshlrev_b32_e32 v3, 20, v3
	v_and_b32_e32 v23, 0x80000000, v23
	v_lshl_add_u32 v24, v24, 23, v62
	v_or3_b32 v3, v23, v24, v3
.LBB6_3084:                             ;   in Loop: Header=BB6_2947 Depth=2
	s_or_b64 exec, exec, s[48:49]
.LBB6_3085:                             ;   in Loop: Header=BB6_2947 Depth=2
	s_or_b64 exec, exec, s[38:39]
.LBB6_3086:                             ;   in Loop: Header=BB6_2947 Depth=2
	s_or_b64 exec, exec, s[36:37]
	v_cndmask_b32_e64 v23, v2, v40, s[26:27]
	v_cndmask_b32_e64 v23, v23, v54, s[24:25]
	;; [unrolled: 1-line block ×3, first 2 shown]
	v_max_f32_e32 v23, v23, v23
	v_max_f32_e32 v3, v3, v3
	;; [unrolled: 1-line block ×3, first 2 shown]
	s_mov_b64 s[36:37], 0
.LBB6_3087:                             ;   in Loop: Header=BB6_2947 Depth=2
	s_and_b64 vcc, exec, s[36:37]
	s_cbranch_vccz .LBB6_3095
; %bb.3088:                             ;   in Loop: Header=BB6_2947 Depth=2
	v_mov_b32_e32 v3, 0
	s_and_saveexec_b64 s[36:37], s[28:29]
	s_cbranch_execz .LBB6_3094
; %bb.3089:                             ;   in Loop: Header=BB6_2947 Depth=2
	v_cmp_ne_u32_e32 vcc, s53, v22
	v_bfrev_b32_e32 v3, 1
	s_and_saveexec_b64 s[28:29], vcc
	s_cbranch_execz .LBB6_3093
; %bb.3090:                             ;   in Loop: Header=BB6_2947 Depth=2
	v_bfe_u32 v23, v10, 24, 7
	v_cmp_ne_u32_e32 vcc, s54, v23
	v_mov_b32_e32 v3, 0x7f800001
	s_and_saveexec_b64 s[38:39], vcc
	s_cbranch_execz .LBB6_3092
; %bb.3091:                             ;   in Loop: Header=BB6_2947 Depth=2
	v_and_b32_e32 v3, 7, v22
	v_lshrrev_b32_e32 v25, 3, v23
	v_cmp_gt_u32_e32 vcc, 8, v23
	v_ffbh_u32_e32 v23, v3
	v_min_u32_e32 v27, 32, v23
	v_subrev_u32_e32 v23, 28, v27
	v_lshlrev_b64 v[23:24], v23, v[22:23]
	v_sub_u32_e32 v24, 29, v27
	v_and_b32_e32 v23, 7, v23
	v_cndmask_b32_e32 v24, v25, v24, vcc
	v_cndmask_b32_e32 v3, v3, v23, vcc
	v_lshlrev_b32_e32 v22, 24, v22
	v_lshlrev_b32_e32 v3, 20, v3
	v_and_b32_e32 v22, 0x80000000, v22
	v_lshl_add_u32 v23, v24, 23, v62
	v_or3_b32 v3, v22, v23, v3
.LBB6_3092:                             ;   in Loop: Header=BB6_2947 Depth=2
	s_or_b64 exec, exec, s[38:39]
.LBB6_3093:                             ;   in Loop: Header=BB6_2947 Depth=2
	s_or_b64 exec, exec, s[28:29]
.LBB6_3094:                             ;   in Loop: Header=BB6_2947 Depth=2
	s_or_b64 exec, exec, s[36:37]
	v_cndmask_b32_e64 v2, v2, v40, s[26:27]
	v_cndmask_b32_e64 v2, v2, v54, s[24:25]
	;; [unrolled: 1-line block ×3, first 2 shown]
	v_max_f32_e32 v2, v2, v2
	v_max_f32_e32 v3, v3, v3
	v_min_f32_e32 v3, v3, v2
.LBB6_3095:                             ;   in Loop: Header=BB6_2947 Depth=2
	v_and_b32_e32 v60, 0x7f800000, v3
	v_cmp_ne_u64_e32 vcc, s[72:73], v[60:61]
                                        ; implicit-def: $vgpr27
	s_and_saveexec_b64 s[22:23], vcc
	s_xor_b64 s[24:25], exec, s[22:23]
	s_cbranch_execz .LBB6_3109
; %bb.3096:                             ;   in Loop: Header=BB6_2947 Depth=2
	v_and_b32_e32 v60, 0x7fffffff, v3
	v_cmp_gt_u64_e32 vcc, s[74:75], v[60:61]
	v_and_b32_sdwa v2, v3, s53 dst_sel:DWORD dst_unused:UNUSED_PAD src0_sel:BYTE_3 src1_sel:DWORD
                                        ; implicit-def: $vgpr27
	s_and_saveexec_b64 s[22:23], vcc
	s_xor_b64 s[26:27], exec, s[22:23]
	s_cbranch_execz .LBB6_3106
; %bb.3097:                             ;   in Loop: Header=BB6_2947 Depth=2
	v_mov_b32_e32 v27, 0
	v_cmp_ne_u32_e32 vcc, 0, v3
	s_and_saveexec_b64 s[28:29], vcc
	s_cbranch_execz .LBB6_3105
; %bb.3098:                             ;   in Loop: Header=BB6_2947 Depth=2
	v_and_b32_e32 v22, 0x7fffff, v3
	v_bfe_u32 v3, v3, 23, 8
	v_cmp_gt_u32_e64 s[22:23], s64, v3
	v_sub_u32_e32 v23, 0x79, v3
	v_cmp_eq_u32_e32 vcc, 0, v3
	v_cndmask_b32_e64 v23, 0, v23, s[22:23]
	v_mov_b32_e32 v25, 0x78
	v_or_b32_e32 v24, 0x800000, v22
	v_cndmask_b32_e32 v25, v23, v25, vcc
	v_cndmask_b32_e32 v60, v24, v22, vcc
	v_add_u32_e32 v22, 20, v25
	v_lshlrev_b64 v[22:23], v22, -1
	v_add_u32_e32 v24, 19, v25
	v_lshlrev_b64 v[27:28], v24, 1
	v_bfi_b32 v23, v23, 0, 0
	v_bfi_b32 v22, v22, 0, v60
	v_cmp_eq_u64_e64 s[22:23], v[22:23], v[27:28]
	v_lshrrev_b64 v[22:23], v25, v[60:61]
	v_mov_b32_e32 v24, v23
	v_mov_b32_e32 v23, v22
	s_and_saveexec_b64 s[36:37], s[22:23]
; %bb.3099:                             ;   in Loop: Header=BB6_2947 Depth=2
	v_bfe_u32 v23, v22, 20, 1
	v_add_co_u32_e64 v23, s[22:23], v22, v23
	v_add_co_u32_e64 v23, s[22:23], -1, v23
; %bb.3100:                             ;   in Loop: Header=BB6_2947 Depth=2
	s_or_b64 exec, exec, s[36:37]
	v_add_u32_e32 v3, 0xffffff81, v3
	v_cndmask_b32_e32 v3, v3, v41, vcc
	v_lshrrev_b32_e32 v24, 23, v22
	v_add3_u32 v25, v25, v3, v24
	v_add_u32_e32 v24, 6, v25
	v_and_b32_e32 v3, 0xfffff, v23
	v_add_u32_e32 v60, v3, v22
	v_cmp_ne_u32_e32 vcc, 0, v24
                                        ; implicit-def: $vgpr22_vgpr23
                                        ; implicit-def: $vgpr3
	s_and_saveexec_b64 s[22:23], vcc
	s_xor_b64 s[22:23], exec, s[22:23]
; %bb.3101:                             ;   in Loop: Header=BB6_2947 Depth=2
	v_cmp_lt_u64_e32 vcc, s[76:77], v[60:61]
	v_add_u32_e32 v3, 7, v25
	v_cndmask_b32_e64 v22, 0, 1, vcc
	v_cndmask_b32_e32 v3, v24, v3, vcc
	v_lshrrev_b64 v[22:23], v22, v[60:61]
; %bb.3102:                             ;   in Loop: Header=BB6_2947 Depth=2
	s_andn2_saveexec_b64 s[22:23], s[22:23]
; %bb.3103:                             ;   in Loop: Header=BB6_2947 Depth=2
	v_mov_b32_e32 v22, v60
	v_bfe_u32 v3, v60, 23, 1
	v_mov_b32_e32 v23, v61
; %bb.3104:                             ;   in Loop: Header=BB6_2947 Depth=2
	s_or_b64 exec, exec, s[22:23]
	v_lshrrev_b64 v[22:23], 20, v[22:23]
	v_cmp_gt_i32_e32 vcc, 16, v3
	v_cndmask_b32_e32 v23, 0, v23, vcc
	v_cndmask_b32_e32 v22, 7, v22, vcc
	v_cmp_eq_u32_e32 vcc, 0, v3
	v_min_i32_e32 v3, 15, v3
	v_cmp_eq_u64_e64 s[22:23], 0, v[22:23]
	v_lshlrev_b32_e32 v3, 3, v3
	v_and_b32_e32 v3, 0xf8, v3
	v_and_or_b32 v3, v22, 7, v3
	s_and_b64 s[22:23], vcc, s[22:23]
	v_cndmask_b32_e64 v3, v3, 0, s[22:23]
	v_or_b32_e32 v27, v3, v2
.LBB6_3105:                             ;   in Loop: Header=BB6_2947 Depth=2
	s_or_b64 exec, exec, s[28:29]
                                        ; implicit-def: $vgpr2
.LBB6_3106:                             ;   in Loop: Header=BB6_2947 Depth=2
	s_andn2_saveexec_b64 s[22:23], s[26:27]
; %bb.3107:                             ;   in Loop: Header=BB6_2947 Depth=2
	v_or_b32_e32 v27, 0x7e, v2
; %bb.3108:                             ;   in Loop: Header=BB6_2947 Depth=2
	s_or_b64 exec, exec, s[22:23]
                                        ; implicit-def: $vgpr3
.LBB6_3109:                             ;   in Loop: Header=BB6_2947 Depth=2
	s_andn2_saveexec_b64 s[22:23], s[24:25]
; %bb.3110:                             ;   in Loop: Header=BB6_2947 Depth=2
	v_or_b32_sdwa v27, v3, s54 dst_sel:DWORD dst_unused:UNUSED_PAD src0_sel:BYTE_3 src1_sel:DWORD
; %bb.3111:                             ;   in Loop: Header=BB6_2947 Depth=2
	s_or_b64 exec, exec, s[22:23]
	v_and_b32_e32 v2, 7, v15
	v_ffbh_u32_e32 v2, v2
	v_and_b32_e32 v3, 0x7f, v15
	v_min_u32_e32 v2, 32, v2
	v_bfe_u32 v22, v15, 3, 4
	v_cmp_eq_u32_e64 s[22:23], s54, v3
	v_cmp_gt_u32_e32 vcc, 8, v3
	v_subrev_u32_e32 v3, 28, v2
	v_sub_u32_e32 v2, 29, v2
	v_mov_b32_e32 v60, v15
	v_cndmask_b32_e32 v22, v22, v2, vcc
	v_cndmask_b32_e32 v2, 0, v3, vcc
	v_lshlrev_b64 v[2:3], v2, v[60:61]
	v_lshlrev_b32_e32 v3, 24, v15
	v_lshlrev_b32_e32 v2, 20, v2
	v_and_b32_e32 v2, 0x700000, v2
	v_and_b32_e32 v3, 0x80000000, v3
	v_lshl_add_u32 v22, v22, 23, v62
	v_or3_b32 v2, v3, v22, v2
	v_mov_b32_e32 v22, v11
	v_mov_b32_e32 v23, v61
	v_cmp_ne_u16_sdwa s[24:25], v11, v61 src0_sel:BYTE_0 src1_sel:DWORD
	s_mov_b64 s[26:27], -1
	s_and_b64 vcc, exec, s[34:35]
                                        ; implicit-def: $vgpr3
	s_cbranch_vccz .LBB6_3125
; %bb.3112:                             ;   in Loop: Header=BB6_2947 Depth=2
	v_mov_b32_e32 v3, 0
	s_and_saveexec_b64 s[26:27], s[24:25]
	s_cbranch_execz .LBB6_3118
; %bb.3113:                             ;   in Loop: Header=BB6_2947 Depth=2
	v_cmp_ne_u16_sdwa vcc, v11, s53 src0_sel:BYTE_0 src1_sel:DWORD
	v_bfrev_b32_e32 v3, 1
	s_and_saveexec_b64 s[28:29], vcc
	s_cbranch_execz .LBB6_3117
; %bb.3114:                             ;   in Loop: Header=BB6_2947 Depth=2
	v_and_b32_e32 v24, 0x7f, v11
	v_cmp_ne_u32_e32 vcc, s54, v24
	v_mov_b32_e32 v3, 0x7f800001
	s_and_saveexec_b64 s[36:37], vcc
	s_cbranch_execz .LBB6_3116
; %bb.3115:                             ;   in Loop: Header=BB6_2947 Depth=2
	v_and_b32_e32 v3, 7, v11
	v_ffbh_u32_e32 v3, v3
	v_min_u32_e32 v3, 32, v3
	v_lshrrev_b32_e32 v25, 3, v24
	v_cmp_gt_u32_e32 vcc, 8, v24
	v_subrev_u32_e32 v24, 28, v3
	v_sub_u32_e32 v3, 29, v3
	v_cndmask_b32_e32 v24, 0, v24, vcc
	v_cndmask_b32_e32 v3, v25, v3, vcc
	v_lshlrev_b64 v[24:25], v24, v[22:23]
	v_lshlrev_b32_e32 v25, 24, v22
	v_lshlrev_b32_e32 v24, 20, v24
	v_and_b32_e32 v24, 0x700000, v24
	v_and_b32_e32 v25, 0x80000000, v25
	v_lshl_add_u32 v3, v3, 23, v62
	v_or3_b32 v3, v25, v3, v24
.LBB6_3116:                             ;   in Loop: Header=BB6_2947 Depth=2
	s_or_b64 exec, exec, s[36:37]
.LBB6_3117:                             ;   in Loop: Header=BB6_2947 Depth=2
	s_or_b64 exec, exec, s[28:29]
.LBB6_3118:                             ;   in Loop: Header=BB6_2947 Depth=2
	s_or_b64 exec, exec, s[26:27]
	v_cmp_gt_i16_sdwa s[28:29], v15, s54 src0_sel:BYTE_0 src1_sel:DWORD
	s_mov_b64 s[26:27], 0
	s_and_saveexec_b64 vcc, s[28:29]
	s_xor_b64 s[28:29], exec, vcc
	s_cbranch_execz .LBB6_3615
; %bb.3119:                             ;   in Loop: Header=BB6_2947 Depth=2
	v_cmp_eq_u16_sdwa s[36:37], v15, s53 src0_sel:BYTE_0 src1_sel:DWORD
	s_mov_b64 s[26:27], -1
	s_and_saveexec_b64 vcc, s[36:37]
; %bb.3120:                             ;   in Loop: Header=BB6_2947 Depth=2
	s_xor_b64 s[26:27], exec, -1
; %bb.3121:                             ;   in Loop: Header=BB6_2947 Depth=2
	s_or_b64 exec, exec, vcc
	s_and_b64 s[26:27], s[26:27], exec
	s_or_saveexec_b64 s[28:29], s[28:29]
	v_bfrev_b32_e32 v24, 1
	s_xor_b64 exec, exec, s[28:29]
	s_cbranch_execnz .LBB6_3616
.LBB6_3122:                             ;   in Loop: Header=BB6_2947 Depth=2
	s_or_b64 exec, exec, s[28:29]
	s_and_saveexec_b64 s[28:29], s[26:27]
.LBB6_3123:                             ;   in Loop: Header=BB6_2947 Depth=2
	v_cndmask_b32_e64 v24, v2, v40, s[22:23]
.LBB6_3124:                             ;   in Loop: Header=BB6_2947 Depth=2
	s_or_b64 exec, exec, s[28:29]
	v_max_f32_e32 v24, v24, v24
	v_max_f32_e32 v3, v3, v3
	;; [unrolled: 1-line block ×3, first 2 shown]
	s_mov_b64 s[26:27], 0
.LBB6_3125:                             ;   in Loop: Header=BB6_2947 Depth=2
	s_and_b64 vcc, exec, s[26:27]
	s_cbranch_vccz .LBB6_3139
; %bb.3126:                             ;   in Loop: Header=BB6_2947 Depth=2
	v_mov_b32_e32 v3, 0
	s_and_saveexec_b64 s[26:27], s[24:25]
	s_cbranch_execz .LBB6_3132
; %bb.3127:                             ;   in Loop: Header=BB6_2947 Depth=2
	v_cmp_ne_u16_sdwa s[28:29], v11, s53 src0_sel:BYTE_0 src1_sel:DWORD
	v_bfrev_b32_e32 v3, 1
	s_and_saveexec_b64 s[24:25], s[28:29]
	s_cbranch_execz .LBB6_3131
; %bb.3128:                             ;   in Loop: Header=BB6_2947 Depth=2
	v_and_b32_e32 v24, 0x7f, v11
	v_cmp_ne_u32_e32 vcc, s54, v24
	v_mov_b32_e32 v3, 0x7f800001
	s_and_saveexec_b64 s[28:29], vcc
	s_cbranch_execz .LBB6_3130
; %bb.3129:                             ;   in Loop: Header=BB6_2947 Depth=2
	v_and_b32_e32 v3, 7, v11
	v_ffbh_u32_e32 v3, v3
	v_min_u32_e32 v3, 32, v3
	v_lshrrev_b32_e32 v25, 3, v24
	v_cmp_gt_u32_e32 vcc, 8, v24
	v_subrev_u32_e32 v24, 28, v3
	v_cndmask_b32_e32 v24, 0, v24, vcc
	v_lshlrev_b64 v[23:24], v24, v[22:23]
	v_sub_u32_e32 v3, 29, v3
	v_cndmask_b32_e32 v3, v25, v3, vcc
	v_lshlrev_b32_e32 v23, 20, v23
	v_lshlrev_b32_e32 v24, 24, v22
	v_and_b32_e32 v23, 0x700000, v23
	v_and_b32_e32 v24, 0x80000000, v24
	v_lshl_add_u32 v3, v3, 23, v62
	v_or3_b32 v3, v24, v3, v23
.LBB6_3130:                             ;   in Loop: Header=BB6_2947 Depth=2
	s_or_b64 exec, exec, s[28:29]
.LBB6_3131:                             ;   in Loop: Header=BB6_2947 Depth=2
	s_or_b64 exec, exec, s[24:25]
.LBB6_3132:                             ;   in Loop: Header=BB6_2947 Depth=2
	s_or_b64 exec, exec, s[26:27]
	v_cmp_gt_i16_sdwa s[26:27], v15, s54 src0_sel:BYTE_0 src1_sel:DWORD
	s_mov_b64 s[24:25], 0
	s_and_saveexec_b64 s[28:29], s[26:27]
	s_xor_b64 s[26:27], exec, s[28:29]
	s_cbranch_execz .LBB6_3617
; %bb.3133:                             ;   in Loop: Header=BB6_2947 Depth=2
	v_cmp_eq_u16_sdwa vcc, v15, s53 src0_sel:BYTE_0 src1_sel:DWORD
	s_mov_b64 s[24:25], -1
	s_and_saveexec_b64 s[28:29], vcc
; %bb.3134:                             ;   in Loop: Header=BB6_2947 Depth=2
	s_xor_b64 s[24:25], exec, -1
; %bb.3135:                             ;   in Loop: Header=BB6_2947 Depth=2
	s_or_b64 exec, exec, s[28:29]
	s_and_b64 s[24:25], s[24:25], exec
	s_or_saveexec_b64 s[26:27], s[26:27]
	v_bfrev_b32_e32 v23, 1
	s_xor_b64 exec, exec, s[26:27]
	s_cbranch_execnz .LBB6_3618
.LBB6_3136:                             ;   in Loop: Header=BB6_2947 Depth=2
	s_or_b64 exec, exec, s[26:27]
	s_and_saveexec_b64 s[26:27], s[24:25]
.LBB6_3137:                             ;   in Loop: Header=BB6_2947 Depth=2
	v_cndmask_b32_e64 v23, v2, v40, s[22:23]
.LBB6_3138:                             ;   in Loop: Header=BB6_2947 Depth=2
	s_or_b64 exec, exec, s[26:27]
	v_max_f32_e32 v2, v23, v23
	v_max_f32_e32 v3, v3, v3
	v_min_f32_e32 v3, v3, v2
.LBB6_3139:                             ;   in Loop: Header=BB6_2947 Depth=2
	v_and_b32_e32 v23, 0x7f800000, v3
	v_mov_b32_e32 v24, v61
	v_cmp_ne_u64_e32 vcc, s[72:73], v[23:24]
                                        ; implicit-def: $vgpr25
	s_and_saveexec_b64 s[22:23], vcc
	s_xor_b64 s[24:25], exec, s[22:23]
	s_cbranch_execz .LBB6_3153
; %bb.3140:                             ;   in Loop: Header=BB6_2947 Depth=2
	v_and_b32_e32 v23, 0x7fffffff, v3
	v_mov_b32_e32 v24, v61
	v_cmp_gt_u64_e32 vcc, s[74:75], v[23:24]
	v_and_b32_sdwa v2, v3, s53 dst_sel:DWORD dst_unused:UNUSED_PAD src0_sel:BYTE_3 src1_sel:DWORD
                                        ; implicit-def: $vgpr25
	s_and_saveexec_b64 s[22:23], vcc
	s_xor_b64 s[26:27], exec, s[22:23]
	s_cbranch_execz .LBB6_3150
; %bb.3141:                             ;   in Loop: Header=BB6_2947 Depth=2
	v_mov_b32_e32 v25, 0
	v_cmp_ne_u32_e32 vcc, 0, v3
	s_and_saveexec_b64 s[28:29], vcc
	s_cbranch_execz .LBB6_3149
; %bb.3142:                             ;   in Loop: Header=BB6_2947 Depth=2
	v_and_b32_e32 v23, 0x7fffff, v3
	v_bfe_u32 v3, v3, 23, 8
	v_cmp_gt_u32_e64 s[22:23], s64, v3
	v_sub_u32_e32 v24, 0x79, v3
	v_cmp_eq_u32_e32 vcc, 0, v3
	v_cndmask_b32_e64 v24, 0, v24, s[22:23]
	v_mov_b32_e32 v28, 0x78
	v_or_b32_e32 v25, 0x800000, v23
	v_cndmask_b32_e32 v28, v24, v28, vcc
	v_cndmask_b32_e32 v23, v25, v23, vcc
	v_add_u32_e32 v25, 20, v28
	v_lshlrev_b64 v[29:30], v25, -1
	v_mov_b32_e32 v24, v61
	v_add_u32_e32 v25, 19, v28
	v_bfi_b32 v29, v29, 0, v23
	v_lshlrev_b64 v[31:32], v25, 1
	v_lshrrev_b64 v[23:24], v28, v[23:24]
	v_bfi_b32 v30, v30, 0, 0
	v_cmp_eq_u64_e64 s[22:23], v[29:30], v[31:32]
	v_mov_b32_e32 v25, v24
	v_mov_b32_e32 v24, v23
	s_and_saveexec_b64 s[36:37], s[22:23]
; %bb.3143:                             ;   in Loop: Header=BB6_2947 Depth=2
	v_bfe_u32 v24, v23, 20, 1
	v_add_co_u32_e64 v24, s[22:23], v23, v24
	v_add_co_u32_e64 v24, s[22:23], -1, v24
; %bb.3144:                             ;   in Loop: Header=BB6_2947 Depth=2
	s_or_b64 exec, exec, s[36:37]
	v_add_u32_e32 v3, 0xffffff81, v3
	v_cndmask_b32_e32 v3, v3, v41, vcc
	v_lshrrev_b32_e32 v25, 23, v23
	v_add3_u32 v28, v28, v3, v25
	v_add_u32_e32 v25, 6, v28
	v_and_b32_e32 v3, 0xfffff, v24
	v_add_u32_e32 v23, v3, v23
	v_mov_b32_e32 v24, v61
	v_cmp_ne_u32_e32 vcc, 0, v25
                                        ; implicit-def: $vgpr3
	s_and_saveexec_b64 s[22:23], vcc
	s_xor_b64 s[22:23], exec, s[22:23]
; %bb.3145:                             ;   in Loop: Header=BB6_2947 Depth=2
	v_cmp_lt_u64_e32 vcc, s[76:77], v[23:24]
	v_add_u32_e32 v3, 7, v28
	v_cndmask_b32_e32 v3, v25, v3, vcc
	v_cndmask_b32_e64 v25, 0, 1, vcc
	v_lshrrev_b64 v[23:24], v25, v[23:24]
; %bb.3146:                             ;   in Loop: Header=BB6_2947 Depth=2
	s_andn2_saveexec_b64 s[22:23], s[22:23]
; %bb.3147:                             ;   in Loop: Header=BB6_2947 Depth=2
	v_bfe_u32 v3, v23, 23, 1
; %bb.3148:                             ;   in Loop: Header=BB6_2947 Depth=2
	s_or_b64 exec, exec, s[22:23]
	v_lshrrev_b64 v[23:24], 20, v[23:24]
	v_cmp_gt_i32_e32 vcc, 16, v3
	v_cndmask_b32_e32 v24, 0, v24, vcc
	v_cndmask_b32_e32 v23, 7, v23, vcc
	v_cmp_eq_u32_e32 vcc, 0, v3
	v_min_i32_e32 v3, 15, v3
	v_cmp_eq_u64_e64 s[22:23], 0, v[23:24]
	v_lshlrev_b32_e32 v3, 3, v3
	v_and_b32_e32 v3, 0xf8, v3
	v_and_or_b32 v3, v23, 7, v3
	s_and_b64 s[22:23], vcc, s[22:23]
	v_cndmask_b32_e64 v3, v3, 0, s[22:23]
	v_or_b32_e32 v25, v3, v2
.LBB6_3149:                             ;   in Loop: Header=BB6_2947 Depth=2
	s_or_b64 exec, exec, s[28:29]
                                        ; implicit-def: $vgpr2
.LBB6_3150:                             ;   in Loop: Header=BB6_2947 Depth=2
	s_andn2_saveexec_b64 s[22:23], s[26:27]
; %bb.3151:                             ;   in Loop: Header=BB6_2947 Depth=2
	v_or_b32_e32 v25, 0x7e, v2
; %bb.3152:                             ;   in Loop: Header=BB6_2947 Depth=2
	s_or_b64 exec, exec, s[22:23]
                                        ; implicit-def: $vgpr3
.LBB6_3153:                             ;   in Loop: Header=BB6_2947 Depth=2
	s_andn2_saveexec_b64 s[22:23], s[24:25]
; %bb.3154:                             ;   in Loop: Header=BB6_2947 Depth=2
	v_or_b32_sdwa v25, v3, s54 dst_sel:DWORD dst_unused:UNUSED_PAD src0_sel:BYTE_3 src1_sel:DWORD
; %bb.3155:                             ;   in Loop: Header=BB6_2947 Depth=2
	s_or_b64 exec, exec, s[22:23]
	v_lshrrev_b16_e32 v60, 8, v60
	v_and_b32_e32 v24, 7, v60
	v_and_b32_e32 v2, 0x7f, v60
	v_cmp_eq_u32_e64 s[22:23], s54, v2
	v_cmp_gt_u32_e32 vcc, 8, v2
	v_ffbh_u32_e32 v2, v24
	v_min_u32_e32 v29, 32, v2
	v_subrev_u32_e32 v2, 28, v29
	v_lshlrev_b64 v[2:3], v2, v[60:61]
	v_bfe_u32 v28, v60, 3, 4
	v_sub_u32_e32 v3, 29, v29
	v_and_b32_e32 v2, 7, v2
	v_cndmask_b32_e32 v3, v28, v3, vcc
	v_cndmask_b32_e32 v2, v24, v2, vcc
	v_lshlrev_b32_e32 v24, 24, v60
	v_lshrrev_b16_e32 v23, 8, v22
	v_lshlrev_b32_e32 v2, 20, v2
	v_and_b32_e32 v24, 0x80000000, v24
	v_lshl_add_u32 v3, v3, 23, v62
	v_or3_b32 v2, v24, v3, v2
	v_cmp_ne_u16_e64 s[24:25], 0, v23
	s_mov_b64 s[26:27], -1
	s_and_b64 vcc, exec, s[34:35]
                                        ; implicit-def: $vgpr3
	s_cbranch_vccz .LBB6_3169
; %bb.3156:                             ;   in Loop: Header=BB6_2947 Depth=2
	v_mov_b32_e32 v3, 0
	s_and_saveexec_b64 s[26:27], s[24:25]
	s_cbranch_execz .LBB6_3162
; %bb.3157:                             ;   in Loop: Header=BB6_2947 Depth=2
	v_cmp_ne_u16_e32 vcc, s53, v23
	v_bfrev_b32_e32 v3, 1
	s_and_saveexec_b64 s[28:29], vcc
	s_cbranch_execz .LBB6_3161
; %bb.3158:                             ;   in Loop: Header=BB6_2947 Depth=2
	v_and_b32_e32 v24, 0x7f, v23
	v_cmp_ne_u32_e32 vcc, s54, v24
	v_mov_b32_e32 v3, 0x7f800001
	s_and_saveexec_b64 s[36:37], vcc
	s_cbranch_execz .LBB6_3160
; %bb.3159:                             ;   in Loop: Header=BB6_2947 Depth=2
	v_and_b32_e32 v3, 7, v23
	v_lshrrev_b32_e32 v30, 3, v24
	v_cmp_gt_u32_e32 vcc, 8, v24
	v_ffbh_u32_e32 v24, v3
	v_min_u32_e32 v24, 32, v24
	v_subrev_u32_e32 v28, 28, v24
	v_lshlrev_b64 v[28:29], v28, v[23:24]
	v_sub_u32_e32 v24, 29, v24
	v_and_b32_e32 v28, 7, v28
	v_cndmask_b32_e32 v24, v30, v24, vcc
	v_cndmask_b32_e32 v3, v3, v28, vcc
	v_lshlrev_b32_e32 v28, 16, v22
	v_lshlrev_b32_e32 v3, 20, v3
	v_and_b32_e32 v28, 0x80000000, v28
	v_lshl_add_u32 v24, v24, 23, v62
	v_or3_b32 v3, v28, v24, v3
.LBB6_3160:                             ;   in Loop: Header=BB6_2947 Depth=2
	s_or_b64 exec, exec, s[36:37]
.LBB6_3161:                             ;   in Loop: Header=BB6_2947 Depth=2
	s_or_b64 exec, exec, s[28:29]
.LBB6_3162:                             ;   in Loop: Header=BB6_2947 Depth=2
	s_or_b64 exec, exec, s[26:27]
	v_cmp_lt_i16_e32 vcc, s54, v60
	s_mov_b64 s[26:27], 0
	s_and_saveexec_b64 s[28:29], vcc
	s_xor_b64 s[28:29], exec, s[28:29]
	s_cbranch_execz .LBB6_3619
; %bb.3163:                             ;   in Loop: Header=BB6_2947 Depth=2
	v_cmp_eq_u16_e32 vcc, s53, v60
	s_mov_b64 s[26:27], -1
	s_and_saveexec_b64 s[36:37], vcc
; %bb.3164:                             ;   in Loop: Header=BB6_2947 Depth=2
	s_xor_b64 s[26:27], exec, -1
; %bb.3165:                             ;   in Loop: Header=BB6_2947 Depth=2
	s_or_b64 exec, exec, s[36:37]
	s_and_b64 s[26:27], s[26:27], exec
	s_or_saveexec_b64 s[28:29], s[28:29]
	v_bfrev_b32_e32 v24, 1
	s_xor_b64 exec, exec, s[28:29]
	s_cbranch_execnz .LBB6_3620
.LBB6_3166:                             ;   in Loop: Header=BB6_2947 Depth=2
	s_or_b64 exec, exec, s[28:29]
	s_and_saveexec_b64 s[28:29], s[26:27]
.LBB6_3167:                             ;   in Loop: Header=BB6_2947 Depth=2
	v_cndmask_b32_e64 v24, v2, v40, s[22:23]
.LBB6_3168:                             ;   in Loop: Header=BB6_2947 Depth=2
	s_or_b64 exec, exec, s[28:29]
	v_max_f32_e32 v24, v24, v24
	v_max_f32_e32 v3, v3, v3
	;; [unrolled: 1-line block ×3, first 2 shown]
	s_mov_b64 s[26:27], 0
.LBB6_3169:                             ;   in Loop: Header=BB6_2947 Depth=2
	s_and_b64 vcc, exec, s[26:27]
	s_cbranch_vccz .LBB6_3183
; %bb.3170:                             ;   in Loop: Header=BB6_2947 Depth=2
	v_mov_b32_e32 v3, 0
	s_and_saveexec_b64 s[26:27], s[24:25]
	s_cbranch_execz .LBB6_3176
; %bb.3171:                             ;   in Loop: Header=BB6_2947 Depth=2
	v_cmp_ne_u16_e32 vcc, s53, v23
	v_bfrev_b32_e32 v3, 1
	s_and_saveexec_b64 s[24:25], vcc
	s_cbranch_execz .LBB6_3175
; %bb.3172:                             ;   in Loop: Header=BB6_2947 Depth=2
	v_and_b32_e32 v24, 0x7f, v23
	v_cmp_ne_u32_e32 vcc, s54, v24
	v_mov_b32_e32 v3, 0x7f800001
	s_and_saveexec_b64 s[28:29], vcc
	s_cbranch_execz .LBB6_3174
; %bb.3173:                             ;   in Loop: Header=BB6_2947 Depth=2
	v_and_b32_e32 v3, 7, v23
	v_lshrrev_b32_e32 v28, 3, v24
	v_cmp_gt_u32_e32 vcc, 8, v24
	v_ffbh_u32_e32 v24, v3
	v_min_u32_e32 v29, 32, v24
	v_subrev_u32_e32 v24, 28, v29
	v_lshlrev_b64 v[23:24], v24, v[23:24]
	v_sub_u32_e32 v24, 29, v29
	v_and_b32_e32 v23, 7, v23
	v_cndmask_b32_e32 v24, v28, v24, vcc
	v_cndmask_b32_e32 v3, v3, v23, vcc
	v_lshlrev_b32_e32 v22, 16, v22
	v_lshlrev_b32_e32 v3, 20, v3
	v_and_b32_e32 v22, 0x80000000, v22
	v_lshl_add_u32 v23, v24, 23, v62
	v_or3_b32 v3, v22, v23, v3
.LBB6_3174:                             ;   in Loop: Header=BB6_2947 Depth=2
	s_or_b64 exec, exec, s[28:29]
.LBB6_3175:                             ;   in Loop: Header=BB6_2947 Depth=2
	s_or_b64 exec, exec, s[24:25]
.LBB6_3176:                             ;   in Loop: Header=BB6_2947 Depth=2
	s_or_b64 exec, exec, s[26:27]
	v_cmp_lt_i16_e32 vcc, s54, v60
	s_mov_b64 s[24:25], 0
	s_and_saveexec_b64 s[26:27], vcc
	s_xor_b64 s[26:27], exec, s[26:27]
	s_cbranch_execz .LBB6_3621
; %bb.3177:                             ;   in Loop: Header=BB6_2947 Depth=2
	v_cmp_eq_u16_e32 vcc, s53, v60
	s_mov_b64 s[24:25], -1
	s_and_saveexec_b64 s[28:29], vcc
; %bb.3178:                             ;   in Loop: Header=BB6_2947 Depth=2
	s_xor_b64 s[24:25], exec, -1
; %bb.3179:                             ;   in Loop: Header=BB6_2947 Depth=2
	s_or_b64 exec, exec, s[28:29]
	s_and_b64 s[24:25], s[24:25], exec
	s_or_saveexec_b64 s[26:27], s[26:27]
	v_bfrev_b32_e32 v22, 1
	s_xor_b64 exec, exec, s[26:27]
	s_cbranch_execnz .LBB6_3622
.LBB6_3180:                             ;   in Loop: Header=BB6_2947 Depth=2
	s_or_b64 exec, exec, s[26:27]
	s_and_saveexec_b64 s[26:27], s[24:25]
.LBB6_3181:                             ;   in Loop: Header=BB6_2947 Depth=2
	v_cndmask_b32_e64 v22, v2, v40, s[22:23]
.LBB6_3182:                             ;   in Loop: Header=BB6_2947 Depth=2
	s_or_b64 exec, exec, s[26:27]
	v_max_f32_e32 v2, v22, v22
	v_max_f32_e32 v3, v3, v3
	v_min_f32_e32 v3, v3, v2
.LBB6_3183:                             ;   in Loop: Header=BB6_2947 Depth=2
	v_and_b32_e32 v60, 0x7f800000, v3
	v_cmp_ne_u64_e32 vcc, s[72:73], v[60:61]
                                        ; implicit-def: $vgpr28
	s_and_saveexec_b64 s[22:23], vcc
	s_xor_b64 s[24:25], exec, s[22:23]
	s_cbranch_execz .LBB6_3197
; %bb.3184:                             ;   in Loop: Header=BB6_2947 Depth=2
	v_and_b32_e32 v60, 0x7fffffff, v3
	v_cmp_gt_u64_e32 vcc, s[74:75], v[60:61]
	v_and_b32_sdwa v2, v3, s53 dst_sel:DWORD dst_unused:UNUSED_PAD src0_sel:BYTE_3 src1_sel:DWORD
                                        ; implicit-def: $vgpr28
	s_and_saveexec_b64 s[22:23], vcc
	s_xor_b64 s[26:27], exec, s[22:23]
	s_cbranch_execz .LBB6_3194
; %bb.3185:                             ;   in Loop: Header=BB6_2947 Depth=2
	v_mov_b32_e32 v28, 0
	v_cmp_ne_u32_e32 vcc, 0, v3
	s_and_saveexec_b64 s[28:29], vcc
	s_cbranch_execz .LBB6_3193
; %bb.3186:                             ;   in Loop: Header=BB6_2947 Depth=2
	v_and_b32_e32 v22, 0x7fffff, v3
	v_bfe_u32 v3, v3, 23, 8
	v_cmp_gt_u32_e64 s[22:23], s64, v3
	v_sub_u32_e32 v23, 0x79, v3
	v_cmp_eq_u32_e32 vcc, 0, v3
	v_cndmask_b32_e64 v23, 0, v23, s[22:23]
	v_mov_b32_e32 v28, 0x78
	v_or_b32_e32 v24, 0x800000, v22
	v_cndmask_b32_e32 v28, v23, v28, vcc
	v_cndmask_b32_e32 v60, v24, v22, vcc
	v_add_u32_e32 v22, 20, v28
	v_lshlrev_b64 v[22:23], v22, -1
	v_add_u32_e32 v24, 19, v28
	v_lshlrev_b64 v[29:30], v24, 1
	v_bfi_b32 v23, v23, 0, 0
	v_bfi_b32 v22, v22, 0, v60
	v_cmp_eq_u64_e64 s[22:23], v[22:23], v[29:30]
	v_lshrrev_b64 v[22:23], v28, v[60:61]
	v_mov_b32_e32 v24, v23
	v_mov_b32_e32 v23, v22
	s_and_saveexec_b64 s[36:37], s[22:23]
; %bb.3187:                             ;   in Loop: Header=BB6_2947 Depth=2
	v_bfe_u32 v23, v22, 20, 1
	v_add_co_u32_e64 v23, s[22:23], v22, v23
	v_add_co_u32_e64 v23, s[22:23], -1, v23
; %bb.3188:                             ;   in Loop: Header=BB6_2947 Depth=2
	s_or_b64 exec, exec, s[36:37]
	v_add_u32_e32 v3, 0xffffff81, v3
	v_cndmask_b32_e32 v3, v3, v41, vcc
	v_lshrrev_b32_e32 v24, 23, v22
	v_add3_u32 v28, v28, v3, v24
	v_add_u32_e32 v24, 6, v28
	v_and_b32_e32 v3, 0xfffff, v23
	v_add_u32_e32 v60, v3, v22
	v_cmp_ne_u32_e32 vcc, 0, v24
                                        ; implicit-def: $vgpr22_vgpr23
                                        ; implicit-def: $vgpr3
	s_and_saveexec_b64 s[22:23], vcc
	s_xor_b64 s[22:23], exec, s[22:23]
; %bb.3189:                             ;   in Loop: Header=BB6_2947 Depth=2
	v_cmp_lt_u64_e32 vcc, s[76:77], v[60:61]
	v_add_u32_e32 v3, 7, v28
	v_cndmask_b32_e64 v22, 0, 1, vcc
	v_cndmask_b32_e32 v3, v24, v3, vcc
	v_lshrrev_b64 v[22:23], v22, v[60:61]
; %bb.3190:                             ;   in Loop: Header=BB6_2947 Depth=2
	s_andn2_saveexec_b64 s[22:23], s[22:23]
; %bb.3191:                             ;   in Loop: Header=BB6_2947 Depth=2
	v_mov_b32_e32 v22, v60
	v_bfe_u32 v3, v60, 23, 1
	v_mov_b32_e32 v23, v61
; %bb.3192:                             ;   in Loop: Header=BB6_2947 Depth=2
	s_or_b64 exec, exec, s[22:23]
	v_lshrrev_b64 v[22:23], 20, v[22:23]
	v_cmp_gt_i32_e32 vcc, 16, v3
	v_cndmask_b32_e32 v23, 0, v23, vcc
	v_cndmask_b32_e32 v22, 7, v22, vcc
	v_cmp_eq_u32_e32 vcc, 0, v3
	v_min_i32_e32 v3, 15, v3
	v_cmp_eq_u64_e64 s[22:23], 0, v[22:23]
	v_lshlrev_b32_e32 v3, 3, v3
	v_and_b32_e32 v3, 0xf8, v3
	v_and_or_b32 v3, v22, 7, v3
	s_and_b64 s[22:23], vcc, s[22:23]
	v_cndmask_b32_e64 v3, v3, 0, s[22:23]
	v_or_b32_e32 v28, v3, v2
.LBB6_3193:                             ;   in Loop: Header=BB6_2947 Depth=2
	s_or_b64 exec, exec, s[28:29]
                                        ; implicit-def: $vgpr2
.LBB6_3194:                             ;   in Loop: Header=BB6_2947 Depth=2
	s_andn2_saveexec_b64 s[22:23], s[26:27]
; %bb.3195:                             ;   in Loop: Header=BB6_2947 Depth=2
	v_or_b32_e32 v28, 0x7e, v2
; %bb.3196:                             ;   in Loop: Header=BB6_2947 Depth=2
	s_or_b64 exec, exec, s[22:23]
                                        ; implicit-def: $vgpr3
.LBB6_3197:                             ;   in Loop: Header=BB6_2947 Depth=2
	s_andn2_saveexec_b64 s[22:23], s[24:25]
; %bb.3198:                             ;   in Loop: Header=BB6_2947 Depth=2
	v_or_b32_sdwa v28, v3, s54 dst_sel:DWORD dst_unused:UNUSED_PAD src0_sel:BYTE_3 src1_sel:DWORD
; %bb.3199:                             ;   in Loop: Header=BB6_2947 Depth=2
	s_or_b64 exec, exec, s[22:23]
	v_bfe_u32 v23, v15, 16, 3
	v_bfe_u32 v2, v15, 16, 7
	v_cmp_eq_u32_e64 s[22:23], s54, v2
	v_cmp_gt_u32_e32 vcc, 8, v2
	v_ffbh_u32_e32 v2, v23
	v_min_u32_e32 v29, 32, v2
	v_lshrrev_b32_e32 v22, 16, v15
	v_subrev_u32_e32 v2, 28, v29
	v_lshlrev_b64 v[2:3], v2, v[22:23]
	v_bfe_u32 v24, v22, 3, 4
	v_sub_u32_e32 v3, 29, v29
	v_and_b32_e32 v2, 7, v2
	v_cndmask_b32_e32 v3, v24, v3, vcc
	v_cndmask_b32_e32 v2, v23, v2, vcc
	v_lshlrev_b32_e32 v23, 8, v15
	v_lshlrev_b32_e32 v2, 20, v2
	v_and_b32_e32 v23, 0x80000000, v23
	v_lshl_add_u32 v3, v3, 23, v62
	v_or3_b32 v2, v23, v3, v2
	v_lshrrev_b32_e32 v23, 16, v11
	v_cmp_ne_u16_sdwa s[24:25], v23, v61 src0_sel:BYTE_0 src1_sel:DWORD
	s_mov_b64 s[26:27], -1
	s_and_b64 vcc, exec, s[34:35]
                                        ; implicit-def: $vgpr3
	s_cbranch_vccz .LBB6_3213
; %bb.3200:                             ;   in Loop: Header=BB6_2947 Depth=2
	v_mov_b32_e32 v3, 0
	s_and_saveexec_b64 s[26:27], s[24:25]
	s_cbranch_execz .LBB6_3206
; %bb.3201:                             ;   in Loop: Header=BB6_2947 Depth=2
	v_cmp_ne_u16_sdwa vcc, v23, s53 src0_sel:BYTE_0 src1_sel:DWORD
	v_bfrev_b32_e32 v3, 1
	s_and_saveexec_b64 s[28:29], vcc
	s_cbranch_execz .LBB6_3205
; %bb.3202:                             ;   in Loop: Header=BB6_2947 Depth=2
	v_bfe_u32 v24, v11, 16, 7
	v_cmp_ne_u32_e32 vcc, s54, v24
	v_mov_b32_e32 v3, 0x7f800001
	s_and_saveexec_b64 s[36:37], vcc
	s_cbranch_execz .LBB6_3204
; %bb.3203:                             ;   in Loop: Header=BB6_2947 Depth=2
	v_and_b32_e32 v3, 7, v23
	v_lshrrev_b32_e32 v31, 3, v24
	v_cmp_gt_u32_e32 vcc, 8, v24
	v_ffbh_u32_e32 v24, v3
	v_min_u32_e32 v24, 32, v24
	v_subrev_u32_e32 v29, 28, v24
	v_lshlrev_b64 v[29:30], v29, v[23:24]
	v_sub_u32_e32 v24, 29, v24
	v_and_b32_e32 v29, 7, v29
	v_cndmask_b32_e32 v24, v31, v24, vcc
	v_cndmask_b32_e32 v3, v3, v29, vcc
	v_lshlrev_b32_e32 v29, 24, v23
	v_lshlrev_b32_e32 v3, 20, v3
	v_and_b32_e32 v29, 0x80000000, v29
	v_lshl_add_u32 v24, v24, 23, v62
	v_or3_b32 v3, v29, v24, v3
.LBB6_3204:                             ;   in Loop: Header=BB6_2947 Depth=2
	s_or_b64 exec, exec, s[36:37]
.LBB6_3205:                             ;   in Loop: Header=BB6_2947 Depth=2
	s_or_b64 exec, exec, s[28:29]
.LBB6_3206:                             ;   in Loop: Header=BB6_2947 Depth=2
	s_or_b64 exec, exec, s[26:27]
	v_cmp_gt_i16_sdwa s[28:29], v22, s54 src0_sel:BYTE_0 src1_sel:DWORD
	s_mov_b64 s[26:27], 0
	s_and_saveexec_b64 vcc, s[28:29]
	s_xor_b64 s[28:29], exec, vcc
	s_cbranch_execz .LBB6_3623
; %bb.3207:                             ;   in Loop: Header=BB6_2947 Depth=2
	v_cmp_eq_u16_sdwa s[36:37], v22, s53 src0_sel:BYTE_0 src1_sel:DWORD
	s_mov_b64 s[26:27], -1
	s_and_saveexec_b64 vcc, s[36:37]
; %bb.3208:                             ;   in Loop: Header=BB6_2947 Depth=2
	s_xor_b64 s[26:27], exec, -1
; %bb.3209:                             ;   in Loop: Header=BB6_2947 Depth=2
	s_or_b64 exec, exec, vcc
	s_and_b64 s[26:27], s[26:27], exec
	s_or_saveexec_b64 s[28:29], s[28:29]
	v_bfrev_b32_e32 v24, 1
	s_xor_b64 exec, exec, s[28:29]
	s_cbranch_execnz .LBB6_3624
.LBB6_3210:                             ;   in Loop: Header=BB6_2947 Depth=2
	s_or_b64 exec, exec, s[28:29]
	s_and_saveexec_b64 s[28:29], s[26:27]
.LBB6_3211:                             ;   in Loop: Header=BB6_2947 Depth=2
	v_cndmask_b32_e64 v24, v2, v40, s[22:23]
.LBB6_3212:                             ;   in Loop: Header=BB6_2947 Depth=2
	s_or_b64 exec, exec, s[28:29]
	v_max_f32_e32 v24, v24, v24
	v_max_f32_e32 v3, v3, v3
	;; [unrolled: 1-line block ×3, first 2 shown]
	s_mov_b64 s[26:27], 0
.LBB6_3213:                             ;   in Loop: Header=BB6_2947 Depth=2
	s_and_b64 vcc, exec, s[26:27]
	s_cbranch_vccz .LBB6_3227
; %bb.3214:                             ;   in Loop: Header=BB6_2947 Depth=2
	v_mov_b32_e32 v3, 0
	s_and_saveexec_b64 s[26:27], s[24:25]
	s_cbranch_execz .LBB6_3220
; %bb.3215:                             ;   in Loop: Header=BB6_2947 Depth=2
	v_cmp_ne_u16_sdwa s[28:29], v23, s53 src0_sel:BYTE_0 src1_sel:DWORD
	v_bfrev_b32_e32 v3, 1
	s_and_saveexec_b64 s[24:25], s[28:29]
	s_cbranch_execz .LBB6_3219
; %bb.3216:                             ;   in Loop: Header=BB6_2947 Depth=2
	v_bfe_u32 v24, v11, 16, 7
	v_cmp_ne_u32_e32 vcc, s54, v24
	v_mov_b32_e32 v3, 0x7f800001
	s_and_saveexec_b64 s[28:29], vcc
	s_cbranch_execz .LBB6_3218
; %bb.3217:                             ;   in Loop: Header=BB6_2947 Depth=2
	v_and_b32_e32 v3, 7, v23
	v_lshrrev_b32_e32 v31, 3, v24
	v_cmp_gt_u32_e32 vcc, 8, v24
	v_ffbh_u32_e32 v24, v3
	v_min_u32_e32 v24, 32, v24
	v_subrev_u32_e32 v29, 28, v24
	v_lshlrev_b64 v[29:30], v29, v[23:24]
	v_sub_u32_e32 v24, 29, v24
	v_and_b32_e32 v29, 7, v29
	v_cndmask_b32_e32 v24, v31, v24, vcc
	v_cndmask_b32_e32 v3, v3, v29, vcc
	v_lshlrev_b32_e32 v23, 24, v23
	v_lshlrev_b32_e32 v3, 20, v3
	v_and_b32_e32 v23, 0x80000000, v23
	v_lshl_add_u32 v24, v24, 23, v62
	v_or3_b32 v3, v23, v24, v3
.LBB6_3218:                             ;   in Loop: Header=BB6_2947 Depth=2
	s_or_b64 exec, exec, s[28:29]
.LBB6_3219:                             ;   in Loop: Header=BB6_2947 Depth=2
	s_or_b64 exec, exec, s[24:25]
.LBB6_3220:                             ;   in Loop: Header=BB6_2947 Depth=2
	s_or_b64 exec, exec, s[26:27]
	v_cmp_gt_i16_sdwa s[26:27], v22, s54 src0_sel:BYTE_0 src1_sel:DWORD
	s_mov_b64 s[24:25], 0
	s_and_saveexec_b64 s[28:29], s[26:27]
	s_xor_b64 s[26:27], exec, s[28:29]
	s_cbranch_execz .LBB6_3625
; %bb.3221:                             ;   in Loop: Header=BB6_2947 Depth=2
	v_cmp_eq_u16_sdwa vcc, v22, s53 src0_sel:BYTE_0 src1_sel:DWORD
	s_mov_b64 s[24:25], -1
	s_and_saveexec_b64 s[28:29], vcc
; %bb.3222:                             ;   in Loop: Header=BB6_2947 Depth=2
	s_xor_b64 s[24:25], exec, -1
; %bb.3223:                             ;   in Loop: Header=BB6_2947 Depth=2
	s_or_b64 exec, exec, s[28:29]
	s_and_b64 s[24:25], s[24:25], exec
                                        ; implicit-def: $vgpr22
	s_or_saveexec_b64 s[26:27], s[26:27]
	v_bfrev_b32_e32 v23, 1
	s_xor_b64 exec, exec, s[26:27]
	s_cbranch_execnz .LBB6_3626
.LBB6_3224:                             ;   in Loop: Header=BB6_2947 Depth=2
	s_or_b64 exec, exec, s[26:27]
	s_and_saveexec_b64 s[26:27], s[24:25]
.LBB6_3225:                             ;   in Loop: Header=BB6_2947 Depth=2
	v_cndmask_b32_e64 v23, v2, v40, s[22:23]
.LBB6_3226:                             ;   in Loop: Header=BB6_2947 Depth=2
	s_or_b64 exec, exec, s[26:27]
	v_max_f32_e32 v2, v23, v23
	v_max_f32_e32 v3, v3, v3
	v_min_f32_e32 v3, v3, v2
.LBB6_3227:                             ;   in Loop: Header=BB6_2947 Depth=2
	v_and_b32_e32 v60, 0x7f800000, v3
	v_cmp_ne_u64_e32 vcc, s[72:73], v[60:61]
                                        ; implicit-def: $vgpr24
	s_and_saveexec_b64 s[22:23], vcc
	s_xor_b64 s[24:25], exec, s[22:23]
	s_cbranch_execz .LBB6_3241
; %bb.3228:                             ;   in Loop: Header=BB6_2947 Depth=2
	v_and_b32_e32 v60, 0x7fffffff, v3
	v_cmp_gt_u64_e32 vcc, s[74:75], v[60:61]
	v_and_b32_sdwa v2, v3, s53 dst_sel:DWORD dst_unused:UNUSED_PAD src0_sel:BYTE_3 src1_sel:DWORD
                                        ; implicit-def: $vgpr24
	s_and_saveexec_b64 s[22:23], vcc
	s_xor_b64 s[26:27], exec, s[22:23]
	s_cbranch_execz .LBB6_3238
; %bb.3229:                             ;   in Loop: Header=BB6_2947 Depth=2
	v_mov_b32_e32 v24, 0
	v_cmp_ne_u32_e32 vcc, 0, v3
	s_and_saveexec_b64 s[28:29], vcc
	s_cbranch_execz .LBB6_3237
; %bb.3230:                             ;   in Loop: Header=BB6_2947 Depth=2
	v_and_b32_e32 v22, 0x7fffff, v3
	v_bfe_u32 v3, v3, 23, 8
	v_cmp_gt_u32_e64 s[22:23], s64, v3
	v_sub_u32_e32 v23, 0x79, v3
	v_cmp_eq_u32_e32 vcc, 0, v3
	v_cndmask_b32_e64 v23, 0, v23, s[22:23]
	v_mov_b32_e32 v29, 0x78
	v_or_b32_e32 v24, 0x800000, v22
	v_cndmask_b32_e32 v29, v23, v29, vcc
	v_cndmask_b32_e32 v60, v24, v22, vcc
	v_add_u32_e32 v22, 20, v29
	v_lshlrev_b64 v[22:23], v22, -1
	v_add_u32_e32 v24, 19, v29
	v_lshlrev_b64 v[30:31], v24, 1
	v_bfi_b32 v23, v23, 0, 0
	v_bfi_b32 v22, v22, 0, v60
	v_cmp_eq_u64_e64 s[22:23], v[22:23], v[30:31]
	v_lshrrev_b64 v[22:23], v29, v[60:61]
	v_mov_b32_e32 v24, v23
	v_mov_b32_e32 v23, v22
	s_and_saveexec_b64 s[36:37], s[22:23]
; %bb.3231:                             ;   in Loop: Header=BB6_2947 Depth=2
	v_bfe_u32 v23, v22, 20, 1
	v_add_co_u32_e64 v23, s[22:23], v22, v23
	v_add_co_u32_e64 v23, s[22:23], -1, v23
; %bb.3232:                             ;   in Loop: Header=BB6_2947 Depth=2
	s_or_b64 exec, exec, s[36:37]
	v_add_u32_e32 v3, 0xffffff81, v3
	v_cndmask_b32_e32 v3, v3, v41, vcc
	v_lshrrev_b32_e32 v24, 23, v22
	v_add3_u32 v29, v29, v3, v24
	v_add_u32_e32 v24, 6, v29
	v_and_b32_e32 v3, 0xfffff, v23
	v_add_u32_e32 v60, v3, v22
	v_cmp_ne_u32_e32 vcc, 0, v24
                                        ; implicit-def: $vgpr22_vgpr23
                                        ; implicit-def: $vgpr3
	s_and_saveexec_b64 s[22:23], vcc
	s_xor_b64 s[22:23], exec, s[22:23]
; %bb.3233:                             ;   in Loop: Header=BB6_2947 Depth=2
	v_cmp_lt_u64_e32 vcc, s[76:77], v[60:61]
	v_add_u32_e32 v3, 7, v29
	v_cndmask_b32_e64 v22, 0, 1, vcc
	v_cndmask_b32_e32 v3, v24, v3, vcc
	v_lshrrev_b64 v[22:23], v22, v[60:61]
; %bb.3234:                             ;   in Loop: Header=BB6_2947 Depth=2
	s_andn2_saveexec_b64 s[22:23], s[22:23]
; %bb.3235:                             ;   in Loop: Header=BB6_2947 Depth=2
	v_mov_b32_e32 v22, v60
	v_bfe_u32 v3, v60, 23, 1
	v_mov_b32_e32 v23, v61
; %bb.3236:                             ;   in Loop: Header=BB6_2947 Depth=2
	s_or_b64 exec, exec, s[22:23]
	v_lshrrev_b64 v[22:23], 20, v[22:23]
	v_cmp_gt_i32_e32 vcc, 16, v3
	v_cndmask_b32_e32 v23, 0, v23, vcc
	v_cndmask_b32_e32 v22, 7, v22, vcc
	v_cmp_eq_u32_e32 vcc, 0, v3
	v_min_i32_e32 v3, 15, v3
	v_cmp_eq_u64_e64 s[22:23], 0, v[22:23]
	v_lshlrev_b32_e32 v3, 3, v3
	v_and_b32_e32 v3, 0xf8, v3
	v_and_or_b32 v3, v22, 7, v3
	s_and_b64 s[22:23], vcc, s[22:23]
	v_cndmask_b32_e64 v3, v3, 0, s[22:23]
	v_or_b32_e32 v24, v3, v2
.LBB6_3237:                             ;   in Loop: Header=BB6_2947 Depth=2
	s_or_b64 exec, exec, s[28:29]
                                        ; implicit-def: $vgpr2
.LBB6_3238:                             ;   in Loop: Header=BB6_2947 Depth=2
	s_andn2_saveexec_b64 s[22:23], s[26:27]
; %bb.3239:                             ;   in Loop: Header=BB6_2947 Depth=2
	v_or_b32_e32 v24, 0x7e, v2
; %bb.3240:                             ;   in Loop: Header=BB6_2947 Depth=2
	s_or_b64 exec, exec, s[22:23]
                                        ; implicit-def: $vgpr3
.LBB6_3241:                             ;   in Loop: Header=BB6_2947 Depth=2
	s_andn2_saveexec_b64 s[22:23], s[24:25]
; %bb.3242:                             ;   in Loop: Header=BB6_2947 Depth=2
	v_or_b32_sdwa v24, v3, s54 dst_sel:DWORD dst_unused:UNUSED_PAD src0_sel:BYTE_3 src1_sel:DWORD
; %bb.3243:                             ;   in Loop: Header=BB6_2947 Depth=2
	s_or_b64 exec, exec, s[22:23]
	v_cmp_gt_u64_e64 s[22:23], s[58:59], v[14:15]
	v_bfe_u32 v14, v15, 24, 3
	v_bfe_u32 v3, v15, 24, 7
	v_cmp_eq_u32_e64 s[26:27], s54, v3
	v_cmp_gt_u32_e32 vcc, 8, v3
	v_ffbh_u32_e32 v3, v14
	v_min_u32_e32 v29, 32, v3
	v_lshrrev_b32_e32 v2, 24, v15
	v_subrev_u32_e32 v3, 28, v29
	v_bfe_u32 v23, v2, 3, 4
	v_cmp_eq_u32_e64 s[24:25], s53, v2
	v_lshlrev_b64 v[2:3], v3, v[2:3]
	v_sub_u32_e32 v3, 29, v29
	v_and_b32_e32 v2, 7, v2
	v_cndmask_b32_e32 v3, v23, v3, vcc
	v_cndmask_b32_e32 v2, v14, v2, vcc
	v_lshlrev_b32_e32 v2, 20, v2
	v_and_b32_e32 v14, 0x80000000, v15
	v_lshl_add_u32 v3, v3, 23, v62
	v_cmp_lt_u64_e64 s[28:29], s[78:79], v[10:11]
	v_lshrrev_b32_e32 v22, 24, v11
	v_or3_b32 v2, v14, v3, v2
	s_mov_b64 s[36:37], -1
	s_and_b64 vcc, exec, s[34:35]
                                        ; implicit-def: $vgpr3
	s_cbranch_vccz .LBB6_3251
; %bb.3244:                             ;   in Loop: Header=BB6_2947 Depth=2
	v_mov_b32_e32 v3, 0
	s_and_saveexec_b64 s[36:37], s[28:29]
	s_cbranch_execz .LBB6_3250
; %bb.3245:                             ;   in Loop: Header=BB6_2947 Depth=2
	v_cmp_ne_u32_e32 vcc, s53, v22
	v_bfrev_b32_e32 v3, 1
	s_and_saveexec_b64 s[38:39], vcc
	s_cbranch_execz .LBB6_3249
; %bb.3246:                             ;   in Loop: Header=BB6_2947 Depth=2
	v_bfe_u32 v10, v11, 24, 7
	v_cmp_ne_u32_e32 vcc, s54, v10
	v_mov_b32_e32 v3, 0x7f800001
	s_and_saveexec_b64 s[48:49], vcc
	s_cbranch_execz .LBB6_3248
; %bb.3247:                             ;   in Loop: Header=BB6_2947 Depth=2
	v_and_b32_e32 v3, 7, v22
	v_lshrrev_b32_e32 v23, 3, v10
	v_cmp_gt_u32_e32 vcc, 8, v10
	v_ffbh_u32_e32 v10, v3
	v_min_u32_e32 v10, 32, v10
	v_subrev_u32_e32 v14, 28, v10
	v_lshlrev_b64 v[14:15], v14, v[22:23]
	v_sub_u32_e32 v10, 29, v10
	v_and_b32_e32 v14, 7, v14
	v_cndmask_b32_e32 v10, v23, v10, vcc
	v_cndmask_b32_e32 v3, v3, v14, vcc
	v_lshlrev_b32_e32 v14, 24, v22
	v_lshlrev_b32_e32 v3, 20, v3
	v_and_b32_e32 v14, 0x80000000, v14
	v_lshl_add_u32 v10, v10, 23, v62
	v_or3_b32 v3, v14, v10, v3
.LBB6_3248:                             ;   in Loop: Header=BB6_2947 Depth=2
	s_or_b64 exec, exec, s[48:49]
.LBB6_3249:                             ;   in Loop: Header=BB6_2947 Depth=2
	s_or_b64 exec, exec, s[38:39]
.LBB6_3250:                             ;   in Loop: Header=BB6_2947 Depth=2
	s_or_b64 exec, exec, s[36:37]
	v_cndmask_b32_e64 v10, v2, v40, s[26:27]
	v_cndmask_b32_e64 v10, v10, v54, s[24:25]
	;; [unrolled: 1-line block ×3, first 2 shown]
	v_max_f32_e32 v10, v10, v10
	v_max_f32_e32 v3, v3, v3
	;; [unrolled: 1-line block ×3, first 2 shown]
	s_mov_b64 s[36:37], 0
.LBB6_3251:                             ;   in Loop: Header=BB6_2947 Depth=2
	s_and_b64 vcc, exec, s[36:37]
	s_cbranch_vccz .LBB6_3259
; %bb.3252:                             ;   in Loop: Header=BB6_2947 Depth=2
	v_mov_b32_e32 v3, 0
	s_and_saveexec_b64 s[36:37], s[28:29]
	s_cbranch_execz .LBB6_3258
; %bb.3253:                             ;   in Loop: Header=BB6_2947 Depth=2
	v_cmp_ne_u32_e32 vcc, s53, v22
	v_bfrev_b32_e32 v3, 1
	s_and_saveexec_b64 s[28:29], vcc
	s_cbranch_execz .LBB6_3257
; %bb.3254:                             ;   in Loop: Header=BB6_2947 Depth=2
	v_bfe_u32 v10, v11, 24, 7
	v_cmp_ne_u32_e32 vcc, s54, v10
	v_mov_b32_e32 v3, 0x7f800001
	s_and_saveexec_b64 s[38:39], vcc
	s_cbranch_execz .LBB6_3256
; %bb.3255:                             ;   in Loop: Header=BB6_2947 Depth=2
	v_and_b32_e32 v3, 7, v22
	v_lshrrev_b32_e32 v14, 3, v10
	v_cmp_gt_u32_e32 vcc, 8, v10
	v_ffbh_u32_e32 v10, v3
	v_min_u32_e32 v15, 32, v10
	v_subrev_u32_e32 v10, 28, v15
	v_lshlrev_b64 v[10:11], v10, v[22:23]
	v_sub_u32_e32 v11, 29, v15
	v_and_b32_e32 v10, 7, v10
	v_cndmask_b32_e32 v11, v14, v11, vcc
	v_cndmask_b32_e32 v3, v3, v10, vcc
	v_lshlrev_b32_e32 v10, 24, v22
	v_lshlrev_b32_e32 v3, 20, v3
	v_and_b32_e32 v10, 0x80000000, v10
	v_lshl_add_u32 v11, v11, 23, v62
	v_or3_b32 v3, v10, v11, v3
.LBB6_3256:                             ;   in Loop: Header=BB6_2947 Depth=2
	s_or_b64 exec, exec, s[38:39]
.LBB6_3257:                             ;   in Loop: Header=BB6_2947 Depth=2
	s_or_b64 exec, exec, s[28:29]
.LBB6_3258:                             ;   in Loop: Header=BB6_2947 Depth=2
	s_or_b64 exec, exec, s[36:37]
	v_cndmask_b32_e64 v2, v2, v40, s[26:27]
	v_cndmask_b32_e64 v2, v2, v54, s[24:25]
	;; [unrolled: 1-line block ×3, first 2 shown]
	v_max_f32_e32 v2, v2, v2
	v_max_f32_e32 v3, v3, v3
	v_min_f32_e32 v3, v3, v2
.LBB6_3259:                             ;   in Loop: Header=BB6_2947 Depth=2
	v_and_b32_e32 v60, 0x7f800000, v3
	v_cmp_ne_u64_e32 vcc, s[72:73], v[60:61]
                                        ; implicit-def: $vgpr29
	s_and_saveexec_b64 s[22:23], vcc
	s_xor_b64 s[24:25], exec, s[22:23]
	s_cbranch_execz .LBB6_3273
; %bb.3260:                             ;   in Loop: Header=BB6_2947 Depth=2
	v_and_b32_e32 v60, 0x7fffffff, v3
	v_cmp_gt_u64_e32 vcc, s[74:75], v[60:61]
	v_and_b32_sdwa v2, v3, s53 dst_sel:DWORD dst_unused:UNUSED_PAD src0_sel:BYTE_3 src1_sel:DWORD
                                        ; implicit-def: $vgpr29
	s_and_saveexec_b64 s[22:23], vcc
	s_xor_b64 s[26:27], exec, s[22:23]
	s_cbranch_execz .LBB6_3270
; %bb.3261:                             ;   in Loop: Header=BB6_2947 Depth=2
	v_mov_b32_e32 v29, 0
	v_cmp_ne_u32_e32 vcc, 0, v3
	s_and_saveexec_b64 s[28:29], vcc
	s_cbranch_execz .LBB6_3269
; %bb.3262:                             ;   in Loop: Header=BB6_2947 Depth=2
	v_and_b32_e32 v10, 0x7fffff, v3
	v_bfe_u32 v3, v3, 23, 8
	v_cmp_gt_u32_e64 s[22:23], s64, v3
	v_sub_u32_e32 v11, 0x79, v3
	v_cmp_eq_u32_e32 vcc, 0, v3
	v_cndmask_b32_e64 v11, 0, v11, s[22:23]
	v_mov_b32_e32 v15, 0x78
	v_or_b32_e32 v14, 0x800000, v10
	v_cndmask_b32_e32 v22, v11, v15, vcc
	v_cndmask_b32_e32 v60, v14, v10, vcc
	v_add_u32_e32 v10, 20, v22
	v_lshlrev_b64 v[10:11], v10, -1
	v_add_u32_e32 v14, 19, v22
	v_lshlrev_b64 v[14:15], v14, 1
	v_bfi_b32 v11, v11, 0, 0
	v_bfi_b32 v10, v10, 0, v60
	v_cmp_eq_u64_e64 s[22:23], v[10:11], v[14:15]
	v_lshrrev_b64 v[10:11], v22, v[60:61]
	v_mov_b32_e32 v15, v11
	v_mov_b32_e32 v14, v10
	s_and_saveexec_b64 s[36:37], s[22:23]
; %bb.3263:                             ;   in Loop: Header=BB6_2947 Depth=2
	v_bfe_u32 v11, v10, 20, 1
	v_add_co_u32_e64 v11, s[22:23], v10, v11
	v_add_co_u32_e64 v14, s[22:23], -1, v11
; %bb.3264:                             ;   in Loop: Header=BB6_2947 Depth=2
	s_or_b64 exec, exec, s[36:37]
	v_add_u32_e32 v3, 0xffffff81, v3
	v_cndmask_b32_e32 v3, v3, v41, vcc
	v_lshrrev_b32_e32 v11, 23, v10
	v_add3_u32 v22, v22, v3, v11
	v_add_u32_e32 v15, 6, v22
	v_and_b32_e32 v3, 0xfffff, v14
	v_add_u32_e32 v60, v3, v10
	v_cmp_ne_u32_e32 vcc, 0, v15
                                        ; implicit-def: $vgpr10_vgpr11
                                        ; implicit-def: $vgpr3
	s_and_saveexec_b64 s[22:23], vcc
	s_xor_b64 s[22:23], exec, s[22:23]
; %bb.3265:                             ;   in Loop: Header=BB6_2947 Depth=2
	v_cmp_lt_u64_e32 vcc, s[76:77], v[60:61]
	v_add_u32_e32 v3, 7, v22
	v_cndmask_b32_e64 v10, 0, 1, vcc
	v_cndmask_b32_e32 v3, v15, v3, vcc
	v_lshrrev_b64 v[10:11], v10, v[60:61]
; %bb.3266:                             ;   in Loop: Header=BB6_2947 Depth=2
	s_andn2_saveexec_b64 s[22:23], s[22:23]
; %bb.3267:                             ;   in Loop: Header=BB6_2947 Depth=2
	v_mov_b32_e32 v10, v60
	v_bfe_u32 v3, v60, 23, 1
	v_mov_b32_e32 v11, v61
; %bb.3268:                             ;   in Loop: Header=BB6_2947 Depth=2
	s_or_b64 exec, exec, s[22:23]
	v_lshrrev_b64 v[10:11], 20, v[10:11]
	v_cmp_gt_i32_e32 vcc, 16, v3
	v_cndmask_b32_e32 v11, 0, v11, vcc
	v_cndmask_b32_e32 v10, 7, v10, vcc
	v_cmp_eq_u32_e32 vcc, 0, v3
	v_min_i32_e32 v3, 15, v3
	v_cmp_eq_u64_e64 s[22:23], 0, v[10:11]
	v_lshlrev_b32_e32 v3, 3, v3
	v_and_b32_e32 v3, 0xf8, v3
	v_and_or_b32 v3, v10, 7, v3
	s_and_b64 s[22:23], vcc, s[22:23]
	v_cndmask_b32_e64 v3, v3, 0, s[22:23]
	v_or_b32_e32 v29, v3, v2
.LBB6_3269:                             ;   in Loop: Header=BB6_2947 Depth=2
	s_or_b64 exec, exec, s[28:29]
                                        ; implicit-def: $vgpr2
.LBB6_3270:                             ;   in Loop: Header=BB6_2947 Depth=2
	s_andn2_saveexec_b64 s[22:23], s[26:27]
; %bb.3271:                             ;   in Loop: Header=BB6_2947 Depth=2
	v_or_b32_e32 v29, 0x7e, v2
; %bb.3272:                             ;   in Loop: Header=BB6_2947 Depth=2
	s_or_b64 exec, exec, s[22:23]
                                        ; implicit-def: $vgpr3
.LBB6_3273:                             ;   in Loop: Header=BB6_2947 Depth=2
	s_andn2_saveexec_b64 s[22:23], s[24:25]
; %bb.3274:                             ;   in Loop: Header=BB6_2947 Depth=2
	v_or_b32_sdwa v29, v3, s54 dst_sel:DWORD dst_unused:UNUSED_PAD src0_sel:BYTE_3 src1_sel:DWORD
; %bb.3275:                             ;   in Loop: Header=BB6_2947 Depth=2
	s_or_b64 exec, exec, s[22:23]
	v_and_b32_e32 v2, 7, v16
	v_ffbh_u32_e32 v2, v2
	v_and_b32_e32 v3, 0x7f, v16
	v_min_u32_e32 v2, 32, v2
	v_bfe_u32 v10, v16, 3, 4
	v_cmp_eq_u32_e64 s[22:23], s54, v3
	v_cmp_gt_u32_e32 vcc, 8, v3
	v_subrev_u32_e32 v3, 28, v2
	v_sub_u32_e32 v2, 29, v2
	v_cndmask_b32_e32 v10, v10, v2, vcc
	v_cndmask_b32_e32 v2, 0, v3, vcc
	v_lshlrev_b64 v[2:3], v2, v[16:17]
	v_lshlrev_b32_e32 v3, 24, v16
	v_lshlrev_b32_e32 v2, 20, v2
	v_and_b32_e32 v2, 0x700000, v2
	v_and_b32_e32 v3, 0x80000000, v3
	v_lshl_add_u32 v10, v10, 23, v62
	v_or3_b32 v2, v3, v10, v2
	v_cmp_ne_u16_sdwa s[24:25], v12, v61 src0_sel:BYTE_0 src1_sel:DWORD
	s_mov_b64 s[26:27], -1
	s_and_b64 vcc, exec, s[34:35]
                                        ; implicit-def: $vgpr3
	s_cbranch_vccz .LBB6_3289
; %bb.3276:                             ;   in Loop: Header=BB6_2947 Depth=2
	v_mov_b32_e32 v3, 0
	s_and_saveexec_b64 s[26:27], s[24:25]
	s_cbranch_execz .LBB6_3282
; %bb.3277:                             ;   in Loop: Header=BB6_2947 Depth=2
	v_cmp_ne_u16_sdwa vcc, v12, s53 src0_sel:BYTE_0 src1_sel:DWORD
	v_bfrev_b32_e32 v3, 1
	s_and_saveexec_b64 s[28:29], vcc
	s_cbranch_execz .LBB6_3281
; %bb.3278:                             ;   in Loop: Header=BB6_2947 Depth=2
	v_and_b32_e32 v10, 0x7f, v12
	v_cmp_ne_u32_e32 vcc, s54, v10
	v_mov_b32_e32 v3, 0x7f800001
	s_and_saveexec_b64 s[36:37], vcc
	s_cbranch_execz .LBB6_3280
; %bb.3279:                             ;   in Loop: Header=BB6_2947 Depth=2
	v_and_b32_e32 v3, 7, v12
	v_ffbh_u32_e32 v3, v3
	v_min_u32_e32 v3, 32, v3
	v_lshrrev_b32_e32 v11, 3, v10
	v_cmp_gt_u32_e32 vcc, 8, v10
	v_subrev_u32_e32 v10, 28, v3
	v_sub_u32_e32 v3, 29, v3
	v_cndmask_b32_e32 v10, 0, v10, vcc
	v_cndmask_b32_e32 v3, v11, v3, vcc
	v_lshlrev_b64 v[10:11], v10, v[12:13]
	v_lshlrev_b32_e32 v11, 24, v12
	v_lshlrev_b32_e32 v10, 20, v10
	v_and_b32_e32 v10, 0x700000, v10
	v_and_b32_e32 v11, 0x80000000, v11
	v_lshl_add_u32 v3, v3, 23, v62
	v_or3_b32 v3, v11, v3, v10
.LBB6_3280:                             ;   in Loop: Header=BB6_2947 Depth=2
	s_or_b64 exec, exec, s[36:37]
.LBB6_3281:                             ;   in Loop: Header=BB6_2947 Depth=2
	s_or_b64 exec, exec, s[28:29]
.LBB6_3282:                             ;   in Loop: Header=BB6_2947 Depth=2
	s_or_b64 exec, exec, s[26:27]
	v_cmp_gt_i16_sdwa s[28:29], v16, s54 src0_sel:BYTE_0 src1_sel:DWORD
	s_mov_b64 s[26:27], 0
	s_and_saveexec_b64 vcc, s[28:29]
	s_xor_b64 s[28:29], exec, vcc
	s_cbranch_execz .LBB6_3627
; %bb.3283:                             ;   in Loop: Header=BB6_2947 Depth=2
	v_cmp_eq_u16_sdwa s[36:37], v16, s53 src0_sel:BYTE_0 src1_sel:DWORD
	s_mov_b64 s[26:27], -1
	s_and_saveexec_b64 vcc, s[36:37]
; %bb.3284:                             ;   in Loop: Header=BB6_2947 Depth=2
	s_xor_b64 s[26:27], exec, -1
; %bb.3285:                             ;   in Loop: Header=BB6_2947 Depth=2
	s_or_b64 exec, exec, vcc
	s_and_b64 s[26:27], s[26:27], exec
	s_or_saveexec_b64 s[28:29], s[28:29]
	v_bfrev_b32_e32 v10, 1
	s_xor_b64 exec, exec, s[28:29]
	s_cbranch_execnz .LBB6_3628
.LBB6_3286:                             ;   in Loop: Header=BB6_2947 Depth=2
	s_or_b64 exec, exec, s[28:29]
	s_and_saveexec_b64 s[28:29], s[26:27]
.LBB6_3287:                             ;   in Loop: Header=BB6_2947 Depth=2
	v_cndmask_b32_e64 v10, v2, v40, s[22:23]
.LBB6_3288:                             ;   in Loop: Header=BB6_2947 Depth=2
	s_or_b64 exec, exec, s[28:29]
	v_max_f32_e32 v10, v10, v10
	v_max_f32_e32 v3, v3, v3
	;; [unrolled: 1-line block ×3, first 2 shown]
	s_mov_b64 s[26:27], 0
.LBB6_3289:                             ;   in Loop: Header=BB6_2947 Depth=2
	s_and_b64 vcc, exec, s[26:27]
	s_cbranch_vccz .LBB6_3303
; %bb.3290:                             ;   in Loop: Header=BB6_2947 Depth=2
	v_mov_b32_e32 v3, 0
	s_and_saveexec_b64 s[26:27], s[24:25]
	s_cbranch_execz .LBB6_3296
; %bb.3291:                             ;   in Loop: Header=BB6_2947 Depth=2
	v_cmp_ne_u16_sdwa s[28:29], v12, s53 src0_sel:BYTE_0 src1_sel:DWORD
	v_bfrev_b32_e32 v3, 1
	s_and_saveexec_b64 s[24:25], s[28:29]
	s_cbranch_execz .LBB6_3295
; %bb.3292:                             ;   in Loop: Header=BB6_2947 Depth=2
	v_and_b32_e32 v10, 0x7f, v12
	v_cmp_ne_u32_e32 vcc, s54, v10
	v_mov_b32_e32 v3, 0x7f800001
	s_and_saveexec_b64 s[28:29], vcc
	s_cbranch_execz .LBB6_3294
; %bb.3293:                             ;   in Loop: Header=BB6_2947 Depth=2
	v_and_b32_e32 v3, 7, v12
	v_ffbh_u32_e32 v3, v3
	v_min_u32_e32 v3, 32, v3
	v_lshrrev_b32_e32 v11, 3, v10
	v_cmp_gt_u32_e32 vcc, 8, v10
	v_subrev_u32_e32 v10, 28, v3
	v_sub_u32_e32 v3, 29, v3
	v_cndmask_b32_e32 v10, 0, v10, vcc
	v_cndmask_b32_e32 v3, v11, v3, vcc
	v_lshlrev_b64 v[10:11], v10, v[12:13]
	v_lshlrev_b32_e32 v11, 24, v12
	v_lshlrev_b32_e32 v10, 20, v10
	v_and_b32_e32 v10, 0x700000, v10
	v_and_b32_e32 v11, 0x80000000, v11
	v_lshl_add_u32 v3, v3, 23, v62
	v_or3_b32 v3, v11, v3, v10
.LBB6_3294:                             ;   in Loop: Header=BB6_2947 Depth=2
	s_or_b64 exec, exec, s[28:29]
.LBB6_3295:                             ;   in Loop: Header=BB6_2947 Depth=2
	s_or_b64 exec, exec, s[24:25]
.LBB6_3296:                             ;   in Loop: Header=BB6_2947 Depth=2
	s_or_b64 exec, exec, s[26:27]
	v_cmp_gt_i16_sdwa s[26:27], v16, s54 src0_sel:BYTE_0 src1_sel:DWORD
	s_mov_b64 s[24:25], 0
	s_and_saveexec_b64 s[28:29], s[26:27]
	s_xor_b64 s[26:27], exec, s[28:29]
	s_cbranch_execz .LBB6_3629
; %bb.3297:                             ;   in Loop: Header=BB6_2947 Depth=2
	v_cmp_eq_u16_sdwa vcc, v16, s53 src0_sel:BYTE_0 src1_sel:DWORD
	s_mov_b64 s[24:25], -1
	s_and_saveexec_b64 s[28:29], vcc
; %bb.3298:                             ;   in Loop: Header=BB6_2947 Depth=2
	s_xor_b64 s[24:25], exec, -1
; %bb.3299:                             ;   in Loop: Header=BB6_2947 Depth=2
	s_or_b64 exec, exec, s[28:29]
	s_and_b64 s[24:25], s[24:25], exec
	s_or_saveexec_b64 s[26:27], s[26:27]
	v_bfrev_b32_e32 v10, 1
	s_xor_b64 exec, exec, s[26:27]
	s_cbranch_execnz .LBB6_3630
.LBB6_3300:                             ;   in Loop: Header=BB6_2947 Depth=2
	s_or_b64 exec, exec, s[26:27]
	s_and_saveexec_b64 s[26:27], s[24:25]
.LBB6_3301:                             ;   in Loop: Header=BB6_2947 Depth=2
	v_cndmask_b32_e64 v10, v2, v40, s[22:23]
.LBB6_3302:                             ;   in Loop: Header=BB6_2947 Depth=2
	s_or_b64 exec, exec, s[26:27]
	v_max_f32_e32 v2, v10, v10
	v_max_f32_e32 v3, v3, v3
	v_min_f32_e32 v3, v3, v2
.LBB6_3303:                             ;   in Loop: Header=BB6_2947 Depth=2
	v_and_b32_e32 v60, 0x7f800000, v3
	v_cmp_ne_u64_e32 vcc, s[72:73], v[60:61]
                                        ; implicit-def: $vgpr30
	s_and_saveexec_b64 s[22:23], vcc
	s_xor_b64 s[24:25], exec, s[22:23]
	s_cbranch_execz .LBB6_3317
; %bb.3304:                             ;   in Loop: Header=BB6_2947 Depth=2
	v_and_b32_e32 v60, 0x7fffffff, v3
	v_cmp_gt_u64_e32 vcc, s[74:75], v[60:61]
	v_and_b32_sdwa v2, v3, s53 dst_sel:DWORD dst_unused:UNUSED_PAD src0_sel:BYTE_3 src1_sel:DWORD
                                        ; implicit-def: $vgpr30
	s_and_saveexec_b64 s[22:23], vcc
	s_xor_b64 s[26:27], exec, s[22:23]
	s_cbranch_execz .LBB6_3314
; %bb.3305:                             ;   in Loop: Header=BB6_2947 Depth=2
	v_mov_b32_e32 v30, 0
	v_cmp_ne_u32_e32 vcc, 0, v3
	s_and_saveexec_b64 s[28:29], vcc
	s_cbranch_execz .LBB6_3313
; %bb.3306:                             ;   in Loop: Header=BB6_2947 Depth=2
	v_and_b32_e32 v10, 0x7fffff, v3
	v_bfe_u32 v3, v3, 23, 8
	v_cmp_gt_u32_e64 s[22:23], s64, v3
	v_sub_u32_e32 v11, 0x79, v3
	v_cmp_eq_u32_e32 vcc, 0, v3
	v_cndmask_b32_e64 v11, 0, v11, s[22:23]
	v_mov_b32_e32 v15, 0x78
	v_or_b32_e32 v14, 0x800000, v10
	v_cndmask_b32_e32 v22, v11, v15, vcc
	v_cndmask_b32_e32 v60, v14, v10, vcc
	v_add_u32_e32 v10, 20, v22
	v_lshlrev_b64 v[10:11], v10, -1
	v_add_u32_e32 v14, 19, v22
	v_lshlrev_b64 v[14:15], v14, 1
	v_bfi_b32 v11, v11, 0, 0
	v_bfi_b32 v10, v10, 0, v60
	v_cmp_eq_u64_e64 s[22:23], v[10:11], v[14:15]
	v_lshrrev_b64 v[10:11], v22, v[60:61]
	v_mov_b32_e32 v15, v11
	v_mov_b32_e32 v14, v10
	s_and_saveexec_b64 s[36:37], s[22:23]
; %bb.3307:                             ;   in Loop: Header=BB6_2947 Depth=2
	v_bfe_u32 v11, v10, 20, 1
	v_add_co_u32_e64 v11, s[22:23], v10, v11
	v_add_co_u32_e64 v14, s[22:23], -1, v11
; %bb.3308:                             ;   in Loop: Header=BB6_2947 Depth=2
	s_or_b64 exec, exec, s[36:37]
	v_add_u32_e32 v3, 0xffffff81, v3
	v_cndmask_b32_e32 v3, v3, v41, vcc
	v_lshrrev_b32_e32 v11, 23, v10
	v_add3_u32 v22, v22, v3, v11
	v_add_u32_e32 v15, 6, v22
	v_and_b32_e32 v3, 0xfffff, v14
	v_add_u32_e32 v60, v3, v10
	v_cmp_ne_u32_e32 vcc, 0, v15
                                        ; implicit-def: $vgpr10_vgpr11
                                        ; implicit-def: $vgpr3
	s_and_saveexec_b64 s[22:23], vcc
	s_xor_b64 s[22:23], exec, s[22:23]
; %bb.3309:                             ;   in Loop: Header=BB6_2947 Depth=2
	v_cmp_lt_u64_e32 vcc, s[76:77], v[60:61]
	v_add_u32_e32 v3, 7, v22
	v_cndmask_b32_e64 v10, 0, 1, vcc
	v_cndmask_b32_e32 v3, v15, v3, vcc
	v_lshrrev_b64 v[10:11], v10, v[60:61]
; %bb.3310:                             ;   in Loop: Header=BB6_2947 Depth=2
	s_andn2_saveexec_b64 s[22:23], s[22:23]
; %bb.3311:                             ;   in Loop: Header=BB6_2947 Depth=2
	v_mov_b32_e32 v10, v60
	v_bfe_u32 v3, v60, 23, 1
	v_mov_b32_e32 v11, v61
; %bb.3312:                             ;   in Loop: Header=BB6_2947 Depth=2
	s_or_b64 exec, exec, s[22:23]
	v_lshrrev_b64 v[10:11], 20, v[10:11]
	v_cmp_gt_i32_e32 vcc, 16, v3
	v_cndmask_b32_e32 v11, 0, v11, vcc
	v_cndmask_b32_e32 v10, 7, v10, vcc
	v_cmp_eq_u32_e32 vcc, 0, v3
	v_min_i32_e32 v3, 15, v3
	v_cmp_eq_u64_e64 s[22:23], 0, v[10:11]
	v_lshlrev_b32_e32 v3, 3, v3
	v_and_b32_e32 v3, 0xf8, v3
	v_and_or_b32 v3, v10, 7, v3
	s_and_b64 s[22:23], vcc, s[22:23]
	v_cndmask_b32_e64 v3, v3, 0, s[22:23]
	v_or_b32_e32 v30, v3, v2
.LBB6_3313:                             ;   in Loop: Header=BB6_2947 Depth=2
	s_or_b64 exec, exec, s[28:29]
                                        ; implicit-def: $vgpr2
.LBB6_3314:                             ;   in Loop: Header=BB6_2947 Depth=2
	s_andn2_saveexec_b64 s[22:23], s[26:27]
; %bb.3315:                             ;   in Loop: Header=BB6_2947 Depth=2
	v_or_b32_e32 v30, 0x7e, v2
; %bb.3316:                             ;   in Loop: Header=BB6_2947 Depth=2
	s_or_b64 exec, exec, s[22:23]
                                        ; implicit-def: $vgpr3
.LBB6_3317:                             ;   in Loop: Header=BB6_2947 Depth=2
	s_andn2_saveexec_b64 s[22:23], s[24:25]
; %bb.3318:                             ;   in Loop: Header=BB6_2947 Depth=2
	v_or_b32_sdwa v30, v3, s54 dst_sel:DWORD dst_unused:UNUSED_PAD src0_sel:BYTE_3 src1_sel:DWORD
; %bb.3319:                             ;   in Loop: Header=BB6_2947 Depth=2
	s_or_b64 exec, exec, s[22:23]
	v_lshrrev_b16_e32 v60, 8, v16
	v_and_b32_e32 v11, 7, v60
	v_and_b32_e32 v2, 0x7f, v60
	v_cmp_eq_u32_e64 s[22:23], s54, v2
	v_cmp_gt_u32_e32 vcc, 8, v2
	v_ffbh_u32_e32 v2, v11
	v_min_u32_e32 v15, 32, v2
	v_subrev_u32_e32 v2, 28, v15
	v_lshlrev_b64 v[2:3], v2, v[60:61]
	v_bfe_u32 v14, v60, 3, 4
	v_sub_u32_e32 v3, 29, v15
	v_and_b32_e32 v2, 7, v2
	v_cndmask_b32_e32 v3, v14, v3, vcc
	v_cndmask_b32_e32 v2, v11, v2, vcc
	v_lshlrev_b32_e32 v11, 24, v60
	v_lshrrev_b16_e32 v10, 8, v12
	v_lshlrev_b32_e32 v2, 20, v2
	v_and_b32_e32 v11, 0x80000000, v11
	v_lshl_add_u32 v3, v3, 23, v62
	v_or3_b32 v2, v11, v3, v2
	v_cmp_ne_u16_e64 s[24:25], 0, v10
	s_mov_b64 s[26:27], -1
	s_and_b64 vcc, exec, s[34:35]
                                        ; implicit-def: $vgpr3
	s_cbranch_vccz .LBB6_3333
; %bb.3320:                             ;   in Loop: Header=BB6_2947 Depth=2
	v_mov_b32_e32 v3, 0
	s_and_saveexec_b64 s[26:27], s[24:25]
	s_cbranch_execz .LBB6_3326
; %bb.3321:                             ;   in Loop: Header=BB6_2947 Depth=2
	v_cmp_ne_u16_e32 vcc, s53, v10
	v_bfrev_b32_e32 v3, 1
	s_and_saveexec_b64 s[28:29], vcc
	s_cbranch_execz .LBB6_3325
; %bb.3322:                             ;   in Loop: Header=BB6_2947 Depth=2
	v_and_b32_e32 v11, 0x7f, v10
	v_cmp_ne_u32_e32 vcc, s54, v11
	v_mov_b32_e32 v3, 0x7f800001
	s_and_saveexec_b64 s[36:37], vcc
	s_cbranch_execz .LBB6_3324
; %bb.3323:                             ;   in Loop: Header=BB6_2947 Depth=2
	v_and_b32_e32 v3, 7, v10
	v_lshrrev_b32_e32 v22, 3, v11
	v_cmp_gt_u32_e32 vcc, 8, v11
	v_ffbh_u32_e32 v11, v3
	v_min_u32_e32 v11, 32, v11
	v_subrev_u32_e32 v14, 28, v11
	v_lshlrev_b64 v[14:15], v14, v[10:11]
	v_sub_u32_e32 v11, 29, v11
	v_and_b32_e32 v14, 7, v14
	v_cndmask_b32_e32 v11, v22, v11, vcc
	v_cndmask_b32_e32 v3, v3, v14, vcc
	v_lshlrev_b32_e32 v14, 16, v12
	v_lshlrev_b32_e32 v3, 20, v3
	v_and_b32_e32 v14, 0x80000000, v14
	v_lshl_add_u32 v11, v11, 23, v62
	v_or3_b32 v3, v14, v11, v3
.LBB6_3324:                             ;   in Loop: Header=BB6_2947 Depth=2
	s_or_b64 exec, exec, s[36:37]
.LBB6_3325:                             ;   in Loop: Header=BB6_2947 Depth=2
	s_or_b64 exec, exec, s[28:29]
.LBB6_3326:                             ;   in Loop: Header=BB6_2947 Depth=2
	s_or_b64 exec, exec, s[26:27]
	v_cmp_lt_i16_e32 vcc, s54, v60
	s_mov_b64 s[26:27], 0
	s_and_saveexec_b64 s[28:29], vcc
	s_xor_b64 s[28:29], exec, s[28:29]
	s_cbranch_execz .LBB6_3631
; %bb.3327:                             ;   in Loop: Header=BB6_2947 Depth=2
	v_cmp_eq_u16_e32 vcc, s53, v60
	s_mov_b64 s[26:27], -1
	s_and_saveexec_b64 s[36:37], vcc
; %bb.3328:                             ;   in Loop: Header=BB6_2947 Depth=2
	s_xor_b64 s[26:27], exec, -1
; %bb.3329:                             ;   in Loop: Header=BB6_2947 Depth=2
	s_or_b64 exec, exec, s[36:37]
	s_and_b64 s[26:27], s[26:27], exec
	s_or_saveexec_b64 s[28:29], s[28:29]
	v_bfrev_b32_e32 v11, 1
	s_xor_b64 exec, exec, s[28:29]
	s_cbranch_execnz .LBB6_3632
.LBB6_3330:                             ;   in Loop: Header=BB6_2947 Depth=2
	s_or_b64 exec, exec, s[28:29]
	s_and_saveexec_b64 s[28:29], s[26:27]
.LBB6_3331:                             ;   in Loop: Header=BB6_2947 Depth=2
	v_cndmask_b32_e64 v11, v2, v40, s[22:23]
.LBB6_3332:                             ;   in Loop: Header=BB6_2947 Depth=2
	s_or_b64 exec, exec, s[28:29]
	v_max_f32_e32 v11, v11, v11
	v_max_f32_e32 v3, v3, v3
	;; [unrolled: 1-line block ×3, first 2 shown]
	s_mov_b64 s[26:27], 0
.LBB6_3333:                             ;   in Loop: Header=BB6_2947 Depth=2
	s_and_b64 vcc, exec, s[26:27]
	s_cbranch_vccz .LBB6_3347
; %bb.3334:                             ;   in Loop: Header=BB6_2947 Depth=2
	v_mov_b32_e32 v3, 0
	s_and_saveexec_b64 s[26:27], s[24:25]
	s_cbranch_execz .LBB6_3340
; %bb.3335:                             ;   in Loop: Header=BB6_2947 Depth=2
	v_cmp_ne_u16_e32 vcc, s53, v10
	v_bfrev_b32_e32 v3, 1
	s_and_saveexec_b64 s[24:25], vcc
	s_cbranch_execz .LBB6_3339
; %bb.3336:                             ;   in Loop: Header=BB6_2947 Depth=2
	v_and_b32_e32 v11, 0x7f, v10
	v_cmp_ne_u32_e32 vcc, s54, v11
	v_mov_b32_e32 v3, 0x7f800001
	s_and_saveexec_b64 s[28:29], vcc
	s_cbranch_execz .LBB6_3338
; %bb.3337:                             ;   in Loop: Header=BB6_2947 Depth=2
	v_and_b32_e32 v3, 7, v10
	v_lshrrev_b32_e32 v14, 3, v11
	v_cmp_gt_u32_e32 vcc, 8, v11
	v_ffbh_u32_e32 v11, v3
	v_min_u32_e32 v15, 32, v11
	v_subrev_u32_e32 v11, 28, v15
	v_lshlrev_b64 v[10:11], v11, v[10:11]
	v_sub_u32_e32 v11, 29, v15
	v_and_b32_e32 v10, 7, v10
	v_cndmask_b32_e32 v11, v14, v11, vcc
	v_cndmask_b32_e32 v3, v3, v10, vcc
	v_lshlrev_b32_e32 v10, 16, v12
	v_lshlrev_b32_e32 v3, 20, v3
	v_and_b32_e32 v10, 0x80000000, v10
	v_lshl_add_u32 v11, v11, 23, v62
	v_or3_b32 v3, v10, v11, v3
.LBB6_3338:                             ;   in Loop: Header=BB6_2947 Depth=2
	s_or_b64 exec, exec, s[28:29]
.LBB6_3339:                             ;   in Loop: Header=BB6_2947 Depth=2
	s_or_b64 exec, exec, s[24:25]
.LBB6_3340:                             ;   in Loop: Header=BB6_2947 Depth=2
	s_or_b64 exec, exec, s[26:27]
	v_cmp_lt_i16_e32 vcc, s54, v60
	s_mov_b64 s[24:25], 0
	s_and_saveexec_b64 s[26:27], vcc
	s_xor_b64 s[26:27], exec, s[26:27]
	s_cbranch_execz .LBB6_3633
; %bb.3341:                             ;   in Loop: Header=BB6_2947 Depth=2
	v_cmp_eq_u16_e32 vcc, s53, v60
	s_mov_b64 s[24:25], -1
	s_and_saveexec_b64 s[28:29], vcc
; %bb.3342:                             ;   in Loop: Header=BB6_2947 Depth=2
	s_xor_b64 s[24:25], exec, -1
; %bb.3343:                             ;   in Loop: Header=BB6_2947 Depth=2
	s_or_b64 exec, exec, s[28:29]
	s_and_b64 s[24:25], s[24:25], exec
	s_or_saveexec_b64 s[26:27], s[26:27]
	v_bfrev_b32_e32 v10, 1
	s_xor_b64 exec, exec, s[26:27]
	s_cbranch_execnz .LBB6_3634
.LBB6_3344:                             ;   in Loop: Header=BB6_2947 Depth=2
	s_or_b64 exec, exec, s[26:27]
	s_and_saveexec_b64 s[26:27], s[24:25]
.LBB6_3345:                             ;   in Loop: Header=BB6_2947 Depth=2
	v_cndmask_b32_e64 v10, v2, v40, s[22:23]
.LBB6_3346:                             ;   in Loop: Header=BB6_2947 Depth=2
	s_or_b64 exec, exec, s[26:27]
	v_max_f32_e32 v2, v10, v10
	v_max_f32_e32 v3, v3, v3
	v_min_f32_e32 v3, v3, v2
.LBB6_3347:                             ;   in Loop: Header=BB6_2947 Depth=2
	v_and_b32_e32 v60, 0x7f800000, v3
	v_cmp_ne_u64_e32 vcc, s[72:73], v[60:61]
                                        ; implicit-def: $vgpr31
	s_and_saveexec_b64 s[22:23], vcc
	s_xor_b64 s[24:25], exec, s[22:23]
	s_cbranch_execz .LBB6_3361
; %bb.3348:                             ;   in Loop: Header=BB6_2947 Depth=2
	v_and_b32_e32 v60, 0x7fffffff, v3
	v_cmp_gt_u64_e32 vcc, s[74:75], v[60:61]
	v_and_b32_sdwa v2, v3, s53 dst_sel:DWORD dst_unused:UNUSED_PAD src0_sel:BYTE_3 src1_sel:DWORD
                                        ; implicit-def: $vgpr31
	s_and_saveexec_b64 s[22:23], vcc
	s_xor_b64 s[26:27], exec, s[22:23]
	s_cbranch_execz .LBB6_3358
; %bb.3349:                             ;   in Loop: Header=BB6_2947 Depth=2
	v_mov_b32_e32 v31, 0
	v_cmp_ne_u32_e32 vcc, 0, v3
	s_and_saveexec_b64 s[28:29], vcc
	s_cbranch_execz .LBB6_3357
; %bb.3350:                             ;   in Loop: Header=BB6_2947 Depth=2
	v_and_b32_e32 v10, 0x7fffff, v3
	v_bfe_u32 v3, v3, 23, 8
	v_cmp_gt_u32_e64 s[22:23], s64, v3
	v_sub_u32_e32 v11, 0x79, v3
	v_cmp_eq_u32_e32 vcc, 0, v3
	v_cndmask_b32_e64 v11, 0, v11, s[22:23]
	v_mov_b32_e32 v15, 0x78
	v_or_b32_e32 v14, 0x800000, v10
	v_cndmask_b32_e32 v22, v11, v15, vcc
	v_cndmask_b32_e32 v60, v14, v10, vcc
	v_add_u32_e32 v10, 20, v22
	v_lshlrev_b64 v[10:11], v10, -1
	v_add_u32_e32 v14, 19, v22
	v_lshlrev_b64 v[14:15], v14, 1
	v_bfi_b32 v11, v11, 0, 0
	v_bfi_b32 v10, v10, 0, v60
	v_cmp_eq_u64_e64 s[22:23], v[10:11], v[14:15]
	v_lshrrev_b64 v[10:11], v22, v[60:61]
	v_mov_b32_e32 v15, v11
	v_mov_b32_e32 v14, v10
	s_and_saveexec_b64 s[36:37], s[22:23]
; %bb.3351:                             ;   in Loop: Header=BB6_2947 Depth=2
	v_bfe_u32 v11, v10, 20, 1
	v_add_co_u32_e64 v11, s[22:23], v10, v11
	v_add_co_u32_e64 v14, s[22:23], -1, v11
; %bb.3352:                             ;   in Loop: Header=BB6_2947 Depth=2
	s_or_b64 exec, exec, s[36:37]
	v_add_u32_e32 v3, 0xffffff81, v3
	v_cndmask_b32_e32 v3, v3, v41, vcc
	v_lshrrev_b32_e32 v11, 23, v10
	v_add3_u32 v22, v22, v3, v11
	v_add_u32_e32 v15, 6, v22
	v_and_b32_e32 v3, 0xfffff, v14
	v_add_u32_e32 v60, v3, v10
	v_cmp_ne_u32_e32 vcc, 0, v15
                                        ; implicit-def: $vgpr10_vgpr11
                                        ; implicit-def: $vgpr3
	s_and_saveexec_b64 s[22:23], vcc
	s_xor_b64 s[22:23], exec, s[22:23]
; %bb.3353:                             ;   in Loop: Header=BB6_2947 Depth=2
	v_cmp_lt_u64_e32 vcc, s[76:77], v[60:61]
	v_add_u32_e32 v3, 7, v22
	v_cndmask_b32_e64 v10, 0, 1, vcc
	v_cndmask_b32_e32 v3, v15, v3, vcc
	v_lshrrev_b64 v[10:11], v10, v[60:61]
; %bb.3354:                             ;   in Loop: Header=BB6_2947 Depth=2
	s_andn2_saveexec_b64 s[22:23], s[22:23]
; %bb.3355:                             ;   in Loop: Header=BB6_2947 Depth=2
	v_mov_b32_e32 v10, v60
	v_bfe_u32 v3, v60, 23, 1
	v_mov_b32_e32 v11, v61
; %bb.3356:                             ;   in Loop: Header=BB6_2947 Depth=2
	s_or_b64 exec, exec, s[22:23]
	v_lshrrev_b64 v[10:11], 20, v[10:11]
	v_cmp_gt_i32_e32 vcc, 16, v3
	v_cndmask_b32_e32 v11, 0, v11, vcc
	v_cndmask_b32_e32 v10, 7, v10, vcc
	v_cmp_eq_u32_e32 vcc, 0, v3
	v_min_i32_e32 v3, 15, v3
	v_cmp_eq_u64_e64 s[22:23], 0, v[10:11]
	v_lshlrev_b32_e32 v3, 3, v3
	v_and_b32_e32 v3, 0xf8, v3
	v_and_or_b32 v3, v10, 7, v3
	s_and_b64 s[22:23], vcc, s[22:23]
	v_cndmask_b32_e64 v3, v3, 0, s[22:23]
	v_or_b32_e32 v31, v3, v2
.LBB6_3357:                             ;   in Loop: Header=BB6_2947 Depth=2
	s_or_b64 exec, exec, s[28:29]
                                        ; implicit-def: $vgpr2
.LBB6_3358:                             ;   in Loop: Header=BB6_2947 Depth=2
	s_andn2_saveexec_b64 s[22:23], s[26:27]
; %bb.3359:                             ;   in Loop: Header=BB6_2947 Depth=2
	v_or_b32_e32 v31, 0x7e, v2
; %bb.3360:                             ;   in Loop: Header=BB6_2947 Depth=2
	s_or_b64 exec, exec, s[22:23]
                                        ; implicit-def: $vgpr3
.LBB6_3361:                             ;   in Loop: Header=BB6_2947 Depth=2
	s_andn2_saveexec_b64 s[22:23], s[24:25]
; %bb.3362:                             ;   in Loop: Header=BB6_2947 Depth=2
	v_or_b32_sdwa v31, v3, s54 dst_sel:DWORD dst_unused:UNUSED_PAD src0_sel:BYTE_3 src1_sel:DWORD
; %bb.3363:                             ;   in Loop: Header=BB6_2947 Depth=2
	s_or_b64 exec, exec, s[22:23]
	v_bfe_u32 v11, v16, 16, 3
	v_bfe_u32 v2, v16, 16, 7
	v_cmp_eq_u32_e64 s[22:23], s54, v2
	v_cmp_gt_u32_e32 vcc, 8, v2
	v_ffbh_u32_e32 v2, v11
	v_min_u32_e32 v15, 32, v2
	v_lshrrev_b32_e32 v10, 16, v16
	v_subrev_u32_e32 v2, 28, v15
	v_lshlrev_b64 v[2:3], v2, v[10:11]
	v_bfe_u32 v14, v10, 3, 4
	v_sub_u32_e32 v3, 29, v15
	v_and_b32_e32 v2, 7, v2
	v_cndmask_b32_e32 v3, v14, v3, vcc
	v_cndmask_b32_e32 v2, v11, v2, vcc
	v_lshlrev_b32_e32 v11, 8, v16
	v_lshlrev_b32_e32 v2, 20, v2
	v_and_b32_e32 v11, 0x80000000, v11
	v_lshl_add_u32 v3, v3, 23, v62
	v_or3_b32 v2, v11, v3, v2
	v_lshrrev_b32_e32 v11, 16, v12
	v_cmp_ne_u16_sdwa s[24:25], v11, v61 src0_sel:BYTE_0 src1_sel:DWORD
	s_mov_b64 s[26:27], -1
	s_and_b64 vcc, exec, s[34:35]
                                        ; implicit-def: $vgpr3
	s_cbranch_vccz .LBB6_3377
; %bb.3364:                             ;   in Loop: Header=BB6_2947 Depth=2
	v_mov_b32_e32 v3, 0
	s_and_saveexec_b64 s[26:27], s[24:25]
	s_cbranch_execz .LBB6_3370
; %bb.3365:                             ;   in Loop: Header=BB6_2947 Depth=2
	v_cmp_ne_u16_sdwa vcc, v11, s53 src0_sel:BYTE_0 src1_sel:DWORD
	v_bfrev_b32_e32 v3, 1
	s_and_saveexec_b64 s[28:29], vcc
	s_cbranch_execz .LBB6_3369
; %bb.3366:                             ;   in Loop: Header=BB6_2947 Depth=2
	v_bfe_u32 v14, v12, 16, 7
	v_cmp_ne_u32_e32 vcc, s54, v14
	v_mov_b32_e32 v3, 0x7f800001
	s_and_saveexec_b64 s[36:37], vcc
	s_cbranch_execz .LBB6_3368
; %bb.3367:                             ;   in Loop: Header=BB6_2947 Depth=2
	v_and_b32_e32 v3, 7, v11
	v_lshrrev_b32_e32 v22, 3, v14
	v_cmp_gt_u32_e32 vcc, 8, v14
	v_ffbh_u32_e32 v14, v3
	v_min_u32_e32 v23, 32, v14
	v_subrev_u32_e32 v14, 28, v23
	v_lshlrev_b64 v[14:15], v14, v[11:12]
	v_sub_u32_e32 v15, 29, v23
	v_and_b32_e32 v14, 7, v14
	v_cndmask_b32_e32 v15, v22, v15, vcc
	v_cndmask_b32_e32 v3, v3, v14, vcc
	v_lshlrev_b32_e32 v14, 24, v11
	v_lshlrev_b32_e32 v3, 20, v3
	v_and_b32_e32 v14, 0x80000000, v14
	v_lshl_add_u32 v15, v15, 23, v62
	v_or3_b32 v3, v14, v15, v3
.LBB6_3368:                             ;   in Loop: Header=BB6_2947 Depth=2
	s_or_b64 exec, exec, s[36:37]
.LBB6_3369:                             ;   in Loop: Header=BB6_2947 Depth=2
	s_or_b64 exec, exec, s[28:29]
.LBB6_3370:                             ;   in Loop: Header=BB6_2947 Depth=2
	s_or_b64 exec, exec, s[26:27]
	v_cmp_gt_i16_sdwa s[28:29], v10, s54 src0_sel:BYTE_0 src1_sel:DWORD
	s_mov_b64 s[26:27], 0
	s_and_saveexec_b64 vcc, s[28:29]
	s_xor_b64 s[28:29], exec, vcc
	s_cbranch_execz .LBB6_3635
; %bb.3371:                             ;   in Loop: Header=BB6_2947 Depth=2
	v_cmp_eq_u16_sdwa s[36:37], v10, s53 src0_sel:BYTE_0 src1_sel:DWORD
	s_mov_b64 s[26:27], -1
	s_and_saveexec_b64 vcc, s[36:37]
; %bb.3372:                             ;   in Loop: Header=BB6_2947 Depth=2
	s_xor_b64 s[26:27], exec, -1
; %bb.3373:                             ;   in Loop: Header=BB6_2947 Depth=2
	s_or_b64 exec, exec, vcc
	s_and_b64 s[26:27], s[26:27], exec
	s_or_saveexec_b64 s[28:29], s[28:29]
	v_bfrev_b32_e32 v14, 1
	s_xor_b64 exec, exec, s[28:29]
	s_cbranch_execnz .LBB6_3636
.LBB6_3374:                             ;   in Loop: Header=BB6_2947 Depth=2
	s_or_b64 exec, exec, s[28:29]
	s_and_saveexec_b64 s[28:29], s[26:27]
.LBB6_3375:                             ;   in Loop: Header=BB6_2947 Depth=2
	v_cndmask_b32_e64 v14, v2, v40, s[22:23]
.LBB6_3376:                             ;   in Loop: Header=BB6_2947 Depth=2
	s_or_b64 exec, exec, s[28:29]
	v_max_f32_e32 v14, v14, v14
	v_max_f32_e32 v3, v3, v3
	;; [unrolled: 1-line block ×3, first 2 shown]
	s_mov_b64 s[26:27], 0
.LBB6_3377:                             ;   in Loop: Header=BB6_2947 Depth=2
	s_and_b64 vcc, exec, s[26:27]
	s_cbranch_vccz .LBB6_3391
; %bb.3378:                             ;   in Loop: Header=BB6_2947 Depth=2
	v_mov_b32_e32 v3, 0
	s_and_saveexec_b64 s[26:27], s[24:25]
	s_cbranch_execz .LBB6_3384
; %bb.3379:                             ;   in Loop: Header=BB6_2947 Depth=2
	v_cmp_ne_u16_sdwa s[28:29], v11, s53 src0_sel:BYTE_0 src1_sel:DWORD
	v_bfrev_b32_e32 v3, 1
	s_and_saveexec_b64 s[24:25], s[28:29]
	s_cbranch_execz .LBB6_3383
; %bb.3380:                             ;   in Loop: Header=BB6_2947 Depth=2
	v_bfe_u32 v14, v12, 16, 7
	v_cmp_ne_u32_e32 vcc, s54, v14
	v_mov_b32_e32 v3, 0x7f800001
	s_and_saveexec_b64 s[28:29], vcc
	s_cbranch_execz .LBB6_3382
; %bb.3381:                             ;   in Loop: Header=BB6_2947 Depth=2
	v_and_b32_e32 v3, 7, v11
	v_lshrrev_b32_e32 v22, 3, v14
	v_cmp_gt_u32_e32 vcc, 8, v14
	v_ffbh_u32_e32 v14, v3
	v_min_u32_e32 v23, 32, v14
	v_subrev_u32_e32 v14, 28, v23
	v_lshlrev_b64 v[14:15], v14, v[11:12]
	v_sub_u32_e32 v15, 29, v23
	v_and_b32_e32 v14, 7, v14
	v_cndmask_b32_e32 v15, v22, v15, vcc
	v_cndmask_b32_e32 v3, v3, v14, vcc
	v_lshlrev_b32_e32 v11, 24, v11
	v_lshlrev_b32_e32 v3, 20, v3
	v_and_b32_e32 v11, 0x80000000, v11
	v_lshl_add_u32 v14, v15, 23, v62
	v_or3_b32 v3, v11, v14, v3
.LBB6_3382:                             ;   in Loop: Header=BB6_2947 Depth=2
	s_or_b64 exec, exec, s[28:29]
.LBB6_3383:                             ;   in Loop: Header=BB6_2947 Depth=2
	s_or_b64 exec, exec, s[24:25]
.LBB6_3384:                             ;   in Loop: Header=BB6_2947 Depth=2
	s_or_b64 exec, exec, s[26:27]
	v_cmp_gt_i16_sdwa s[26:27], v10, s54 src0_sel:BYTE_0 src1_sel:DWORD
	s_mov_b64 s[24:25], 0
	s_and_saveexec_b64 s[28:29], s[26:27]
	s_xor_b64 s[26:27], exec, s[28:29]
	s_cbranch_execz .LBB6_3637
; %bb.3385:                             ;   in Loop: Header=BB6_2947 Depth=2
	v_cmp_eq_u16_sdwa vcc, v10, s53 src0_sel:BYTE_0 src1_sel:DWORD
	s_mov_b64 s[24:25], -1
	s_and_saveexec_b64 s[28:29], vcc
; %bb.3386:                             ;   in Loop: Header=BB6_2947 Depth=2
	s_xor_b64 s[24:25], exec, -1
; %bb.3387:                             ;   in Loop: Header=BB6_2947 Depth=2
	s_or_b64 exec, exec, s[28:29]
	s_and_b64 s[24:25], s[24:25], exec
                                        ; implicit-def: $vgpr10
	s_or_saveexec_b64 s[26:27], s[26:27]
	v_bfrev_b32_e32 v11, 1
	s_xor_b64 exec, exec, s[26:27]
	s_cbranch_execnz .LBB6_3638
.LBB6_3388:                             ;   in Loop: Header=BB6_2947 Depth=2
	s_or_b64 exec, exec, s[26:27]
	s_and_saveexec_b64 s[26:27], s[24:25]
.LBB6_3389:                             ;   in Loop: Header=BB6_2947 Depth=2
	v_cndmask_b32_e64 v11, v2, v40, s[22:23]
.LBB6_3390:                             ;   in Loop: Header=BB6_2947 Depth=2
	s_or_b64 exec, exec, s[26:27]
	v_max_f32_e32 v2, v11, v11
	v_max_f32_e32 v3, v3, v3
	v_min_f32_e32 v3, v3, v2
.LBB6_3391:                             ;   in Loop: Header=BB6_2947 Depth=2
	v_and_b32_e32 v60, 0x7f800000, v3
	v_cmp_ne_u64_e32 vcc, s[72:73], v[60:61]
                                        ; implicit-def: $vgpr32
	s_and_saveexec_b64 s[22:23], vcc
	s_xor_b64 s[24:25], exec, s[22:23]
	s_cbranch_execz .LBB6_3405
; %bb.3392:                             ;   in Loop: Header=BB6_2947 Depth=2
	v_and_b32_e32 v60, 0x7fffffff, v3
	v_cmp_gt_u64_e32 vcc, s[74:75], v[60:61]
	v_and_b32_sdwa v2, v3, s53 dst_sel:DWORD dst_unused:UNUSED_PAD src0_sel:BYTE_3 src1_sel:DWORD
                                        ; implicit-def: $vgpr32
	s_and_saveexec_b64 s[22:23], vcc
	s_xor_b64 s[26:27], exec, s[22:23]
	s_cbranch_execz .LBB6_3402
; %bb.3393:                             ;   in Loop: Header=BB6_2947 Depth=2
	v_mov_b32_e32 v32, 0
	v_cmp_ne_u32_e32 vcc, 0, v3
	s_and_saveexec_b64 s[28:29], vcc
	s_cbranch_execz .LBB6_3401
; %bb.3394:                             ;   in Loop: Header=BB6_2947 Depth=2
	v_and_b32_e32 v10, 0x7fffff, v3
	v_bfe_u32 v3, v3, 23, 8
	v_cmp_gt_u32_e64 s[22:23], s64, v3
	v_sub_u32_e32 v11, 0x79, v3
	v_cmp_eq_u32_e32 vcc, 0, v3
	v_cndmask_b32_e64 v11, 0, v11, s[22:23]
	v_mov_b32_e32 v15, 0x78
	v_or_b32_e32 v14, 0x800000, v10
	v_cndmask_b32_e32 v22, v11, v15, vcc
	v_cndmask_b32_e32 v60, v14, v10, vcc
	v_add_u32_e32 v10, 20, v22
	v_lshlrev_b64 v[10:11], v10, -1
	v_add_u32_e32 v14, 19, v22
	v_lshlrev_b64 v[14:15], v14, 1
	v_bfi_b32 v11, v11, 0, 0
	v_bfi_b32 v10, v10, 0, v60
	v_cmp_eq_u64_e64 s[22:23], v[10:11], v[14:15]
	v_lshrrev_b64 v[10:11], v22, v[60:61]
	v_mov_b32_e32 v15, v11
	v_mov_b32_e32 v14, v10
	s_and_saveexec_b64 s[36:37], s[22:23]
; %bb.3395:                             ;   in Loop: Header=BB6_2947 Depth=2
	v_bfe_u32 v11, v10, 20, 1
	v_add_co_u32_e64 v11, s[22:23], v10, v11
	v_add_co_u32_e64 v14, s[22:23], -1, v11
; %bb.3396:                             ;   in Loop: Header=BB6_2947 Depth=2
	s_or_b64 exec, exec, s[36:37]
	v_add_u32_e32 v3, 0xffffff81, v3
	v_cndmask_b32_e32 v3, v3, v41, vcc
	v_lshrrev_b32_e32 v11, 23, v10
	v_add3_u32 v22, v22, v3, v11
	v_add_u32_e32 v15, 6, v22
	v_and_b32_e32 v3, 0xfffff, v14
	v_add_u32_e32 v60, v3, v10
	v_cmp_ne_u32_e32 vcc, 0, v15
                                        ; implicit-def: $vgpr10_vgpr11
                                        ; implicit-def: $vgpr3
	s_and_saveexec_b64 s[22:23], vcc
	s_xor_b64 s[22:23], exec, s[22:23]
; %bb.3397:                             ;   in Loop: Header=BB6_2947 Depth=2
	v_cmp_lt_u64_e32 vcc, s[76:77], v[60:61]
	v_add_u32_e32 v3, 7, v22
	v_cndmask_b32_e64 v10, 0, 1, vcc
	v_cndmask_b32_e32 v3, v15, v3, vcc
	v_lshrrev_b64 v[10:11], v10, v[60:61]
; %bb.3398:                             ;   in Loop: Header=BB6_2947 Depth=2
	s_andn2_saveexec_b64 s[22:23], s[22:23]
; %bb.3399:                             ;   in Loop: Header=BB6_2947 Depth=2
	v_mov_b32_e32 v10, v60
	v_bfe_u32 v3, v60, 23, 1
	v_mov_b32_e32 v11, v61
; %bb.3400:                             ;   in Loop: Header=BB6_2947 Depth=2
	s_or_b64 exec, exec, s[22:23]
	v_lshrrev_b64 v[10:11], 20, v[10:11]
	v_cmp_gt_i32_e32 vcc, 16, v3
	v_cndmask_b32_e32 v11, 0, v11, vcc
	v_cndmask_b32_e32 v10, 7, v10, vcc
	v_cmp_eq_u32_e32 vcc, 0, v3
	v_min_i32_e32 v3, 15, v3
	v_cmp_eq_u64_e64 s[22:23], 0, v[10:11]
	v_lshlrev_b32_e32 v3, 3, v3
	v_and_b32_e32 v3, 0xf8, v3
	v_and_or_b32 v3, v10, 7, v3
	s_and_b64 s[22:23], vcc, s[22:23]
	v_cndmask_b32_e64 v3, v3, 0, s[22:23]
	v_or_b32_e32 v32, v3, v2
.LBB6_3401:                             ;   in Loop: Header=BB6_2947 Depth=2
	s_or_b64 exec, exec, s[28:29]
                                        ; implicit-def: $vgpr2
.LBB6_3402:                             ;   in Loop: Header=BB6_2947 Depth=2
	s_andn2_saveexec_b64 s[22:23], s[26:27]
; %bb.3403:                             ;   in Loop: Header=BB6_2947 Depth=2
	v_or_b32_e32 v32, 0x7e, v2
; %bb.3404:                             ;   in Loop: Header=BB6_2947 Depth=2
	s_or_b64 exec, exec, s[22:23]
                                        ; implicit-def: $vgpr3
.LBB6_3405:                             ;   in Loop: Header=BB6_2947 Depth=2
	s_andn2_saveexec_b64 s[22:23], s[24:25]
; %bb.3406:                             ;   in Loop: Header=BB6_2947 Depth=2
	v_or_b32_sdwa v32, v3, s54 dst_sel:DWORD dst_unused:UNUSED_PAD src0_sel:BYTE_3 src1_sel:DWORD
; %bb.3407:                             ;   in Loop: Header=BB6_2947 Depth=2
	s_or_b64 exec, exec, s[22:23]
	v_bfe_u32 v11, v16, 24, 3
	v_bfe_u32 v3, v16, 24, 7
	v_cmp_eq_u32_e64 s[26:27], s54, v3
	v_cmp_gt_u32_e32 vcc, 8, v3
	v_ffbh_u32_e32 v3, v11
	v_min_u32_e32 v15, 32, v3
	v_lshrrev_b32_e32 v2, 24, v16
	v_subrev_u32_e32 v3, 28, v15
	v_bfe_u32 v14, v2, 3, 4
	v_cmp_eq_u32_e64 s[24:25], s53, v2
	v_lshlrev_b64 v[2:3], v3, v[2:3]
	v_sub_u32_e32 v3, 29, v15
	v_and_b32_e32 v2, 7, v2
	v_cndmask_b32_e32 v3, v14, v3, vcc
	v_cndmask_b32_e32 v2, v11, v2, vcc
	v_lshlrev_b32_e32 v2, 20, v2
	v_and_b32_e32 v11, 0x80000000, v16
	v_lshl_add_u32 v3, v3, 23, v62
	v_lshrrev_b32_e32 v10, 24, v12
	v_cmp_gt_u32_e64 s[22:23], s59, v16
	v_or3_b32 v2, v11, v3, v2
	v_cmp_lt_u32_e64 s[28:29], s79, v12
	s_mov_b64 s[36:37], -1
	s_and_b64 vcc, exec, s[34:35]
                                        ; implicit-def: $vgpr11
	s_cbranch_vccz .LBB6_3415
; %bb.3408:                             ;   in Loop: Header=BB6_2947 Depth=2
	v_mov_b32_e32 v3, 0
	s_and_saveexec_b64 s[36:37], s[28:29]
	s_cbranch_execz .LBB6_3414
; %bb.3409:                             ;   in Loop: Header=BB6_2947 Depth=2
	v_cmp_ne_u32_e32 vcc, s53, v10
	v_bfrev_b32_e32 v3, 1
	s_and_saveexec_b64 s[38:39], vcc
	s_cbranch_execz .LBB6_3413
; %bb.3410:                             ;   in Loop: Header=BB6_2947 Depth=2
	v_bfe_u32 v11, v12, 24, 7
	v_cmp_ne_u32_e32 vcc, s54, v11
	v_mov_b32_e32 v3, 0x7f800001
	s_and_saveexec_b64 s[48:49], vcc
	s_cbranch_execz .LBB6_3412
; %bb.3411:                             ;   in Loop: Header=BB6_2947 Depth=2
	v_and_b32_e32 v3, 7, v10
	v_lshrrev_b32_e32 v22, 3, v11
	v_cmp_gt_u32_e32 vcc, 8, v11
	v_ffbh_u32_e32 v11, v3
	v_min_u32_e32 v11, 32, v11
	v_subrev_u32_e32 v14, 28, v11
	v_lshlrev_b64 v[14:15], v14, v[10:11]
	v_sub_u32_e32 v11, 29, v11
	v_and_b32_e32 v14, 7, v14
	v_cndmask_b32_e32 v11, v22, v11, vcc
	v_cndmask_b32_e32 v3, v3, v14, vcc
	v_lshlrev_b32_e32 v14, 24, v10
	v_lshlrev_b32_e32 v3, 20, v3
	v_and_b32_e32 v14, 0x80000000, v14
	v_lshl_add_u32 v11, v11, 23, v62
	v_or3_b32 v3, v14, v11, v3
.LBB6_3412:                             ;   in Loop: Header=BB6_2947 Depth=2
	s_or_b64 exec, exec, s[48:49]
.LBB6_3413:                             ;   in Loop: Header=BB6_2947 Depth=2
	s_or_b64 exec, exec, s[38:39]
.LBB6_3414:                             ;   in Loop: Header=BB6_2947 Depth=2
	s_or_b64 exec, exec, s[36:37]
	v_cndmask_b32_e64 v11, v2, v40, s[26:27]
	v_cndmask_b32_e64 v11, v11, v54, s[24:25]
	;; [unrolled: 1-line block ×3, first 2 shown]
	v_max_f32_e32 v11, v11, v11
	v_max_f32_e32 v3, v3, v3
	;; [unrolled: 1-line block ×3, first 2 shown]
	s_mov_b64 s[36:37], 0
.LBB6_3415:                             ;   in Loop: Header=BB6_2947 Depth=2
	s_and_b64 vcc, exec, s[36:37]
	s_cbranch_vccz .LBB6_3423
; %bb.3416:                             ;   in Loop: Header=BB6_2947 Depth=2
	v_mov_b32_e32 v3, 0
	s_and_saveexec_b64 s[36:37], s[28:29]
	s_cbranch_execz .LBB6_3422
; %bb.3417:                             ;   in Loop: Header=BB6_2947 Depth=2
	v_cmp_ne_u32_e32 vcc, s53, v10
	v_bfrev_b32_e32 v3, 1
	s_and_saveexec_b64 s[28:29], vcc
	s_cbranch_execz .LBB6_3421
; %bb.3418:                             ;   in Loop: Header=BB6_2947 Depth=2
	v_bfe_u32 v11, v12, 24, 7
	v_cmp_ne_u32_e32 vcc, s54, v11
	v_mov_b32_e32 v3, 0x7f800001
	s_and_saveexec_b64 s[38:39], vcc
	s_cbranch_execz .LBB6_3420
; %bb.3419:                             ;   in Loop: Header=BB6_2947 Depth=2
	v_and_b32_e32 v3, 7, v10
	v_lshrrev_b32_e32 v22, 3, v11
	v_cmp_gt_u32_e32 vcc, 8, v11
	v_ffbh_u32_e32 v11, v3
	v_min_u32_e32 v11, 32, v11
	v_subrev_u32_e32 v14, 28, v11
	v_lshlrev_b64 v[14:15], v14, v[10:11]
	v_sub_u32_e32 v11, 29, v11
	v_and_b32_e32 v14, 7, v14
	v_cndmask_b32_e32 v11, v22, v11, vcc
	v_cndmask_b32_e32 v3, v3, v14, vcc
	v_lshlrev_b32_e32 v10, 24, v10
	v_lshlrev_b32_e32 v3, 20, v3
	v_and_b32_e32 v10, 0x80000000, v10
	v_lshl_add_u32 v11, v11, 23, v62
	v_or3_b32 v3, v10, v11, v3
.LBB6_3420:                             ;   in Loop: Header=BB6_2947 Depth=2
	s_or_b64 exec, exec, s[38:39]
.LBB6_3421:                             ;   in Loop: Header=BB6_2947 Depth=2
	s_or_b64 exec, exec, s[28:29]
.LBB6_3422:                             ;   in Loop: Header=BB6_2947 Depth=2
	s_or_b64 exec, exec, s[36:37]
	v_cndmask_b32_e64 v2, v2, v40, s[26:27]
	v_cndmask_b32_e64 v2, v2, v54, s[24:25]
	;; [unrolled: 1-line block ×3, first 2 shown]
	v_max_f32_e32 v2, v2, v2
	v_max_f32_e32 v3, v3, v3
	v_min_f32_e32 v11, v3, v2
.LBB6_3423:                             ;   in Loop: Header=BB6_2947 Depth=2
	v_and_b32_e32 v60, 0x7f800000, v11
	v_cmp_ne_u64_e32 vcc, s[72:73], v[60:61]
                                        ; implicit-def: $vgpr2
	s_and_saveexec_b64 s[22:23], vcc
	s_xor_b64 s[24:25], exec, s[22:23]
	s_cbranch_execz .LBB6_3437
; %bb.3424:                             ;   in Loop: Header=BB6_2947 Depth=2
	v_and_b32_e32 v60, 0x7fffffff, v11
	v_cmp_gt_u64_e32 vcc, s[74:75], v[60:61]
	v_and_b32_sdwa v3, v11, s53 dst_sel:DWORD dst_unused:UNUSED_PAD src0_sel:BYTE_3 src1_sel:DWORD
                                        ; implicit-def: $vgpr2
	s_and_saveexec_b64 s[22:23], vcc
	s_xor_b64 s[26:27], exec, s[22:23]
	s_cbranch_execz .LBB6_3434
; %bb.3425:                             ;   in Loop: Header=BB6_2947 Depth=2
	v_mov_b32_e32 v2, 0
	v_cmp_ne_u32_e32 vcc, 0, v11
	s_and_saveexec_b64 s[28:29], vcc
	s_cbranch_execz .LBB6_3433
; %bb.3426:                             ;   in Loop: Header=BB6_2947 Depth=2
	v_bfe_u32 v2, v11, 23, 8
	v_and_b32_e32 v10, 0x7fffff, v11
	v_cmp_gt_u32_e64 s[22:23], s64, v2
	v_sub_u32_e32 v11, 0x79, v2
	v_cmp_eq_u32_e32 vcc, 0, v2
	v_cndmask_b32_e64 v11, 0, v11, s[22:23]
	v_mov_b32_e32 v15, 0x78
	v_or_b32_e32 v14, 0x800000, v10
	v_cndmask_b32_e32 v22, v11, v15, vcc
	v_cndmask_b32_e32 v60, v14, v10, vcc
	v_add_u32_e32 v10, 20, v22
	v_lshlrev_b64 v[10:11], v10, -1
	v_add_u32_e32 v14, 19, v22
	v_lshlrev_b64 v[14:15], v14, 1
	v_bfi_b32 v11, v11, 0, 0
	v_bfi_b32 v10, v10, 0, v60
	v_cmp_eq_u64_e64 s[22:23], v[10:11], v[14:15]
	v_lshrrev_b64 v[10:11], v22, v[60:61]
	v_mov_b32_e32 v15, v11
	v_mov_b32_e32 v14, v10
	s_and_saveexec_b64 s[36:37], s[22:23]
; %bb.3427:                             ;   in Loop: Header=BB6_2947 Depth=2
	v_bfe_u32 v11, v10, 20, 1
	v_add_co_u32_e64 v11, s[22:23], v10, v11
	v_add_co_u32_e64 v14, s[22:23], -1, v11
; %bb.3428:                             ;   in Loop: Header=BB6_2947 Depth=2
	s_or_b64 exec, exec, s[36:37]
	v_add_u32_e32 v2, 0xffffff81, v2
	v_cndmask_b32_e32 v2, v2, v41, vcc
	v_lshrrev_b32_e32 v11, 23, v10
	v_add3_u32 v22, v22, v2, v11
	v_add_u32_e32 v15, 6, v22
	v_and_b32_e32 v2, 0xfffff, v14
	v_add_u32_e32 v60, v2, v10
	v_cmp_ne_u32_e32 vcc, 0, v15
                                        ; implicit-def: $vgpr10_vgpr11
                                        ; implicit-def: $vgpr2
	s_and_saveexec_b64 s[22:23], vcc
	s_xor_b64 s[22:23], exec, s[22:23]
; %bb.3429:                             ;   in Loop: Header=BB6_2947 Depth=2
	v_cmp_lt_u64_e32 vcc, s[76:77], v[60:61]
	v_add_u32_e32 v2, 7, v22
	v_cndmask_b32_e64 v10, 0, 1, vcc
	v_cndmask_b32_e32 v2, v15, v2, vcc
	v_lshrrev_b64 v[10:11], v10, v[60:61]
; %bb.3430:                             ;   in Loop: Header=BB6_2947 Depth=2
	s_andn2_saveexec_b64 s[22:23], s[22:23]
; %bb.3431:                             ;   in Loop: Header=BB6_2947 Depth=2
	v_mov_b32_e32 v10, v60
	v_bfe_u32 v2, v60, 23, 1
	v_mov_b32_e32 v11, v61
; %bb.3432:                             ;   in Loop: Header=BB6_2947 Depth=2
	s_or_b64 exec, exec, s[22:23]
	v_lshrrev_b64 v[10:11], 20, v[10:11]
	v_cmp_gt_i32_e32 vcc, 16, v2
	v_cndmask_b32_e32 v11, 0, v11, vcc
	v_cndmask_b32_e32 v10, 7, v10, vcc
	v_cmp_eq_u32_e32 vcc, 0, v2
	v_min_i32_e32 v2, 15, v2
	v_cmp_eq_u64_e64 s[22:23], 0, v[10:11]
	v_lshlrev_b32_e32 v2, 3, v2
	v_and_b32_e32 v2, 0xf8, v2
	v_and_or_b32 v2, v10, 7, v2
	s_and_b64 s[22:23], vcc, s[22:23]
	v_cndmask_b32_e64 v2, v2, 0, s[22:23]
	v_or_b32_e32 v2, v2, v3
.LBB6_3433:                             ;   in Loop: Header=BB6_2947 Depth=2
	s_or_b64 exec, exec, s[28:29]
                                        ; implicit-def: $vgpr3
.LBB6_3434:                             ;   in Loop: Header=BB6_2947 Depth=2
	s_andn2_saveexec_b64 s[22:23], s[26:27]
; %bb.3435:                             ;   in Loop: Header=BB6_2947 Depth=2
	v_or_b32_e32 v2, 0x7e, v3
; %bb.3436:                             ;   in Loop: Header=BB6_2947 Depth=2
	s_or_b64 exec, exec, s[22:23]
                                        ; implicit-def: $vgpr11
.LBB6_3437:                             ;   in Loop: Header=BB6_2947 Depth=2
	s_andn2_saveexec_b64 s[22:23], s[24:25]
; %bb.3438:                             ;   in Loop: Header=BB6_2947 Depth=2
	v_or_b32_sdwa v2, v11, s54 dst_sel:DWORD dst_unused:UNUSED_PAD src0_sel:BYTE_3 src1_sel:DWORD
; %bb.3439:                             ;   in Loop: Header=BB6_2947 Depth=2
	s_or_b64 exec, exec, s[22:23]
	v_and_b32_e32 v3, 7, v17
	v_ffbh_u32_e32 v3, v3
	v_and_b32_e32 v14, 0x7f, v17
	v_min_u32_e32 v3, 32, v3
	v_cmp_eq_u32_e64 s[22:23], s54, v14
	v_cmp_gt_u32_e32 vcc, 8, v14
	v_subrev_u32_e32 v14, 28, v3
	v_mov_b32_e32 v10, v17
	v_mov_b32_e32 v11, v61
	v_bfe_u32 v15, v17, 3, 4
	v_sub_u32_e32 v3, 29, v3
	v_cndmask_b32_e32 v14, 0, v14, vcc
	v_cndmask_b32_e32 v3, v15, v3, vcc
	v_lshlrev_b64 v[14:15], v14, v[10:11]
	v_lshl_add_u32 v3, v3, 23, v62
	v_lshlrev_b32_e32 v11, 20, v14
	v_lshlrev_b32_e32 v14, 24, v17
	v_and_b32_e32 v11, 0x700000, v11
	v_and_b32_e32 v14, 0x80000000, v14
	v_mov_b32_e32 v60, v13
	v_or3_b32 v3, v14, v3, v11
	v_cmp_ne_u16_sdwa s[24:25], v13, v61 src0_sel:BYTE_0 src1_sel:DWORD
	s_mov_b64 s[26:27], -1
	s_and_b64 vcc, exec, s[34:35]
                                        ; implicit-def: $vgpr14
	s_cbranch_vccz .LBB6_3453
; %bb.3440:                             ;   in Loop: Header=BB6_2947 Depth=2
	v_mov_b32_e32 v11, 0
	s_and_saveexec_b64 s[26:27], s[24:25]
	s_cbranch_execz .LBB6_3446
; %bb.3441:                             ;   in Loop: Header=BB6_2947 Depth=2
	v_cmp_ne_u16_sdwa vcc, v13, s53 src0_sel:BYTE_0 src1_sel:DWORD
	v_bfrev_b32_e32 v11, 1
	s_and_saveexec_b64 s[28:29], vcc
	s_cbranch_execz .LBB6_3445
; %bb.3442:                             ;   in Loop: Header=BB6_2947 Depth=2
	v_and_b32_e32 v14, 0x7f, v13
	v_cmp_ne_u32_e32 vcc, s54, v14
	v_mov_b32_e32 v11, 0x7f800001
	s_and_saveexec_b64 s[36:37], vcc
	s_cbranch_execz .LBB6_3444
; %bb.3443:                             ;   in Loop: Header=BB6_2947 Depth=2
	v_and_b32_e32 v11, 7, v13
	v_ffbh_u32_e32 v11, v11
	v_min_u32_e32 v11, 32, v11
	v_lshrrev_b32_e32 v15, 3, v14
	v_cmp_gt_u32_e32 vcc, 8, v14
	v_subrev_u32_e32 v14, 28, v11
	v_sub_u32_e32 v11, 29, v11
	v_cndmask_b32_e32 v14, 0, v14, vcc
	v_cndmask_b32_e32 v11, v15, v11, vcc
	v_lshlrev_b64 v[14:15], v14, v[60:61]
	v_lshlrev_b32_e32 v15, 24, v60
	v_lshlrev_b32_e32 v14, 20, v14
	v_and_b32_e32 v14, 0x700000, v14
	v_and_b32_e32 v15, 0x80000000, v15
	v_lshl_add_u32 v11, v11, 23, v62
	v_or3_b32 v11, v15, v11, v14
.LBB6_3444:                             ;   in Loop: Header=BB6_2947 Depth=2
	s_or_b64 exec, exec, s[36:37]
.LBB6_3445:                             ;   in Loop: Header=BB6_2947 Depth=2
	s_or_b64 exec, exec, s[28:29]
.LBB6_3446:                             ;   in Loop: Header=BB6_2947 Depth=2
	s_or_b64 exec, exec, s[26:27]
	v_cmp_gt_i16_sdwa s[28:29], v17, s54 src0_sel:BYTE_0 src1_sel:DWORD
	s_mov_b64 s[26:27], 0
	s_and_saveexec_b64 vcc, s[28:29]
	s_xor_b64 s[28:29], exec, vcc
	s_cbranch_execz .LBB6_3639
; %bb.3447:                             ;   in Loop: Header=BB6_2947 Depth=2
	v_cmp_eq_u16_sdwa s[36:37], v17, s53 src0_sel:BYTE_0 src1_sel:DWORD
	s_mov_b64 s[26:27], -1
	s_and_saveexec_b64 vcc, s[36:37]
; %bb.3448:                             ;   in Loop: Header=BB6_2947 Depth=2
	s_xor_b64 s[26:27], exec, -1
; %bb.3449:                             ;   in Loop: Header=BB6_2947 Depth=2
	s_or_b64 exec, exec, vcc
	s_and_b64 s[26:27], s[26:27], exec
	s_or_saveexec_b64 s[28:29], s[28:29]
	v_bfrev_b32_e32 v14, 1
	s_xor_b64 exec, exec, s[28:29]
	s_cbranch_execnz .LBB6_3640
.LBB6_3450:                             ;   in Loop: Header=BB6_2947 Depth=2
	s_or_b64 exec, exec, s[28:29]
	s_and_saveexec_b64 s[28:29], s[26:27]
.LBB6_3451:                             ;   in Loop: Header=BB6_2947 Depth=2
	v_cndmask_b32_e64 v14, v3, v40, s[22:23]
.LBB6_3452:                             ;   in Loop: Header=BB6_2947 Depth=2
	s_or_b64 exec, exec, s[28:29]
	v_max_f32_e32 v14, v14, v14
	v_max_f32_e32 v11, v11, v11
	;; [unrolled: 1-line block ×3, first 2 shown]
	s_mov_b64 s[26:27], 0
.LBB6_3453:                             ;   in Loop: Header=BB6_2947 Depth=2
	s_and_b64 vcc, exec, s[26:27]
	s_cbranch_vccz .LBB6_3467
; %bb.3454:                             ;   in Loop: Header=BB6_2947 Depth=2
	v_mov_b32_e32 v11, 0
	s_and_saveexec_b64 s[26:27], s[24:25]
	s_cbranch_execz .LBB6_3460
; %bb.3455:                             ;   in Loop: Header=BB6_2947 Depth=2
	v_cmp_ne_u16_sdwa s[28:29], v13, s53 src0_sel:BYTE_0 src1_sel:DWORD
	v_bfrev_b32_e32 v11, 1
	s_and_saveexec_b64 s[24:25], s[28:29]
	s_cbranch_execz .LBB6_3459
; %bb.3456:                             ;   in Loop: Header=BB6_2947 Depth=2
	v_and_b32_e32 v14, 0x7f, v13
	v_cmp_ne_u32_e32 vcc, s54, v14
	v_mov_b32_e32 v11, 0x7f800001
	s_and_saveexec_b64 s[28:29], vcc
	s_cbranch_execz .LBB6_3458
; %bb.3457:                             ;   in Loop: Header=BB6_2947 Depth=2
	v_and_b32_e32 v11, 7, v13
	v_ffbh_u32_e32 v11, v11
	v_min_u32_e32 v11, 32, v11
	v_lshrrev_b32_e32 v15, 3, v14
	v_cmp_gt_u32_e32 vcc, 8, v14
	v_subrev_u32_e32 v14, 28, v11
	v_sub_u32_e32 v11, 29, v11
	v_cndmask_b32_e32 v14, 0, v14, vcc
	v_cndmask_b32_e32 v11, v15, v11, vcc
	v_lshlrev_b64 v[14:15], v14, v[60:61]
	v_lshlrev_b32_e32 v15, 24, v60
	v_lshlrev_b32_e32 v14, 20, v14
	v_and_b32_e32 v14, 0x700000, v14
	v_and_b32_e32 v15, 0x80000000, v15
	v_lshl_add_u32 v11, v11, 23, v62
	v_or3_b32 v11, v15, v11, v14
.LBB6_3458:                             ;   in Loop: Header=BB6_2947 Depth=2
	s_or_b64 exec, exec, s[28:29]
.LBB6_3459:                             ;   in Loop: Header=BB6_2947 Depth=2
	s_or_b64 exec, exec, s[24:25]
.LBB6_3460:                             ;   in Loop: Header=BB6_2947 Depth=2
	s_or_b64 exec, exec, s[26:27]
	v_cmp_gt_i16_sdwa s[26:27], v17, s54 src0_sel:BYTE_0 src1_sel:DWORD
	s_mov_b64 s[24:25], 0
	s_and_saveexec_b64 s[28:29], s[26:27]
	s_xor_b64 s[26:27], exec, s[28:29]
	s_cbranch_execz .LBB6_3641
; %bb.3461:                             ;   in Loop: Header=BB6_2947 Depth=2
	v_cmp_eq_u16_sdwa vcc, v17, s53 src0_sel:BYTE_0 src1_sel:DWORD
	s_mov_b64 s[24:25], -1
	s_and_saveexec_b64 s[28:29], vcc
; %bb.3462:                             ;   in Loop: Header=BB6_2947 Depth=2
	s_xor_b64 s[24:25], exec, -1
; %bb.3463:                             ;   in Loop: Header=BB6_2947 Depth=2
	s_or_b64 exec, exec, s[28:29]
	s_and_b64 s[24:25], s[24:25], exec
	s_or_saveexec_b64 s[26:27], s[26:27]
	v_bfrev_b32_e32 v14, 1
	s_xor_b64 exec, exec, s[26:27]
	s_cbranch_execnz .LBB6_3642
.LBB6_3464:                             ;   in Loop: Header=BB6_2947 Depth=2
	s_or_b64 exec, exec, s[26:27]
	s_and_saveexec_b64 s[26:27], s[24:25]
.LBB6_3465:                             ;   in Loop: Header=BB6_2947 Depth=2
	v_cndmask_b32_e64 v14, v3, v40, s[22:23]
.LBB6_3466:                             ;   in Loop: Header=BB6_2947 Depth=2
	s_or_b64 exec, exec, s[26:27]
	v_max_f32_e32 v3, v14, v14
	v_max_f32_e32 v11, v11, v11
	v_min_f32_e32 v14, v11, v3
.LBB6_3467:                             ;   in Loop: Header=BB6_2947 Depth=2
	v_and_b32_e32 v22, 0x7f800000, v14
	v_mov_b32_e32 v23, v61
	v_cmp_ne_u64_e32 vcc, s[72:73], v[22:23]
                                        ; implicit-def: $vgpr3
	s_and_saveexec_b64 s[22:23], vcc
	s_xor_b64 s[24:25], exec, s[22:23]
	s_cbranch_execz .LBB6_3481
; %bb.3468:                             ;   in Loop: Header=BB6_2947 Depth=2
	v_and_b32_e32 v22, 0x7fffffff, v14
	v_mov_b32_e32 v23, v61
	v_cmp_gt_u64_e32 vcc, s[74:75], v[22:23]
	v_and_b32_sdwa v11, v14, s53 dst_sel:DWORD dst_unused:UNUSED_PAD src0_sel:BYTE_3 src1_sel:DWORD
                                        ; implicit-def: $vgpr3
	s_and_saveexec_b64 s[22:23], vcc
	s_xor_b64 s[26:27], exec, s[22:23]
	s_cbranch_execz .LBB6_3478
; %bb.3469:                             ;   in Loop: Header=BB6_2947 Depth=2
	v_mov_b32_e32 v3, 0
	v_cmp_ne_u32_e32 vcc, 0, v14
	s_and_saveexec_b64 s[28:29], vcc
	s_cbranch_execz .LBB6_3477
; %bb.3470:                             ;   in Loop: Header=BB6_2947 Depth=2
	v_bfe_u32 v3, v14, 23, 8
	v_and_b32_e32 v15, 0x7fffff, v14
	v_cmp_gt_u32_e64 s[22:23], s64, v3
	v_sub_u32_e32 v14, 0x79, v3
	v_cmp_eq_u32_e32 vcc, 0, v3
	v_cndmask_b32_e64 v14, 0, v14, s[22:23]
	v_mov_b32_e32 v23, 0x78
	v_or_b32_e32 v22, 0x800000, v15
	v_cndmask_b32_e32 v33, v14, v23, vcc
	v_cndmask_b32_e32 v14, v22, v15, vcc
	v_add_u32_e32 v22, 20, v33
	v_lshlrev_b64 v[22:23], v22, -1
	v_mov_b32_e32 v15, v61
	v_add_u32_e32 v34, 19, v33
	v_bfi_b32 v22, v22, 0, v14
	v_lshlrev_b64 v[34:35], v34, 1
	v_lshrrev_b64 v[14:15], v33, v[14:15]
	v_bfi_b32 v23, v23, 0, 0
	v_cmp_eq_u64_e64 s[22:23], v[22:23], v[34:35]
	v_mov_b32_e32 v23, v15
	v_mov_b32_e32 v22, v14
	s_and_saveexec_b64 s[36:37], s[22:23]
; %bb.3471:                             ;   in Loop: Header=BB6_2947 Depth=2
	v_bfe_u32 v15, v14, 20, 1
	v_add_co_u32_e64 v15, s[22:23], v14, v15
	v_add_co_u32_e64 v22, s[22:23], -1, v15
; %bb.3472:                             ;   in Loop: Header=BB6_2947 Depth=2
	s_or_b64 exec, exec, s[36:37]
	v_add_u32_e32 v3, 0xffffff81, v3
	v_cndmask_b32_e32 v3, v3, v41, vcc
	v_lshrrev_b32_e32 v15, 23, v14
	v_add3_u32 v33, v33, v3, v15
	v_add_u32_e32 v23, 6, v33
	v_and_b32_e32 v3, 0xfffff, v22
	v_add_u32_e32 v14, v3, v14
	v_mov_b32_e32 v15, v61
	v_cmp_ne_u32_e32 vcc, 0, v23
                                        ; implicit-def: $vgpr3
	s_and_saveexec_b64 s[22:23], vcc
	s_xor_b64 s[22:23], exec, s[22:23]
; %bb.3473:                             ;   in Loop: Header=BB6_2947 Depth=2
	v_cmp_lt_u64_e32 vcc, s[76:77], v[14:15]
	v_add_u32_e32 v3, 7, v33
	v_cndmask_b32_e64 v22, 0, 1, vcc
	v_cndmask_b32_e32 v3, v23, v3, vcc
	v_lshrrev_b64 v[14:15], v22, v[14:15]
; %bb.3474:                             ;   in Loop: Header=BB6_2947 Depth=2
	s_andn2_saveexec_b64 s[22:23], s[22:23]
; %bb.3475:                             ;   in Loop: Header=BB6_2947 Depth=2
	v_bfe_u32 v3, v14, 23, 1
; %bb.3476:                             ;   in Loop: Header=BB6_2947 Depth=2
	s_or_b64 exec, exec, s[22:23]
	v_lshrrev_b64 v[14:15], 20, v[14:15]
	v_cmp_gt_i32_e32 vcc, 16, v3
	v_cndmask_b32_e32 v15, 0, v15, vcc
	v_cndmask_b32_e32 v14, 7, v14, vcc
	v_cmp_eq_u32_e32 vcc, 0, v3
	v_min_i32_e32 v3, 15, v3
	v_cmp_eq_u64_e64 s[22:23], 0, v[14:15]
	v_lshlrev_b32_e32 v3, 3, v3
	v_and_b32_e32 v3, 0xf8, v3
	v_and_or_b32 v3, v14, 7, v3
	s_and_b64 s[22:23], vcc, s[22:23]
	v_cndmask_b32_e64 v3, v3, 0, s[22:23]
	v_or_b32_e32 v3, v3, v11
.LBB6_3477:                             ;   in Loop: Header=BB6_2947 Depth=2
	s_or_b64 exec, exec, s[28:29]
                                        ; implicit-def: $vgpr11
.LBB6_3478:                             ;   in Loop: Header=BB6_2947 Depth=2
	s_andn2_saveexec_b64 s[22:23], s[26:27]
; %bb.3479:                             ;   in Loop: Header=BB6_2947 Depth=2
	v_or_b32_e32 v3, 0x7e, v11
; %bb.3480:                             ;   in Loop: Header=BB6_2947 Depth=2
	s_or_b64 exec, exec, s[22:23]
                                        ; implicit-def: $vgpr14
.LBB6_3481:                             ;   in Loop: Header=BB6_2947 Depth=2
	s_andn2_saveexec_b64 s[22:23], s[24:25]
; %bb.3482:                             ;   in Loop: Header=BB6_2947 Depth=2
	v_or_b32_sdwa v3, v14, s54 dst_sel:DWORD dst_unused:UNUSED_PAD src0_sel:BYTE_3 src1_sel:DWORD
; %bb.3483:                             ;   in Loop: Header=BB6_2947 Depth=2
	s_or_b64 exec, exec, s[22:23]
	v_lshrrev_b16_e32 v10, 8, v10
	v_and_b32_e32 v15, 7, v10
	v_and_b32_e32 v22, 0x7f, v10
	v_cmp_eq_u32_e64 s[22:23], s54, v22
	v_cmp_gt_u32_e32 vcc, 8, v22
	v_ffbh_u32_e32 v22, v15
	v_min_u32_e32 v34, 32, v22
	v_mov_b32_e32 v11, v61
	v_subrev_u32_e32 v22, 28, v34
	v_lshlrev_b64 v[22:23], v22, v[10:11]
	v_bfe_u32 v33, v10, 3, 4
	v_sub_u32_e32 v11, 29, v34
	v_and_b32_e32 v22, 7, v22
	v_cndmask_b32_e32 v11, v33, v11, vcc
	v_cndmask_b32_e32 v15, v15, v22, vcc
	v_lshlrev_b32_e32 v22, 24, v10
	v_lshrrev_b16_e32 v14, 8, v60
	v_lshlrev_b32_e32 v15, 20, v15
	v_and_b32_e32 v22, 0x80000000, v22
	v_lshl_add_u32 v11, v11, 23, v62
	v_or3_b32 v11, v22, v11, v15
	v_cmp_ne_u16_e64 s[24:25], 0, v14
	s_mov_b64 s[26:27], -1
	s_and_b64 vcc, exec, s[34:35]
                                        ; implicit-def: $vgpr15
	s_cbranch_vccz .LBB6_3497
; %bb.3484:                             ;   in Loop: Header=BB6_2947 Depth=2
	v_mov_b32_e32 v15, 0
	s_and_saveexec_b64 s[26:27], s[24:25]
	s_cbranch_execz .LBB6_3490
; %bb.3485:                             ;   in Loop: Header=BB6_2947 Depth=2
	v_cmp_ne_u16_e32 vcc, s53, v14
	v_bfrev_b32_e32 v15, 1
	s_and_saveexec_b64 s[28:29], vcc
	s_cbranch_execz .LBB6_3489
; %bb.3486:                             ;   in Loop: Header=BB6_2947 Depth=2
	v_and_b32_e32 v22, 0x7f, v14
	v_cmp_ne_u32_e32 vcc, s54, v22
	v_mov_b32_e32 v15, 0x7f800001
	s_and_saveexec_b64 s[36:37], vcc
	s_cbranch_execz .LBB6_3488
; %bb.3487:                             ;   in Loop: Header=BB6_2947 Depth=2
	v_and_b32_e32 v15, 7, v14
	v_lshrrev_b32_e32 v33, 3, v22
	v_cmp_gt_u32_e32 vcc, 8, v22
	v_ffbh_u32_e32 v22, v15
	v_min_u32_e32 v34, 32, v22
	v_subrev_u32_e32 v22, 28, v34
	v_lshlrev_b64 v[22:23], v22, v[14:15]
	v_sub_u32_e32 v23, 29, v34
	v_and_b32_e32 v22, 7, v22
	v_cndmask_b32_e32 v23, v33, v23, vcc
	v_cndmask_b32_e32 v15, v15, v22, vcc
	v_lshlrev_b32_e32 v22, 16, v60
	v_lshlrev_b32_e32 v15, 20, v15
	v_and_b32_e32 v22, 0x80000000, v22
	v_lshl_add_u32 v23, v23, 23, v62
	v_or3_b32 v15, v22, v23, v15
.LBB6_3488:                             ;   in Loop: Header=BB6_2947 Depth=2
	s_or_b64 exec, exec, s[36:37]
.LBB6_3489:                             ;   in Loop: Header=BB6_2947 Depth=2
	s_or_b64 exec, exec, s[28:29]
.LBB6_3490:                             ;   in Loop: Header=BB6_2947 Depth=2
	s_or_b64 exec, exec, s[26:27]
	v_cmp_lt_i16_e32 vcc, s54, v10
	s_mov_b64 s[26:27], 0
	s_and_saveexec_b64 s[28:29], vcc
	s_xor_b64 s[28:29], exec, s[28:29]
	s_cbranch_execz .LBB6_3643
; %bb.3491:                             ;   in Loop: Header=BB6_2947 Depth=2
	v_cmp_eq_u16_e32 vcc, s53, v10
	s_mov_b64 s[26:27], -1
	s_and_saveexec_b64 s[36:37], vcc
; %bb.3492:                             ;   in Loop: Header=BB6_2947 Depth=2
	s_xor_b64 s[26:27], exec, -1
; %bb.3493:                             ;   in Loop: Header=BB6_2947 Depth=2
	s_or_b64 exec, exec, s[36:37]
	s_and_b64 s[26:27], s[26:27], exec
	s_or_saveexec_b64 s[28:29], s[28:29]
	v_bfrev_b32_e32 v22, 1
	s_xor_b64 exec, exec, s[28:29]
	s_cbranch_execnz .LBB6_3644
.LBB6_3494:                             ;   in Loop: Header=BB6_2947 Depth=2
	s_or_b64 exec, exec, s[28:29]
	s_and_saveexec_b64 s[28:29], s[26:27]
.LBB6_3495:                             ;   in Loop: Header=BB6_2947 Depth=2
	v_cndmask_b32_e64 v22, v11, v40, s[22:23]
.LBB6_3496:                             ;   in Loop: Header=BB6_2947 Depth=2
	s_or_b64 exec, exec, s[28:29]
	v_max_f32_e32 v22, v22, v22
	v_max_f32_e32 v15, v15, v15
	;; [unrolled: 1-line block ×3, first 2 shown]
	s_mov_b64 s[26:27], 0
.LBB6_3497:                             ;   in Loop: Header=BB6_2947 Depth=2
	s_and_b64 vcc, exec, s[26:27]
	s_cbranch_vccz .LBB6_3511
; %bb.3498:                             ;   in Loop: Header=BB6_2947 Depth=2
	v_mov_b32_e32 v15, 0
	s_and_saveexec_b64 s[26:27], s[24:25]
	s_cbranch_execz .LBB6_3504
; %bb.3499:                             ;   in Loop: Header=BB6_2947 Depth=2
	v_cmp_ne_u16_e32 vcc, s53, v14
	v_bfrev_b32_e32 v15, 1
	s_and_saveexec_b64 s[24:25], vcc
	s_cbranch_execz .LBB6_3503
; %bb.3500:                             ;   in Loop: Header=BB6_2947 Depth=2
	v_and_b32_e32 v22, 0x7f, v14
	v_cmp_ne_u32_e32 vcc, s54, v22
	v_mov_b32_e32 v15, 0x7f800001
	s_and_saveexec_b64 s[28:29], vcc
	s_cbranch_execz .LBB6_3502
; %bb.3501:                             ;   in Loop: Header=BB6_2947 Depth=2
	v_and_b32_e32 v23, 7, v14
	v_ffbh_u32_e32 v15, v23
	v_lshrrev_b32_e32 v33, 3, v22
	v_cmp_gt_u32_e32 vcc, 8, v22
	v_min_u32_e32 v22, 32, v15
	v_subrev_u32_e32 v15, 28, v22
	v_lshlrev_b64 v[14:15], v15, v[14:15]
	v_sub_u32_e32 v15, 29, v22
	v_and_b32_e32 v14, 7, v14
	v_cndmask_b32_e32 v15, v33, v15, vcc
	v_cndmask_b32_e32 v14, v23, v14, vcc
	v_lshlrev_b32_e32 v22, 16, v60
	v_lshlrev_b32_e32 v14, 20, v14
	v_and_b32_e32 v22, 0x80000000, v22
	v_lshl_add_u32 v15, v15, 23, v62
	v_or3_b32 v15, v22, v15, v14
.LBB6_3502:                             ;   in Loop: Header=BB6_2947 Depth=2
	s_or_b64 exec, exec, s[28:29]
.LBB6_3503:                             ;   in Loop: Header=BB6_2947 Depth=2
	s_or_b64 exec, exec, s[24:25]
.LBB6_3504:                             ;   in Loop: Header=BB6_2947 Depth=2
	s_or_b64 exec, exec, s[26:27]
	v_cmp_lt_i16_e32 vcc, s54, v10
	s_mov_b64 s[24:25], 0
	s_and_saveexec_b64 s[26:27], vcc
	s_xor_b64 s[26:27], exec, s[26:27]
	s_cbranch_execz .LBB6_3645
; %bb.3505:                             ;   in Loop: Header=BB6_2947 Depth=2
	v_cmp_eq_u16_e32 vcc, s53, v10
	s_mov_b64 s[24:25], -1
	s_and_saveexec_b64 s[28:29], vcc
; %bb.3506:                             ;   in Loop: Header=BB6_2947 Depth=2
	s_xor_b64 s[24:25], exec, -1
; %bb.3507:                             ;   in Loop: Header=BB6_2947 Depth=2
	s_or_b64 exec, exec, s[28:29]
	s_and_b64 s[24:25], s[24:25], exec
                                        ; implicit-def: $vgpr10
	s_or_saveexec_b64 s[26:27], s[26:27]
	v_bfrev_b32_e32 v14, 1
	s_xor_b64 exec, exec, s[26:27]
	s_cbranch_execnz .LBB6_3646
.LBB6_3508:                             ;   in Loop: Header=BB6_2947 Depth=2
	s_or_b64 exec, exec, s[26:27]
	s_and_saveexec_b64 s[26:27], s[24:25]
.LBB6_3509:                             ;   in Loop: Header=BB6_2947 Depth=2
	v_cndmask_b32_e64 v14, v11, v40, s[22:23]
.LBB6_3510:                             ;   in Loop: Header=BB6_2947 Depth=2
	s_or_b64 exec, exec, s[26:27]
	v_max_f32_e32 v10, v14, v14
	v_max_f32_e32 v11, v15, v15
	v_min_f32_e32 v15, v11, v10
.LBB6_3511:                             ;   in Loop: Header=BB6_2947 Depth=2
	v_and_b32_e32 v60, 0x7f800000, v15
	v_cmp_ne_u64_e32 vcc, s[72:73], v[60:61]
                                        ; implicit-def: $vgpr22
	s_and_saveexec_b64 s[22:23], vcc
	s_xor_b64 s[24:25], exec, s[22:23]
	s_cbranch_execz .LBB6_3525
; %bb.3512:                             ;   in Loop: Header=BB6_2947 Depth=2
	v_and_b32_e32 v60, 0x7fffffff, v15
	v_cmp_gt_u64_e32 vcc, s[74:75], v[60:61]
	v_and_b32_sdwa v23, v15, s53 dst_sel:DWORD dst_unused:UNUSED_PAD src0_sel:BYTE_3 src1_sel:DWORD
                                        ; implicit-def: $vgpr22
	s_and_saveexec_b64 s[22:23], vcc
	s_xor_b64 s[26:27], exec, s[22:23]
	s_cbranch_execz .LBB6_3522
; %bb.3513:                             ;   in Loop: Header=BB6_2947 Depth=2
	v_mov_b32_e32 v22, 0
	v_cmp_ne_u32_e32 vcc, 0, v15
	s_and_saveexec_b64 s[28:29], vcc
	s_cbranch_execz .LBB6_3521
; %bb.3514:                             ;   in Loop: Header=BB6_2947 Depth=2
	v_bfe_u32 v22, v15, 23, 8
	v_cmp_gt_u32_e64 s[22:23], s64, v22
	v_sub_u32_e32 v11, 0x79, v22
	v_and_b32_e32 v10, 0x7fffff, v15
	v_cmp_eq_u32_e32 vcc, 0, v22
	v_cndmask_b32_e64 v11, 0, v11, s[22:23]
	v_mov_b32_e32 v15, 0x78
	v_or_b32_e32 v14, 0x800000, v10
	v_cndmask_b32_e32 v33, v11, v15, vcc
	v_cndmask_b32_e32 v60, v14, v10, vcc
	v_add_u32_e32 v10, 20, v33
	v_lshlrev_b64 v[10:11], v10, -1
	v_add_u32_e32 v14, 19, v33
	v_lshlrev_b64 v[14:15], v14, 1
	v_bfi_b32 v11, v11, 0, 0
	v_bfi_b32 v10, v10, 0, v60
	v_cmp_eq_u64_e64 s[22:23], v[10:11], v[14:15]
	v_lshrrev_b64 v[10:11], v33, v[60:61]
	v_mov_b32_e32 v15, v11
	v_mov_b32_e32 v14, v10
	s_and_saveexec_b64 s[36:37], s[22:23]
; %bb.3515:                             ;   in Loop: Header=BB6_2947 Depth=2
	v_bfe_u32 v11, v10, 20, 1
	v_add_co_u32_e64 v11, s[22:23], v10, v11
	v_add_co_u32_e64 v14, s[22:23], -1, v11
; %bb.3516:                             ;   in Loop: Header=BB6_2947 Depth=2
	s_or_b64 exec, exec, s[36:37]
	v_add_u32_e32 v11, 0xffffff81, v22
	v_cndmask_b32_e32 v11, v11, v41, vcc
	v_lshrrev_b32_e32 v15, 23, v10
	v_add3_u32 v22, v33, v11, v15
	v_add_u32_e32 v15, 6, v22
	v_and_b32_e32 v11, 0xfffff, v14
	v_add_u32_e32 v60, v11, v10
	v_cmp_ne_u32_e32 vcc, 0, v15
                                        ; implicit-def: $vgpr10_vgpr11
                                        ; implicit-def: $vgpr14
	s_and_saveexec_b64 s[22:23], vcc
	s_xor_b64 s[22:23], exec, s[22:23]
; %bb.3517:                             ;   in Loop: Header=BB6_2947 Depth=2
	v_cmp_lt_u64_e32 vcc, s[76:77], v[60:61]
	v_add_u32_e32 v10, 7, v22
	v_cndmask_b32_e32 v14, v15, v10, vcc
	v_cndmask_b32_e64 v10, 0, 1, vcc
	v_lshrrev_b64 v[10:11], v10, v[60:61]
; %bb.3518:                             ;   in Loop: Header=BB6_2947 Depth=2
	s_andn2_saveexec_b64 s[22:23], s[22:23]
; %bb.3519:                             ;   in Loop: Header=BB6_2947 Depth=2
	v_mov_b32_e32 v10, v60
	v_bfe_u32 v14, v60, 23, 1
	v_mov_b32_e32 v11, v61
; %bb.3520:                             ;   in Loop: Header=BB6_2947 Depth=2
	s_or_b64 exec, exec, s[22:23]
	v_lshrrev_b64 v[10:11], 20, v[10:11]
	v_cmp_gt_i32_e32 vcc, 16, v14
	v_cndmask_b32_e32 v11, 0, v11, vcc
	v_cndmask_b32_e32 v10, 7, v10, vcc
	v_cmp_eq_u64_e64 s[22:23], 0, v[10:11]
	v_min_i32_e32 v11, 15, v14
	v_lshlrev_b32_e32 v11, 3, v11
	v_cmp_eq_u32_e32 vcc, 0, v14
	v_and_b32_e32 v11, 0xf8, v11
	v_and_or_b32 v10, v10, 7, v11
	s_and_b64 s[22:23], vcc, s[22:23]
	v_cndmask_b32_e64 v10, v10, 0, s[22:23]
	v_or_b32_e32 v22, v10, v23
.LBB6_3521:                             ;   in Loop: Header=BB6_2947 Depth=2
	s_or_b64 exec, exec, s[28:29]
                                        ; implicit-def: $vgpr23
.LBB6_3522:                             ;   in Loop: Header=BB6_2947 Depth=2
	s_andn2_saveexec_b64 s[22:23], s[26:27]
; %bb.3523:                             ;   in Loop: Header=BB6_2947 Depth=2
	v_or_b32_e32 v22, 0x7e, v23
; %bb.3524:                             ;   in Loop: Header=BB6_2947 Depth=2
	s_or_b64 exec, exec, s[22:23]
                                        ; implicit-def: $vgpr15
.LBB6_3525:                             ;   in Loop: Header=BB6_2947 Depth=2
	s_andn2_saveexec_b64 s[22:23], s[24:25]
; %bb.3526:                             ;   in Loop: Header=BB6_2947 Depth=2
	v_or_b32_sdwa v22, v15, s54 dst_sel:DWORD dst_unused:UNUSED_PAD src0_sel:BYTE_3 src1_sel:DWORD
; %bb.3527:                             ;   in Loop: Header=BB6_2947 Depth=2
	s_or_b64 exec, exec, s[22:23]
	v_bfe_u32 v11, v17, 16, 3
	v_bfe_u32 v14, v17, 16, 7
	v_cmp_eq_u32_e64 s[22:23], s54, v14
	v_cmp_gt_u32_e32 vcc, 8, v14
	v_ffbh_u32_e32 v14, v11
	v_min_u32_e32 v33, 32, v14
	v_lshrrev_b32_e32 v10, 16, v17
	v_subrev_u32_e32 v14, 28, v33
	v_lshlrev_b64 v[14:15], v14, v[10:11]
	v_bfe_u32 v23, v10, 3, 4
	v_sub_u32_e32 v15, 29, v33
	v_and_b32_e32 v14, 7, v14
	v_cndmask_b32_e32 v15, v23, v15, vcc
	v_cndmask_b32_e32 v11, v11, v14, vcc
	v_lshlrev_b32_e32 v14, 8, v17
	v_lshlrev_b32_e32 v11, 20, v11
	v_and_b32_e32 v14, 0x80000000, v14
	v_lshl_add_u32 v15, v15, 23, v62
	v_or3_b32 v14, v14, v15, v11
	v_lshrrev_b32_e32 v11, 16, v13
	v_cmp_ne_u16_sdwa s[24:25], v11, v61 src0_sel:BYTE_0 src1_sel:DWORD
	s_mov_b64 s[26:27], -1
	s_and_b64 vcc, exec, s[34:35]
                                        ; implicit-def: $vgpr15
	s_cbranch_vccz .LBB6_3541
; %bb.3528:                             ;   in Loop: Header=BB6_2947 Depth=2
	v_mov_b32_e32 v15, 0
	s_and_saveexec_b64 s[26:27], s[24:25]
	s_cbranch_execz .LBB6_3534
; %bb.3529:                             ;   in Loop: Header=BB6_2947 Depth=2
	v_cmp_ne_u16_sdwa vcc, v11, s53 src0_sel:BYTE_0 src1_sel:DWORD
	v_bfrev_b32_e32 v15, 1
	s_and_saveexec_b64 s[28:29], vcc
	s_cbranch_execz .LBB6_3533
; %bb.3530:                             ;   in Loop: Header=BB6_2947 Depth=2
	v_bfe_u32 v23, v13, 16, 7
	v_cmp_ne_u32_e32 vcc, s54, v23
	v_mov_b32_e32 v15, 0x7f800001
	s_and_saveexec_b64 s[36:37], vcc
	s_cbranch_execz .LBB6_3532
; %bb.3531:                             ;   in Loop: Header=BB6_2947 Depth=2
	v_and_b32_e32 v15, 7, v11
	v_lshrrev_b32_e32 v35, 3, v23
	v_cmp_gt_u32_e32 vcc, 8, v23
	v_ffbh_u32_e32 v23, v15
	v_min_u32_e32 v23, 32, v23
	v_subrev_u32_e32 v33, 28, v23
	v_lshlrev_b64 v[33:34], v33, v[11:12]
	v_sub_u32_e32 v23, 29, v23
	v_and_b32_e32 v33, 7, v33
	v_cndmask_b32_e32 v23, v35, v23, vcc
	v_cndmask_b32_e32 v15, v15, v33, vcc
	v_lshlrev_b32_e32 v33, 24, v11
	v_lshlrev_b32_e32 v15, 20, v15
	v_and_b32_e32 v33, 0x80000000, v33
	v_lshl_add_u32 v23, v23, 23, v62
	v_or3_b32 v15, v33, v23, v15
.LBB6_3532:                             ;   in Loop: Header=BB6_2947 Depth=2
	s_or_b64 exec, exec, s[36:37]
.LBB6_3533:                             ;   in Loop: Header=BB6_2947 Depth=2
	s_or_b64 exec, exec, s[28:29]
.LBB6_3534:                             ;   in Loop: Header=BB6_2947 Depth=2
	s_or_b64 exec, exec, s[26:27]
	v_cmp_gt_i16_sdwa s[28:29], v10, s54 src0_sel:BYTE_0 src1_sel:DWORD
	s_mov_b64 s[26:27], 0
	s_and_saveexec_b64 vcc, s[28:29]
	s_xor_b64 s[28:29], exec, vcc
	s_cbranch_execz .LBB6_3647
; %bb.3535:                             ;   in Loop: Header=BB6_2947 Depth=2
	v_cmp_eq_u16_sdwa s[36:37], v10, s53 src0_sel:BYTE_0 src1_sel:DWORD
	s_mov_b64 s[26:27], -1
	s_and_saveexec_b64 vcc, s[36:37]
; %bb.3536:                             ;   in Loop: Header=BB6_2947 Depth=2
	s_xor_b64 s[26:27], exec, -1
; %bb.3537:                             ;   in Loop: Header=BB6_2947 Depth=2
	s_or_b64 exec, exec, vcc
	s_and_b64 s[26:27], s[26:27], exec
	s_or_saveexec_b64 s[28:29], s[28:29]
	v_bfrev_b32_e32 v23, 1
	s_xor_b64 exec, exec, s[28:29]
	s_cbranch_execnz .LBB6_3648
.LBB6_3538:                             ;   in Loop: Header=BB6_2947 Depth=2
	s_or_b64 exec, exec, s[28:29]
	s_and_saveexec_b64 s[28:29], s[26:27]
.LBB6_3539:                             ;   in Loop: Header=BB6_2947 Depth=2
	v_cndmask_b32_e64 v23, v14, v40, s[22:23]
.LBB6_3540:                             ;   in Loop: Header=BB6_2947 Depth=2
	s_or_b64 exec, exec, s[28:29]
	v_max_f32_e32 v23, v23, v23
	v_max_f32_e32 v15, v15, v15
	;; [unrolled: 1-line block ×3, first 2 shown]
	s_mov_b64 s[26:27], 0
.LBB6_3541:                             ;   in Loop: Header=BB6_2947 Depth=2
	s_and_b64 vcc, exec, s[26:27]
	s_cbranch_vccz .LBB6_3555
; %bb.3542:                             ;   in Loop: Header=BB6_2947 Depth=2
	v_mov_b32_e32 v15, 0
	s_and_saveexec_b64 s[26:27], s[24:25]
	s_cbranch_execz .LBB6_3548
; %bb.3543:                             ;   in Loop: Header=BB6_2947 Depth=2
	v_cmp_ne_u16_sdwa s[28:29], v11, s53 src0_sel:BYTE_0 src1_sel:DWORD
	v_bfrev_b32_e32 v15, 1
	s_and_saveexec_b64 s[24:25], s[28:29]
	s_cbranch_execz .LBB6_3547
; %bb.3544:                             ;   in Loop: Header=BB6_2947 Depth=2
	v_bfe_u32 v23, v13, 16, 7
	v_cmp_ne_u32_e32 vcc, s54, v23
	v_mov_b32_e32 v15, 0x7f800001
	s_and_saveexec_b64 s[28:29], vcc
	s_cbranch_execz .LBB6_3546
; %bb.3545:                             ;   in Loop: Header=BB6_2947 Depth=2
	v_and_b32_e32 v15, 7, v11
	v_lshrrev_b32_e32 v35, 3, v23
	v_cmp_gt_u32_e32 vcc, 8, v23
	v_ffbh_u32_e32 v23, v15
	v_min_u32_e32 v23, 32, v23
	v_subrev_u32_e32 v33, 28, v23
	v_lshlrev_b64 v[33:34], v33, v[11:12]
	v_sub_u32_e32 v23, 29, v23
	v_and_b32_e32 v33, 7, v33
	v_cndmask_b32_e32 v23, v35, v23, vcc
	v_cndmask_b32_e32 v15, v15, v33, vcc
	v_lshlrev_b32_e32 v11, 24, v11
	v_lshlrev_b32_e32 v15, 20, v15
	v_and_b32_e32 v11, 0x80000000, v11
	v_lshl_add_u32 v23, v23, 23, v62
	v_or3_b32 v15, v11, v23, v15
.LBB6_3546:                             ;   in Loop: Header=BB6_2947 Depth=2
	s_or_b64 exec, exec, s[28:29]
.LBB6_3547:                             ;   in Loop: Header=BB6_2947 Depth=2
	s_or_b64 exec, exec, s[24:25]
.LBB6_3548:                             ;   in Loop: Header=BB6_2947 Depth=2
	s_or_b64 exec, exec, s[26:27]
	v_cmp_gt_i16_sdwa s[26:27], v10, s54 src0_sel:BYTE_0 src1_sel:DWORD
	s_mov_b64 s[24:25], 0
	s_and_saveexec_b64 s[28:29], s[26:27]
	s_xor_b64 s[26:27], exec, s[28:29]
	s_cbranch_execz .LBB6_3649
; %bb.3549:                             ;   in Loop: Header=BB6_2947 Depth=2
	v_cmp_eq_u16_sdwa vcc, v10, s53 src0_sel:BYTE_0 src1_sel:DWORD
	s_mov_b64 s[24:25], -1
	s_and_saveexec_b64 s[28:29], vcc
; %bb.3550:                             ;   in Loop: Header=BB6_2947 Depth=2
	s_xor_b64 s[24:25], exec, -1
; %bb.3551:                             ;   in Loop: Header=BB6_2947 Depth=2
	s_or_b64 exec, exec, s[28:29]
	s_and_b64 s[24:25], s[24:25], exec
                                        ; implicit-def: $vgpr10
	s_or_saveexec_b64 s[26:27], s[26:27]
	v_bfrev_b32_e32 v11, 1
	s_xor_b64 exec, exec, s[26:27]
	s_cbranch_execnz .LBB6_3650
.LBB6_3552:                             ;   in Loop: Header=BB6_2947 Depth=2
	s_or_b64 exec, exec, s[26:27]
	s_and_saveexec_b64 s[26:27], s[24:25]
.LBB6_3553:                             ;   in Loop: Header=BB6_2947 Depth=2
	v_cndmask_b32_e64 v11, v14, v40, s[22:23]
.LBB6_3554:                             ;   in Loop: Header=BB6_2947 Depth=2
	s_or_b64 exec, exec, s[26:27]
	v_max_f32_e32 v10, v11, v11
	v_max_f32_e32 v11, v15, v15
	v_min_f32_e32 v15, v11, v10
.LBB6_3555:                             ;   in Loop: Header=BB6_2947 Depth=2
	v_and_b32_e32 v60, 0x7f800000, v15
	v_cmp_ne_u64_e32 vcc, s[72:73], v[60:61]
                                        ; implicit-def: $vgpr14
	s_and_saveexec_b64 s[22:23], vcc
	s_xor_b64 s[24:25], exec, s[22:23]
	s_cbranch_execz .LBB6_3569
; %bb.3556:                             ;   in Loop: Header=BB6_2947 Depth=2
	v_and_b32_e32 v60, 0x7fffffff, v15
	v_cmp_gt_u64_e32 vcc, s[74:75], v[60:61]
	v_and_b32_sdwa v23, v15, s53 dst_sel:DWORD dst_unused:UNUSED_PAD src0_sel:BYTE_3 src1_sel:DWORD
                                        ; implicit-def: $vgpr14
	s_and_saveexec_b64 s[22:23], vcc
	s_xor_b64 s[26:27], exec, s[22:23]
	s_cbranch_execz .LBB6_3566
; %bb.3557:                             ;   in Loop: Header=BB6_2947 Depth=2
	v_mov_b32_e32 v14, 0
	v_cmp_ne_u32_e32 vcc, 0, v15
	s_and_saveexec_b64 s[28:29], vcc
	s_cbranch_execz .LBB6_3565
; %bb.3558:                             ;   in Loop: Header=BB6_2947 Depth=2
	v_bfe_u32 v33, v15, 23, 8
	v_cmp_gt_u32_e64 s[22:23], s64, v33
	v_sub_u32_e32 v11, 0x79, v33
	v_and_b32_e32 v10, 0x7fffff, v15
	v_cmp_eq_u32_e32 vcc, 0, v33
	v_cndmask_b32_e64 v11, 0, v11, s[22:23]
	v_mov_b32_e32 v15, 0x78
	v_or_b32_e32 v14, 0x800000, v10
	v_cndmask_b32_e32 v34, v11, v15, vcc
	v_cndmask_b32_e32 v60, v14, v10, vcc
	v_add_u32_e32 v10, 20, v34
	v_lshlrev_b64 v[10:11], v10, -1
	v_add_u32_e32 v14, 19, v34
	v_lshlrev_b64 v[14:15], v14, 1
	v_bfi_b32 v11, v11, 0, 0
	v_bfi_b32 v10, v10, 0, v60
	v_cmp_eq_u64_e64 s[22:23], v[10:11], v[14:15]
	v_lshrrev_b64 v[10:11], v34, v[60:61]
	v_mov_b32_e32 v15, v11
	v_mov_b32_e32 v14, v10
	s_and_saveexec_b64 s[36:37], s[22:23]
; %bb.3559:                             ;   in Loop: Header=BB6_2947 Depth=2
	v_bfe_u32 v11, v10, 20, 1
	v_add_co_u32_e64 v11, s[22:23], v10, v11
	v_add_co_u32_e64 v14, s[22:23], -1, v11
; %bb.3560:                             ;   in Loop: Header=BB6_2947 Depth=2
	s_or_b64 exec, exec, s[36:37]
	v_add_u32_e32 v11, 0xffffff81, v33
	v_cndmask_b32_e32 v11, v11, v41, vcc
	v_lshrrev_b32_e32 v15, 23, v10
	v_add3_u32 v33, v34, v11, v15
	v_add_u32_e32 v15, 6, v33
	v_and_b32_e32 v11, 0xfffff, v14
	v_add_u32_e32 v60, v11, v10
	v_cmp_ne_u32_e32 vcc, 0, v15
                                        ; implicit-def: $vgpr10_vgpr11
                                        ; implicit-def: $vgpr14
	s_and_saveexec_b64 s[22:23], vcc
	s_xor_b64 s[22:23], exec, s[22:23]
; %bb.3561:                             ;   in Loop: Header=BB6_2947 Depth=2
	v_cmp_lt_u64_e32 vcc, s[76:77], v[60:61]
	v_add_u32_e32 v10, 7, v33
	v_cndmask_b32_e32 v14, v15, v10, vcc
	v_cndmask_b32_e64 v10, 0, 1, vcc
	v_lshrrev_b64 v[10:11], v10, v[60:61]
; %bb.3562:                             ;   in Loop: Header=BB6_2947 Depth=2
	s_andn2_saveexec_b64 s[22:23], s[22:23]
; %bb.3563:                             ;   in Loop: Header=BB6_2947 Depth=2
	v_mov_b32_e32 v10, v60
	v_bfe_u32 v14, v60, 23, 1
	v_mov_b32_e32 v11, v61
; %bb.3564:                             ;   in Loop: Header=BB6_2947 Depth=2
	s_or_b64 exec, exec, s[22:23]
	v_lshrrev_b64 v[10:11], 20, v[10:11]
	v_cmp_gt_i32_e32 vcc, 16, v14
	v_cndmask_b32_e32 v11, 0, v11, vcc
	v_cndmask_b32_e32 v10, 7, v10, vcc
	v_cmp_eq_u64_e64 s[22:23], 0, v[10:11]
	v_min_i32_e32 v11, 15, v14
	v_lshlrev_b32_e32 v11, 3, v11
	v_cmp_eq_u32_e32 vcc, 0, v14
	v_and_b32_e32 v11, 0xf8, v11
	v_and_or_b32 v10, v10, 7, v11
	s_and_b64 s[22:23], vcc, s[22:23]
	v_cndmask_b32_e64 v10, v10, 0, s[22:23]
	v_or_b32_e32 v14, v10, v23
.LBB6_3565:                             ;   in Loop: Header=BB6_2947 Depth=2
	s_or_b64 exec, exec, s[28:29]
                                        ; implicit-def: $vgpr23
.LBB6_3566:                             ;   in Loop: Header=BB6_2947 Depth=2
	s_andn2_saveexec_b64 s[22:23], s[26:27]
; %bb.3567:                             ;   in Loop: Header=BB6_2947 Depth=2
	v_or_b32_e32 v14, 0x7e, v23
; %bb.3568:                             ;   in Loop: Header=BB6_2947 Depth=2
	s_or_b64 exec, exec, s[22:23]
                                        ; implicit-def: $vgpr15
.LBB6_3569:                             ;   in Loop: Header=BB6_2947 Depth=2
	s_andn2_saveexec_b64 s[22:23], s[24:25]
; %bb.3570:                             ;   in Loop: Header=BB6_2947 Depth=2
	v_or_b32_sdwa v14, v15, s54 dst_sel:DWORD dst_unused:UNUSED_PAD src0_sel:BYTE_3 src1_sel:DWORD
; %bb.3571:                             ;   in Loop: Header=BB6_2947 Depth=2
	s_or_b64 exec, exec, s[22:23]
	v_bfe_u32 v23, v17, 24, 3
	v_bfe_u32 v15, v17, 24, 7
	v_cmp_eq_u32_e64 s[26:27], s54, v15
	v_cmp_gt_u32_e32 vcc, 8, v15
	v_ffbh_u32_e32 v15, v23
	v_min_u32_e32 v34, 32, v15
	v_lshrrev_b32_e32 v11, 24, v17
	v_subrev_u32_e32 v15, 28, v34
	v_cmp_gt_u64_e64 s[22:23], s[58:59], v[16:17]
	v_lshlrev_b64 v[15:16], v15, v[11:12]
	v_bfe_u32 v33, v11, 3, 4
	v_cmp_eq_u32_e64 s[24:25], s53, v11
	v_sub_u32_e32 v11, 29, v34
	v_and_b32_e32 v15, 7, v15
	v_cndmask_b32_e32 v11, v33, v11, vcc
	v_cndmask_b32_e32 v15, v23, v15, vcc
	v_lshlrev_b32_e32 v15, 20, v15
	v_and_b32_e32 v16, 0x80000000, v17
	v_lshl_add_u32 v11, v11, 23, v62
	v_cmp_lt_u64_e64 s[28:29], s[78:79], v[12:13]
	v_lshrrev_b32_e32 v10, 24, v13
	v_or3_b32 v11, v16, v11, v15
	s_mov_b64 s[36:37], -1
	s_and_b64 vcc, exec, s[34:35]
                                        ; implicit-def: $vgpr12
	s_cbranch_vccz .LBB6_3579
; %bb.3572:                             ;   in Loop: Header=BB6_2947 Depth=2
	v_mov_b32_e32 v12, 0
	s_and_saveexec_b64 s[36:37], s[28:29]
	s_cbranch_execz .LBB6_3578
; %bb.3573:                             ;   in Loop: Header=BB6_2947 Depth=2
	v_cmp_ne_u32_e32 vcc, s53, v10
	v_bfrev_b32_e32 v12, 1
	s_and_saveexec_b64 s[38:39], vcc
	s_cbranch_execz .LBB6_3577
; %bb.3574:                             ;   in Loop: Header=BB6_2947 Depth=2
	v_bfe_u32 v15, v13, 24, 7
	v_cmp_ne_u32_e32 vcc, s54, v15
	v_mov_b32_e32 v12, 0x7f800001
	s_and_saveexec_b64 s[48:49], vcc
	s_cbranch_execz .LBB6_3576
; %bb.3575:                             ;   in Loop: Header=BB6_2947 Depth=2
	v_and_b32_e32 v12, 7, v10
	v_lshrrev_b32_e32 v17, 3, v15
	v_cmp_gt_u32_e32 vcc, 8, v15
	v_ffbh_u32_e32 v15, v12
	v_min_u32_e32 v23, 32, v15
	v_subrev_u32_e32 v15, 28, v23
	v_lshlrev_b64 v[15:16], v15, v[10:11]
	v_sub_u32_e32 v16, 29, v23
	v_and_b32_e32 v15, 7, v15
	v_cndmask_b32_e32 v16, v17, v16, vcc
	v_cndmask_b32_e32 v12, v12, v15, vcc
	v_lshlrev_b32_e32 v15, 24, v10
	v_lshlrev_b32_e32 v12, 20, v12
	v_and_b32_e32 v15, 0x80000000, v15
	v_lshl_add_u32 v16, v16, 23, v62
	v_or3_b32 v12, v15, v16, v12
.LBB6_3576:                             ;   in Loop: Header=BB6_2947 Depth=2
	s_or_b64 exec, exec, s[48:49]
.LBB6_3577:                             ;   in Loop: Header=BB6_2947 Depth=2
	s_or_b64 exec, exec, s[38:39]
.LBB6_3578:                             ;   in Loop: Header=BB6_2947 Depth=2
	s_or_b64 exec, exec, s[36:37]
	v_cndmask_b32_e64 v15, v11, v40, s[26:27]
	v_cndmask_b32_e64 v15, v15, v54, s[24:25]
	;; [unrolled: 1-line block ×3, first 2 shown]
	v_max_f32_e32 v15, v15, v15
	v_max_f32_e32 v12, v12, v12
	;; [unrolled: 1-line block ×3, first 2 shown]
	s_mov_b64 s[36:37], 0
.LBB6_3579:                             ;   in Loop: Header=BB6_2947 Depth=2
	s_and_b64 vcc, exec, s[36:37]
	s_cbranch_vccz .LBB6_3587
; %bb.3580:                             ;   in Loop: Header=BB6_2947 Depth=2
	v_mov_b32_e32 v12, 0
	s_and_saveexec_b64 s[36:37], s[28:29]
	s_cbranch_execz .LBB6_3586
; %bb.3581:                             ;   in Loop: Header=BB6_2947 Depth=2
	v_cmp_ne_u32_e32 vcc, s53, v10
	v_bfrev_b32_e32 v12, 1
	s_and_saveexec_b64 s[28:29], vcc
	s_cbranch_execz .LBB6_3585
; %bb.3582:                             ;   in Loop: Header=BB6_2947 Depth=2
	v_bfe_u32 v13, v13, 24, 7
	v_cmp_ne_u32_e32 vcc, s54, v13
	v_mov_b32_e32 v12, 0x7f800001
	s_and_saveexec_b64 s[38:39], vcc
	s_cbranch_execz .LBB6_3584
; %bb.3583:                             ;   in Loop: Header=BB6_2947 Depth=2
	v_and_b32_e32 v15, 7, v10
	v_ffbh_u32_e32 v12, v15
	v_min_u32_e32 v17, 32, v12
	v_subrev_u32_e32 v12, 28, v17
	v_lshrrev_b32_e32 v16, 3, v13
	v_cmp_gt_u32_e32 vcc, 8, v13
	v_lshlrev_b64 v[12:13], v12, v[10:11]
	v_sub_u32_e32 v13, 29, v17
	v_and_b32_e32 v12, 7, v12
	v_cndmask_b32_e32 v13, v16, v13, vcc
	v_cndmask_b32_e32 v12, v15, v12, vcc
	v_lshlrev_b32_e32 v10, 24, v10
	v_lshlrev_b32_e32 v12, 20, v12
	v_and_b32_e32 v10, 0x80000000, v10
	v_lshl_add_u32 v13, v13, 23, v62
	v_or3_b32 v12, v10, v13, v12
.LBB6_3584:                             ;   in Loop: Header=BB6_2947 Depth=2
	s_or_b64 exec, exec, s[38:39]
.LBB6_3585:                             ;   in Loop: Header=BB6_2947 Depth=2
	s_or_b64 exec, exec, s[28:29]
.LBB6_3586:                             ;   in Loop: Header=BB6_2947 Depth=2
	s_or_b64 exec, exec, s[36:37]
	v_cndmask_b32_e64 v10, v11, v40, s[26:27]
	v_cndmask_b32_e64 v10, v10, v54, s[24:25]
	v_cndmask_b32_e64 v10, v10, 0, s[22:23]
	v_max_f32_e32 v10, v10, v10
	v_max_f32_e32 v11, v12, v12
	v_min_f32_e32 v12, v11, v10
.LBB6_3587:                             ;   in Loop: Header=BB6_2947 Depth=2
	v_and_b32_e32 v60, 0x7f800000, v12
	v_cmp_ne_u64_e32 vcc, s[72:73], v[60:61]
                                        ; implicit-def: $vgpr10
	s_and_saveexec_b64 s[22:23], vcc
	s_xor_b64 s[24:25], exec, s[22:23]
	s_cbranch_execz .LBB6_3601
; %bb.3588:                             ;   in Loop: Header=BB6_2947 Depth=2
	v_and_b32_e32 v60, 0x7fffffff, v12
	v_cmp_gt_u64_e32 vcc, s[74:75], v[60:61]
	v_and_b32_sdwa v13, v12, s53 dst_sel:DWORD dst_unused:UNUSED_PAD src0_sel:BYTE_3 src1_sel:DWORD
                                        ; implicit-def: $vgpr10
	s_and_saveexec_b64 s[22:23], vcc
	s_xor_b64 s[26:27], exec, s[22:23]
	s_cbranch_execz .LBB6_3598
; %bb.3589:                             ;   in Loop: Header=BB6_2947 Depth=2
	v_mov_b32_e32 v10, 0
	v_cmp_ne_u32_e32 vcc, 0, v12
	s_and_saveexec_b64 s[28:29], vcc
	s_cbranch_execz .LBB6_3597
; %bb.3590:                             ;   in Loop: Header=BB6_2947 Depth=2
	v_bfe_u32 v15, v12, 23, 8
	v_cmp_gt_u32_e64 s[22:23], s64, v15
	v_sub_u32_e32 v11, 0x79, v15
	v_and_b32_e32 v10, 0x7fffff, v12
	v_cmp_eq_u32_e32 vcc, 0, v15
	v_cndmask_b32_e64 v11, 0, v11, s[22:23]
	v_mov_b32_e32 v16, 0x78
	v_or_b32_e32 v12, 0x800000, v10
	v_cndmask_b32_e32 v16, v11, v16, vcc
	v_cndmask_b32_e32 v60, v12, v10, vcc
	v_add_u32_e32 v10, 20, v16
	v_lshlrev_b64 v[10:11], v10, -1
	v_add_u32_e32 v12, 19, v16
	v_lshlrev_b64 v[33:34], v12, 1
	v_bfi_b32 v11, v11, 0, 0
	v_bfi_b32 v10, v10, 0, v60
	v_cmp_eq_u64_e64 s[22:23], v[10:11], v[33:34]
	v_lshrrev_b64 v[10:11], v16, v[60:61]
	v_mov_b32_e32 v12, v11
	v_mov_b32_e32 v11, v10
	s_and_saveexec_b64 s[36:37], s[22:23]
; %bb.3591:                             ;   in Loop: Header=BB6_2947 Depth=2
	v_bfe_u32 v11, v10, 20, 1
	v_add_co_u32_e64 v11, s[22:23], v10, v11
	v_add_co_u32_e64 v11, s[22:23], -1, v11
; %bb.3592:                             ;   in Loop: Header=BB6_2947 Depth=2
	s_or_b64 exec, exec, s[36:37]
	v_add_u32_e32 v12, 0xffffff81, v15
	v_cndmask_b32_e32 v12, v12, v41, vcc
	v_lshrrev_b32_e32 v15, 23, v10
	v_add3_u32 v16, v16, v12, v15
	v_add_u32_e32 v15, 6, v16
	v_and_b32_e32 v11, 0xfffff, v11
	v_add_u32_e32 v60, v11, v10
	v_cmp_ne_u32_e32 vcc, 0, v15
                                        ; implicit-def: $vgpr10_vgpr11
                                        ; implicit-def: $vgpr12
	s_and_saveexec_b64 s[22:23], vcc
	s_xor_b64 s[22:23], exec, s[22:23]
; %bb.3593:                             ;   in Loop: Header=BB6_2947 Depth=2
	v_cmp_lt_u64_e32 vcc, s[76:77], v[60:61]
	v_add_u32_e32 v10, 7, v16
	v_cndmask_b32_e32 v12, v15, v10, vcc
	v_cndmask_b32_e64 v10, 0, 1, vcc
	v_lshrrev_b64 v[10:11], v10, v[60:61]
; %bb.3594:                             ;   in Loop: Header=BB6_2947 Depth=2
	s_andn2_saveexec_b64 s[22:23], s[22:23]
; %bb.3595:                             ;   in Loop: Header=BB6_2947 Depth=2
	v_mov_b32_e32 v10, v60
	v_bfe_u32 v12, v60, 23, 1
	v_mov_b32_e32 v11, v61
; %bb.3596:                             ;   in Loop: Header=BB6_2947 Depth=2
	s_or_b64 exec, exec, s[22:23]
	v_lshrrev_b64 v[10:11], 20, v[10:11]
	v_cmp_gt_i32_e32 vcc, 16, v12
	v_cndmask_b32_e32 v11, 0, v11, vcc
	v_cndmask_b32_e32 v10, 7, v10, vcc
	v_cmp_eq_u64_e64 s[22:23], 0, v[10:11]
	v_min_i32_e32 v11, 15, v12
	v_lshlrev_b32_e32 v11, 3, v11
	v_cmp_eq_u32_e32 vcc, 0, v12
	v_and_b32_e32 v11, 0xf8, v11
	v_and_or_b32 v10, v10, 7, v11
	s_and_b64 s[22:23], vcc, s[22:23]
	v_cndmask_b32_e64 v10, v10, 0, s[22:23]
	v_or_b32_e32 v10, v10, v13
.LBB6_3597:                             ;   in Loop: Header=BB6_2947 Depth=2
	s_or_b64 exec, exec, s[28:29]
                                        ; implicit-def: $vgpr13
.LBB6_3598:                             ;   in Loop: Header=BB6_2947 Depth=2
	s_andn2_saveexec_b64 s[22:23], s[26:27]
; %bb.3599:                             ;   in Loop: Header=BB6_2947 Depth=2
	v_or_b32_e32 v10, 0x7e, v13
; %bb.3600:                             ;   in Loop: Header=BB6_2947 Depth=2
	s_or_b64 exec, exec, s[22:23]
                                        ; implicit-def: $vgpr12
.LBB6_3601:                             ;   in Loop: Header=BB6_2947 Depth=2
	s_andn2_saveexec_b64 s[22:23], s[24:25]
	s_cbranch_execz .LBB6_2946
; %bb.3602:                             ;   in Loop: Header=BB6_2947 Depth=2
	v_or_b32_sdwa v10, v12, s54 dst_sel:DWORD dst_unused:UNUSED_PAD src0_sel:BYTE_3 src1_sel:DWORD
	s_branch .LBB6_2946
.LBB6_3603:                             ;   in Loop: Header=BB6_2947 Depth=2
	s_or_saveexec_b64 s[28:29], s[28:29]
	v_bfrev_b32_e32 v8, 1
	s_xor_b64 exec, exec, s[28:29]
	s_cbranch_execz .LBB6_2958
.LBB6_3604:                             ;   in Loop: Header=BB6_2947 Depth=2
	v_cmp_ne_u16_sdwa vcc, v14, v61 src0_sel:BYTE_0 src1_sel:DWORD
	s_andn2_b64 s[26:27], s[26:27], exec
	s_and_b64 vcc, vcc, exec
	v_mov_b32_e32 v8, 0
	s_or_b64 s[26:27], s[26:27], vcc
	s_or_b64 exec, exec, s[28:29]
	s_and_saveexec_b64 s[28:29], s[26:27]
	s_cbranch_execnz .LBB6_2959
	s_branch .LBB6_2960
.LBB6_3605:                             ;   in Loop: Header=BB6_2947 Depth=2
	s_or_saveexec_b64 s[26:27], s[26:27]
	v_bfrev_b32_e32 v8, 1
	s_xor_b64 exec, exec, s[26:27]
	s_cbranch_execz .LBB6_2972
.LBB6_3606:                             ;   in Loop: Header=BB6_2947 Depth=2
	v_cmp_ne_u16_sdwa s[28:29], v14, v61 src0_sel:BYTE_0 src1_sel:DWORD
	s_andn2_b64 s[24:25], s[24:25], exec
	s_and_b64 s[28:29], s[28:29], exec
	v_mov_b32_e32 v8, 0
	s_or_b64 s[24:25], s[24:25], s[28:29]
	s_or_b64 exec, exec, s[26:27]
	s_and_saveexec_b64 s[26:27], s[24:25]
	s_cbranch_execnz .LBB6_2973
	s_branch .LBB6_2974
.LBB6_3607:                             ;   in Loop: Header=BB6_2947 Depth=2
	s_or_saveexec_b64 s[28:29], s[28:29]
	v_bfrev_b32_e32 v9, 1
	s_xor_b64 exec, exec, s[28:29]
	s_cbranch_execz .LBB6_3002
.LBB6_3608:                             ;   in Loop: Header=BB6_2947 Depth=2
	v_cmp_ne_u16_e32 vcc, 0, v60
	s_andn2_b64 s[26:27], s[26:27], exec
	s_and_b64 vcc, vcc, exec
	v_mov_b32_e32 v9, 0
	s_or_b64 s[26:27], s[26:27], vcc
	s_or_b64 exec, exec, s[28:29]
	s_and_saveexec_b64 s[28:29], s[26:27]
	s_cbranch_execnz .LBB6_3003
	s_branch .LBB6_3004
.LBB6_3609:                             ;   in Loop: Header=BB6_2947 Depth=2
	s_or_saveexec_b64 s[26:27], s[26:27]
	v_bfrev_b32_e32 v9, 1
	s_xor_b64 exec, exec, s[26:27]
	s_cbranch_execz .LBB6_3016
.LBB6_3610:                             ;   in Loop: Header=BB6_2947 Depth=2
	v_cmp_ne_u16_e32 vcc, 0, v60
	s_andn2_b64 s[24:25], s[24:25], exec
	s_and_b64 s[28:29], vcc, exec
	v_mov_b32_e32 v9, 0
	s_or_b64 s[24:25], s[24:25], s[28:29]
	s_or_b64 exec, exec, s[26:27]
	s_and_saveexec_b64 s[26:27], s[24:25]
	s_cbranch_execnz .LBB6_3017
	s_branch .LBB6_3018
.LBB6_3611:                             ;   in Loop: Header=BB6_2947 Depth=2
	s_or_saveexec_b64 s[28:29], s[28:29]
	v_bfrev_b32_e32 v24, 1
	s_xor_b64 exec, exec, s[28:29]
	s_cbranch_execz .LBB6_3046
.LBB6_3612:                             ;   in Loop: Header=BB6_2947 Depth=2
	v_cmp_ne_u16_sdwa vcc, v22, v61 src0_sel:BYTE_0 src1_sel:DWORD
	s_andn2_b64 s[26:27], s[26:27], exec
	s_and_b64 vcc, vcc, exec
	v_mov_b32_e32 v24, 0
	s_or_b64 s[26:27], s[26:27], vcc
	s_or_b64 exec, exec, s[28:29]
	s_and_saveexec_b64 s[28:29], s[26:27]
	s_cbranch_execnz .LBB6_3047
	s_branch .LBB6_3048
.LBB6_3613:                             ;   in Loop: Header=BB6_2947 Depth=2
	s_or_saveexec_b64 s[26:27], s[26:27]
	v_bfrev_b32_e32 v23, 1
	s_xor_b64 exec, exec, s[26:27]
	s_cbranch_execz .LBB6_3060
.LBB6_3614:                             ;   in Loop: Header=BB6_2947 Depth=2
	v_cmp_ne_u16_sdwa s[28:29], v22, v61 src0_sel:BYTE_0 src1_sel:DWORD
	s_andn2_b64 s[24:25], s[24:25], exec
	s_and_b64 s[28:29], s[28:29], exec
	v_mov_b32_e32 v23, 0
	s_or_b64 s[24:25], s[24:25], s[28:29]
	s_or_b64 exec, exec, s[26:27]
	s_and_saveexec_b64 s[26:27], s[24:25]
	s_cbranch_execnz .LBB6_3061
	s_branch .LBB6_3062
.LBB6_3615:                             ;   in Loop: Header=BB6_2947 Depth=2
	s_or_saveexec_b64 s[28:29], s[28:29]
	v_bfrev_b32_e32 v24, 1
	s_xor_b64 exec, exec, s[28:29]
	s_cbranch_execz .LBB6_3122
.LBB6_3616:                             ;   in Loop: Header=BB6_2947 Depth=2
	v_cmp_ne_u16_sdwa vcc, v15, v61 src0_sel:BYTE_0 src1_sel:DWORD
	s_andn2_b64 s[26:27], s[26:27], exec
	s_and_b64 vcc, vcc, exec
	v_mov_b32_e32 v24, 0
	s_or_b64 s[26:27], s[26:27], vcc
	s_or_b64 exec, exec, s[28:29]
	s_and_saveexec_b64 s[28:29], s[26:27]
	s_cbranch_execnz .LBB6_3123
	s_branch .LBB6_3124
.LBB6_3617:                             ;   in Loop: Header=BB6_2947 Depth=2
	s_or_saveexec_b64 s[26:27], s[26:27]
	v_bfrev_b32_e32 v23, 1
	s_xor_b64 exec, exec, s[26:27]
	s_cbranch_execz .LBB6_3136
.LBB6_3618:                             ;   in Loop: Header=BB6_2947 Depth=2
	v_cmp_ne_u16_sdwa s[28:29], v15, v61 src0_sel:BYTE_0 src1_sel:DWORD
	s_andn2_b64 s[24:25], s[24:25], exec
	s_and_b64 s[28:29], s[28:29], exec
	v_mov_b32_e32 v23, 0
	s_or_b64 s[24:25], s[24:25], s[28:29]
	s_or_b64 exec, exec, s[26:27]
	s_and_saveexec_b64 s[26:27], s[24:25]
	s_cbranch_execnz .LBB6_3137
	s_branch .LBB6_3138
.LBB6_3619:                             ;   in Loop: Header=BB6_2947 Depth=2
	s_or_saveexec_b64 s[28:29], s[28:29]
	v_bfrev_b32_e32 v24, 1
	s_xor_b64 exec, exec, s[28:29]
	s_cbranch_execz .LBB6_3166
.LBB6_3620:                             ;   in Loop: Header=BB6_2947 Depth=2
	v_cmp_ne_u16_e32 vcc, 0, v60
	s_andn2_b64 s[26:27], s[26:27], exec
	s_and_b64 vcc, vcc, exec
	v_mov_b32_e32 v24, 0
	s_or_b64 s[26:27], s[26:27], vcc
	s_or_b64 exec, exec, s[28:29]
	s_and_saveexec_b64 s[28:29], s[26:27]
	s_cbranch_execnz .LBB6_3167
	s_branch .LBB6_3168
.LBB6_3621:                             ;   in Loop: Header=BB6_2947 Depth=2
	s_or_saveexec_b64 s[26:27], s[26:27]
	v_bfrev_b32_e32 v22, 1
	s_xor_b64 exec, exec, s[26:27]
	s_cbranch_execz .LBB6_3180
.LBB6_3622:                             ;   in Loop: Header=BB6_2947 Depth=2
	v_cmp_ne_u16_e32 vcc, 0, v60
	s_andn2_b64 s[24:25], s[24:25], exec
	s_and_b64 s[28:29], vcc, exec
	v_mov_b32_e32 v22, 0
	s_or_b64 s[24:25], s[24:25], s[28:29]
	s_or_b64 exec, exec, s[26:27]
	s_and_saveexec_b64 s[26:27], s[24:25]
	s_cbranch_execnz .LBB6_3181
	s_branch .LBB6_3182
.LBB6_3623:                             ;   in Loop: Header=BB6_2947 Depth=2
	s_or_saveexec_b64 s[28:29], s[28:29]
	v_bfrev_b32_e32 v24, 1
	s_xor_b64 exec, exec, s[28:29]
	s_cbranch_execz .LBB6_3210
.LBB6_3624:                             ;   in Loop: Header=BB6_2947 Depth=2
	v_cmp_ne_u16_sdwa vcc, v22, v61 src0_sel:BYTE_0 src1_sel:DWORD
	s_andn2_b64 s[26:27], s[26:27], exec
	s_and_b64 vcc, vcc, exec
	v_mov_b32_e32 v24, 0
	s_or_b64 s[26:27], s[26:27], vcc
	s_or_b64 exec, exec, s[28:29]
	s_and_saveexec_b64 s[28:29], s[26:27]
	s_cbranch_execnz .LBB6_3211
	s_branch .LBB6_3212
.LBB6_3625:                             ;   in Loop: Header=BB6_2947 Depth=2
	s_or_saveexec_b64 s[26:27], s[26:27]
	v_bfrev_b32_e32 v23, 1
	s_xor_b64 exec, exec, s[26:27]
	s_cbranch_execz .LBB6_3224
.LBB6_3626:                             ;   in Loop: Header=BB6_2947 Depth=2
	v_cmp_ne_u16_sdwa s[28:29], v22, v61 src0_sel:BYTE_0 src1_sel:DWORD
	s_andn2_b64 s[24:25], s[24:25], exec
	s_and_b64 s[28:29], s[28:29], exec
	v_mov_b32_e32 v23, 0
	s_or_b64 s[24:25], s[24:25], s[28:29]
	s_or_b64 exec, exec, s[26:27]
	s_and_saveexec_b64 s[26:27], s[24:25]
	s_cbranch_execnz .LBB6_3225
	s_branch .LBB6_3226
.LBB6_3627:                             ;   in Loop: Header=BB6_2947 Depth=2
	s_or_saveexec_b64 s[28:29], s[28:29]
	v_bfrev_b32_e32 v10, 1
	s_xor_b64 exec, exec, s[28:29]
	s_cbranch_execz .LBB6_3286
.LBB6_3628:                             ;   in Loop: Header=BB6_2947 Depth=2
	v_cmp_ne_u16_sdwa vcc, v16, v61 src0_sel:BYTE_0 src1_sel:DWORD
	s_andn2_b64 s[26:27], s[26:27], exec
	s_and_b64 vcc, vcc, exec
	v_mov_b32_e32 v10, 0
	s_or_b64 s[26:27], s[26:27], vcc
	s_or_b64 exec, exec, s[28:29]
	s_and_saveexec_b64 s[28:29], s[26:27]
	s_cbranch_execnz .LBB6_3287
	s_branch .LBB6_3288
.LBB6_3629:                             ;   in Loop: Header=BB6_2947 Depth=2
	s_or_saveexec_b64 s[26:27], s[26:27]
	v_bfrev_b32_e32 v10, 1
	s_xor_b64 exec, exec, s[26:27]
	s_cbranch_execz .LBB6_3300
.LBB6_3630:                             ;   in Loop: Header=BB6_2947 Depth=2
	v_cmp_ne_u16_sdwa s[28:29], v16, v61 src0_sel:BYTE_0 src1_sel:DWORD
	s_andn2_b64 s[24:25], s[24:25], exec
	s_and_b64 s[28:29], s[28:29], exec
	v_mov_b32_e32 v10, 0
	s_or_b64 s[24:25], s[24:25], s[28:29]
	s_or_b64 exec, exec, s[26:27]
	s_and_saveexec_b64 s[26:27], s[24:25]
	s_cbranch_execnz .LBB6_3301
	s_branch .LBB6_3302
.LBB6_3631:                             ;   in Loop: Header=BB6_2947 Depth=2
	s_or_saveexec_b64 s[28:29], s[28:29]
	v_bfrev_b32_e32 v11, 1
	s_xor_b64 exec, exec, s[28:29]
	s_cbranch_execz .LBB6_3330
.LBB6_3632:                             ;   in Loop: Header=BB6_2947 Depth=2
	v_cmp_ne_u16_e32 vcc, 0, v60
	s_andn2_b64 s[26:27], s[26:27], exec
	s_and_b64 vcc, vcc, exec
	v_mov_b32_e32 v11, 0
	s_or_b64 s[26:27], s[26:27], vcc
	s_or_b64 exec, exec, s[28:29]
	s_and_saveexec_b64 s[28:29], s[26:27]
	s_cbranch_execnz .LBB6_3331
	s_branch .LBB6_3332
.LBB6_3633:                             ;   in Loop: Header=BB6_2947 Depth=2
	s_or_saveexec_b64 s[26:27], s[26:27]
	v_bfrev_b32_e32 v10, 1
	s_xor_b64 exec, exec, s[26:27]
	s_cbranch_execz .LBB6_3344
.LBB6_3634:                             ;   in Loop: Header=BB6_2947 Depth=2
	v_cmp_ne_u16_e32 vcc, 0, v60
	s_andn2_b64 s[24:25], s[24:25], exec
	s_and_b64 s[28:29], vcc, exec
	v_mov_b32_e32 v10, 0
	s_or_b64 s[24:25], s[24:25], s[28:29]
	s_or_b64 exec, exec, s[26:27]
	s_and_saveexec_b64 s[26:27], s[24:25]
	s_cbranch_execnz .LBB6_3345
	s_branch .LBB6_3346
.LBB6_3635:                             ;   in Loop: Header=BB6_2947 Depth=2
	s_or_saveexec_b64 s[28:29], s[28:29]
	v_bfrev_b32_e32 v14, 1
	s_xor_b64 exec, exec, s[28:29]
	s_cbranch_execz .LBB6_3374
.LBB6_3636:                             ;   in Loop: Header=BB6_2947 Depth=2
	v_cmp_ne_u16_sdwa vcc, v10, v61 src0_sel:BYTE_0 src1_sel:DWORD
	s_andn2_b64 s[26:27], s[26:27], exec
	s_and_b64 vcc, vcc, exec
	v_mov_b32_e32 v14, 0
	s_or_b64 s[26:27], s[26:27], vcc
	s_or_b64 exec, exec, s[28:29]
	s_and_saveexec_b64 s[28:29], s[26:27]
	s_cbranch_execnz .LBB6_3375
	s_branch .LBB6_3376
.LBB6_3637:                             ;   in Loop: Header=BB6_2947 Depth=2
	s_or_saveexec_b64 s[26:27], s[26:27]
	v_bfrev_b32_e32 v11, 1
	s_xor_b64 exec, exec, s[26:27]
	s_cbranch_execz .LBB6_3388
.LBB6_3638:                             ;   in Loop: Header=BB6_2947 Depth=2
	v_cmp_ne_u16_sdwa s[28:29], v10, v61 src0_sel:BYTE_0 src1_sel:DWORD
	s_andn2_b64 s[24:25], s[24:25], exec
	s_and_b64 s[28:29], s[28:29], exec
	v_mov_b32_e32 v11, 0
	s_or_b64 s[24:25], s[24:25], s[28:29]
	s_or_b64 exec, exec, s[26:27]
	s_and_saveexec_b64 s[26:27], s[24:25]
	s_cbranch_execnz .LBB6_3389
	s_branch .LBB6_3390
.LBB6_3639:                             ;   in Loop: Header=BB6_2947 Depth=2
	s_or_saveexec_b64 s[28:29], s[28:29]
	v_bfrev_b32_e32 v14, 1
	s_xor_b64 exec, exec, s[28:29]
	s_cbranch_execz .LBB6_3450
.LBB6_3640:                             ;   in Loop: Header=BB6_2947 Depth=2
	v_cmp_ne_u16_sdwa vcc, v17, v61 src0_sel:BYTE_0 src1_sel:DWORD
	s_andn2_b64 s[26:27], s[26:27], exec
	s_and_b64 vcc, vcc, exec
	v_mov_b32_e32 v14, 0
	s_or_b64 s[26:27], s[26:27], vcc
	s_or_b64 exec, exec, s[28:29]
	s_and_saveexec_b64 s[28:29], s[26:27]
	s_cbranch_execnz .LBB6_3451
	s_branch .LBB6_3452
.LBB6_3641:                             ;   in Loop: Header=BB6_2947 Depth=2
	s_or_saveexec_b64 s[26:27], s[26:27]
	v_bfrev_b32_e32 v14, 1
	s_xor_b64 exec, exec, s[26:27]
	s_cbranch_execz .LBB6_3464
.LBB6_3642:                             ;   in Loop: Header=BB6_2947 Depth=2
	v_cmp_ne_u16_sdwa s[28:29], v17, v61 src0_sel:BYTE_0 src1_sel:DWORD
	s_andn2_b64 s[24:25], s[24:25], exec
	s_and_b64 s[28:29], s[28:29], exec
	v_mov_b32_e32 v14, 0
	s_or_b64 s[24:25], s[24:25], s[28:29]
	s_or_b64 exec, exec, s[26:27]
	s_and_saveexec_b64 s[26:27], s[24:25]
	s_cbranch_execnz .LBB6_3465
	s_branch .LBB6_3466
.LBB6_3643:                             ;   in Loop: Header=BB6_2947 Depth=2
	s_or_saveexec_b64 s[28:29], s[28:29]
	v_bfrev_b32_e32 v22, 1
	s_xor_b64 exec, exec, s[28:29]
	s_cbranch_execz .LBB6_3494
.LBB6_3644:                             ;   in Loop: Header=BB6_2947 Depth=2
	v_cmp_ne_u16_e32 vcc, 0, v10
	s_andn2_b64 s[26:27], s[26:27], exec
	s_and_b64 vcc, vcc, exec
	v_mov_b32_e32 v22, 0
	s_or_b64 s[26:27], s[26:27], vcc
	s_or_b64 exec, exec, s[28:29]
	s_and_saveexec_b64 s[28:29], s[26:27]
	s_cbranch_execnz .LBB6_3495
	s_branch .LBB6_3496
.LBB6_3645:                             ;   in Loop: Header=BB6_2947 Depth=2
	s_or_saveexec_b64 s[26:27], s[26:27]
	v_bfrev_b32_e32 v14, 1
	s_xor_b64 exec, exec, s[26:27]
	s_cbranch_execz .LBB6_3508
.LBB6_3646:                             ;   in Loop: Header=BB6_2947 Depth=2
	v_cmp_ne_u16_e32 vcc, 0, v10
	s_andn2_b64 s[24:25], s[24:25], exec
	s_and_b64 s[28:29], vcc, exec
	v_mov_b32_e32 v14, 0
	s_or_b64 s[24:25], s[24:25], s[28:29]
	s_or_b64 exec, exec, s[26:27]
	s_and_saveexec_b64 s[26:27], s[24:25]
	s_cbranch_execnz .LBB6_3509
	s_branch .LBB6_3510
.LBB6_3647:                             ;   in Loop: Header=BB6_2947 Depth=2
	s_or_saveexec_b64 s[28:29], s[28:29]
	v_bfrev_b32_e32 v23, 1
	s_xor_b64 exec, exec, s[28:29]
	s_cbranch_execz .LBB6_3538
.LBB6_3648:                             ;   in Loop: Header=BB6_2947 Depth=2
	v_cmp_ne_u16_sdwa vcc, v10, v61 src0_sel:BYTE_0 src1_sel:DWORD
	s_andn2_b64 s[26:27], s[26:27], exec
	s_and_b64 vcc, vcc, exec
	v_mov_b32_e32 v23, 0
	s_or_b64 s[26:27], s[26:27], vcc
	s_or_b64 exec, exec, s[28:29]
	s_and_saveexec_b64 s[28:29], s[26:27]
	s_cbranch_execnz .LBB6_3539
	s_branch .LBB6_3540
.LBB6_3649:                             ;   in Loop: Header=BB6_2947 Depth=2
	s_or_saveexec_b64 s[26:27], s[26:27]
	v_bfrev_b32_e32 v11, 1
	s_xor_b64 exec, exec, s[26:27]
	s_cbranch_execz .LBB6_3552
.LBB6_3650:                             ;   in Loop: Header=BB6_2947 Depth=2
	v_cmp_ne_u16_sdwa s[28:29], v10, v61 src0_sel:BYTE_0 src1_sel:DWORD
	s_andn2_b64 s[24:25], s[24:25], exec
	s_and_b64 s[28:29], s[28:29], exec
	v_mov_b32_e32 v11, 0
	s_or_b64 s[24:25], s[24:25], s[28:29]
	s_or_b64 exec, exec, s[26:27]
	s_and_saveexec_b64 s[26:27], s[24:25]
	s_cbranch_execnz .LBB6_3553
	s_branch .LBB6_3554
.LBB6_3651:                             ;   in Loop: Header=BB6_49 Depth=1
	s_or_b64 exec, exec, s[30:31]
.LBB6_3652:                             ;   in Loop: Header=BB6_49 Depth=1
	s_or_b64 exec, exec, s[94:95]
	v_and_b32_e32 v0, 15, v55
	v_cndmask_b32_e64 v3, v5, v0, s[20:21]
	buffer_load_dword v0, off, s[0:3], s33 offset:100 ; 4-byte Folded Reload
	v_cmp_lt_i32_e32 vcc, 0, v6
	v_and_b32_e32 v1, 0x3f0, v55
	v_cndmask_b32_e64 v1, 0, v1, s[20:21]
	v_and_or_b32 v7, v55, s66, v1
	s_waitcnt vmcnt(0)
	v_cndmask_b32_e32 v0, 0, v0, vcc
	v_sub_u32_e32 v0, v0, v6
	v_cmp_ne_u32_e32 vcc, 0, v3
	v_lshl_add_u32 v2, v0, 6, v4
	s_and_b64 s[20:21], vcc, exec
.LBB6_3653:                             ;   in Loop: Header=BB6_49 Depth=1
	s_or_b64 exec, exec, s[92:93]
	s_and_saveexec_b64 s[26:27], s[20:21]
	s_cbranch_execz .LBB6_5246
.LBB6_3654:                             ;   in Loop: Header=BB6_49 Depth=1
	s_waitcnt vmcnt(0)
	v_ashrrev_i32_e32 v0, 31, v2
	v_lshrrev_b32_e32 v0, 26, v0
	v_add_u32_e32 v0, v2, v0
	v_ashrrev_i32_e32 v4, 6, v0
	v_lshrrev_b32_e32 v1, 11, v3
	v_sub_u32_e32 v20, v1, v4
	v_cmp_lt_i32_e32 vcc, 0, v20
	s_and_saveexec_b64 s[24:25], vcc
	s_cbranch_execz .LBB6_5194
; %bb.3655:                             ;   in Loop: Header=BB6_49 Depth=1
	buffer_store_dword v3, off, s[0:3], s33 offset:196 ; 4-byte Folded Spill
	buffer_store_dword v55, off, s[0:3], s33 offset:304 ; 4-byte Folded Spill
	;; [unrolled: 1-line block ×3, first 2 shown]
	s_nop 0
	buffer_store_dword v44, off, s[0:3], s33 offset:300 ; 4-byte Folded Spill
	buffer_store_dword v42, off, s[0:3], s33 offset:284 ; 4-byte Folded Spill
	s_nop 0
	buffer_store_dword v43, off, s[0:3], s33 offset:288 ; 4-byte Folded Spill
	buffer_store_dword v49, off, s[0:3], s33 offset:276 ; 4-byte Folded Spill
	s_nop 0
	buffer_store_dword v50, off, s[0:3], s33 offset:280 ; 4-byte Folded Spill
	v_and_b32_e32 v0, 0xffffffc0, v0
	v_sub_u32_e32 v0, v2, v0
	buffer_store_dword v2, off, s[0:3], s33 offset:200 ; 4-byte Folded Spill
	buffer_store_dword v4, off, s[0:3], s33 offset:204 ; 4-byte Folded Spill
	;; [unrolled: 1-line block ×3, first 2 shown]
	s_trap 2
	ds_read_b64 v[2:3], v0
	v_lshlrev_b32_e32 v1, 11, v4
	v_add3_u32 v4, v7, v0, v1
	v_ashrrev_i32_e32 v5, 31, v4
	v_add_co_u32_e32 v0, vcc, v4, v56
	v_addc_co_u32_e32 v1, vcc, v5, v57, vcc
	s_waitcnt lgkmcnt(0)
	v_add_co_u32_e32 v10, vcc, v2, v4
	v_addc_co_u32_e32 v11, vcc, v3, v5, vcc
	s_bitcmp1_b32 s67, 0
	s_cselect_b64 s[28:29], -1, 0
	s_mov_b64 s[92:93], 0
	v_add_co_u32_e32 v2, vcc, 0x7c0, v44
	v_addc_co_u32_e32 v3, vcc, 0, v45, vcc
	v_add_co_u32_e32 v12, vcc, v2, v4
	v_addc_co_u32_e32 v13, vcc, v3, v5, vcc
	s_branch .LBB6_3657
.LBB6_3656:                             ;   in Loop: Header=BB6_3657 Depth=2
	s_or_b64 exec, exec, s[20:21]
	v_add_co_u32_e32 v30, vcc, 0xfffff840, v12
	v_addc_co_u32_e32 v31, vcc, -1, v13, vcc
	flat_store_byte v[30:31], v47 glc slc
	v_add_co_u32_e32 v30, vcc, 0xfffff880, v12
	v_addc_co_u32_e32 v31, vcc, -1, v13, vcc
	flat_store_byte v[30:31], v46 glc slc
	;; [unrolled: 3-line block ×16, first 2 shown]
	v_add_co_u32_e32 v30, vcc, 0xfffffc40, v12
	v_addc_co_u32_e32 v31, vcc, -1, v13, vcc
	v_add_co_u32_e32 v21, vcc, 0xfffffc80, v12
	flat_store_byte v[30:31], v22 glc slc
	v_addc_co_u32_e32 v22, vcc, -1, v13, vcc
	v_add_co_u32_e32 v7, vcc, 0xfffffcc0, v12
	flat_store_byte v[21:22], v8 glc slc
	v_addc_co_u32_e32 v8, vcc, -1, v13, vcc
	flat_store_byte v[7:8], v6 glc slc
	v_add_co_u32_e32 v6, vcc, 0xfffffd00, v12
	v_addc_co_u32_e32 v7, vcc, -1, v13, vcc
	flat_store_byte v[6:7], v9 glc slc
	v_add_co_u32_e32 v6, vcc, 0xfffffd40, v12
	v_addc_co_u32_e32 v7, vcc, -1, v13, vcc
	v_add_co_u32_e32 v4, vcc, 0xfffffd80, v12
	flat_store_byte v[6:7], v5 glc slc
	v_addc_co_u32_e32 v5, vcc, -1, v13, vcc
	flat_store_byte v[4:5], v17 glc slc
	v_add_co_u32_e32 v4, vcc, 0xfffffdc0, v12
	v_addc_co_u32_e32 v5, vcc, -1, v13, vcc
	flat_store_byte v[4:5], v18 glc slc
	v_add_co_u32_e32 v4, vcc, 0xfffffe00, v12
	;; [unrolled: 3-line block ×8, first 2 shown]
	v_addc_co_u32_e32 v5, vcc, -1, v13, vcc
	v_add_co_u32_e32 v2, vcc, s65, v12
	flat_store_byte v[4:5], v3 glc slc
	v_addc_co_u32_e32 v3, vcc, -1, v13, vcc
	flat_store_byte v[2:3], v29 glc slc
	flat_store_byte v[12:13], v15 glc slc
	buffer_load_dword v3, off, s[0:3], s33 offset:100 ; 4-byte Folded Reload
	s_waitcnt vmcnt(0)
	v_lshlrev_b32_e32 v2, 11, v3
	v_add_co_u32_e32 v0, vcc, v0, v2
	v_addc_co_u32_e32 v1, vcc, 0, v1, vcc
	v_add_co_u32_e32 v10, vcc, v10, v2
	v_addc_co_u32_e32 v11, vcc, 0, v11, vcc
	v_sub_u32_e32 v20, v20, v3
	v_cmp_gt_i32_e32 vcc, 1, v20
	s_or_b64 s[92:93], vcc, s[92:93]
	v_add_co_u32_e32 v12, vcc, v12, v2
	v_addc_co_u32_e32 v13, vcc, 0, v13, vcc
	s_andn2_b64 exec, exec, s[92:93]
	s_cbranch_execz .LBB6_5193
.LBB6_3657:                             ;   Parent Loop BB6_49 Depth=1
                                        ; =>  This Inner Loop Header: Depth=2
	flat_load_ubyte v16, v[0:1] glc slc
	flat_load_ubyte v41, v[0:1] offset:64 glc slc
	flat_load_ubyte v48, v[0:1] offset:128 glc slc
	;; [unrolled: 1-line block ×15, first 2 shown]
	v_bfrev_b32_e32 v21, 60
	v_mov_b32_e32 v46, 0xffffff82
	s_mov_b64 s[22:23], -1
	s_and_b64 vcc, exec, s[28:29]
                                        ; implicit-def: $vgpr14
	s_waitcnt vmcnt(0) lgkmcnt(0)
	v_cmp_ne_u16_e64 s[20:21], 0, v16
	buffer_store_dword v2, off, s[0:3], s33 offset:124 ; 4-byte Folded Spill
	flat_load_ubyte v2, v[0:1] offset:1024 glc slc
	s_waitcnt vmcnt(0) lgkmcnt(0)
	buffer_store_dword v2, off, s[0:3], s33 offset:128 ; 4-byte Folded Spill
	flat_load_ubyte v2, v[0:1] offset:1088 glc slc
	s_waitcnt vmcnt(0) lgkmcnt(0)
	;; [unrolled: 3-line block ×5, first 2 shown]
	buffer_store_dword v2, off, s[0:3], s33 offset:88 ; 4-byte Folded Spill
	flat_load_ubyte v47, v[0:1] offset:1344 glc slc
	s_nop 0
	flat_load_ubyte v2, v[0:1] offset:1408 glc slc
	s_waitcnt vmcnt(0) lgkmcnt(0)
	buffer_store_dword v2, off, s[0:3], s33 offset:140 ; 4-byte Folded Spill
	flat_load_ubyte v2, v[0:1] offset:1472 glc slc
	s_waitcnt vmcnt(0) lgkmcnt(0)
	buffer_store_dword v2, off, s[0:3], s33 offset:148 ; 4-byte Folded Spill
	flat_load_ubyte v2, v[0:1] offset:1536 glc slc
	s_waitcnt vmcnt(0) lgkmcnt(0)
	buffer_store_dword v2, off, s[0:3], s33 offset:152 ; 4-byte Folded Spill
	flat_load_ubyte v2, v[0:1] offset:1600 glc slc
	s_waitcnt vmcnt(0) lgkmcnt(0)
	buffer_store_dword v2, off, s[0:3], s33 offset:156 ; 4-byte Folded Spill
	flat_load_ubyte v2, v[0:1] offset:1664 glc slc
	s_waitcnt vmcnt(0) lgkmcnt(0)
	buffer_store_dword v2, off, s[0:3], s33 offset:168 ; 4-byte Folded Spill
	flat_load_ubyte v2, v[0:1] offset:1728 glc slc
	s_waitcnt vmcnt(0) lgkmcnt(0)
	buffer_store_dword v2, off, s[0:3], s33 offset:172 ; 4-byte Folded Spill
	flat_load_ubyte v32, v[0:1] offset:1792 glc slc
	flat_load_ubyte v17, v[0:1] offset:1856 glc slc
	;; [unrolled: 1-line block ×4, first 2 shown]
	flat_load_ubyte v15, v[10:11] glc slc
	flat_load_ubyte v40, v[10:11] offset:64 glc slc
	flat_load_ubyte v39, v[10:11] offset:128 glc slc
	;; [unrolled: 1-line block ×15, first 2 shown]
	s_waitcnt vmcnt(0) lgkmcnt(0)
	buffer_store_dword v5, off, s[0:3], s33 offset:120 ; 4-byte Folded Spill
	flat_load_ubyte v5, v[10:11] offset:1024 glc slc
	s_waitcnt vmcnt(0) lgkmcnt(0)
	buffer_store_dword v5, off, s[0:3], s33 offset:164 ; 4-byte Folded Spill
	flat_load_ubyte v22, v[10:11] offset:1088 glc slc
	s_nop 0
	flat_load_ubyte v5, v[10:11] offset:1152 glc slc
	s_waitcnt vmcnt(0) lgkmcnt(0)
	buffer_store_dword v5, off, s[0:3], s33 offset:132 ; 4-byte Folded Spill
	flat_load_ubyte v18, v[10:11] offset:1216 glc slc
	flat_load_ubyte v23, v[10:11] offset:1280 glc slc
	s_nop 0
	flat_load_ubyte v5, v[10:11] offset:1344 glc slc
	s_waitcnt vmcnt(0) lgkmcnt(0)
	buffer_store_dword v5, off, s[0:3], s33 offset:104 ; 4-byte Folded Spill
	flat_load_ubyte v57, v[10:11] offset:1408 glc slc
	flat_load_ubyte v26, v[10:11] offset:1472 glc slc
	;; [unrolled: 1-line block ×4, first 2 shown]
	s_nop 0
	flat_load_ubyte v5, v[10:11] offset:1664 glc slc
	s_waitcnt vmcnt(0) lgkmcnt(0)
	buffer_store_dword v5, off, s[0:3], s33 offset:136 ; 4-byte Folded Spill
	flat_load_ubyte v56, v[10:11] offset:1728 glc slc
	flat_load_ubyte v62, v[10:11] offset:1792 glc slc
	s_nop 0
	flat_load_ubyte v5, v[10:11] offset:1856 glc slc
	s_waitcnt vmcnt(0) lgkmcnt(0)
	buffer_store_dword v5, off, s[0:3], s33 offset:144 ; 4-byte Folded Spill
	flat_load_ubyte v45, v[10:11] offset:1920 glc slc
	flat_load_ubyte v43, v[10:11] offset:1984 glc slc
	s_cbranch_vccz .LBB6_3671
; %bb.3658:                             ;   in Loop: Header=BB6_3657 Depth=2
	v_mov_b32_e32 v50, 0
	v_mov_b32_e32 v60, 0
	s_and_saveexec_b64 s[22:23], s[20:21]
	s_cbranch_execz .LBB6_3664
; %bb.3659:                             ;   in Loop: Header=BB6_3657 Depth=2
	v_cmp_ne_u16_e32 vcc, s53, v16
	v_bfrev_b32_e32 v60, 1
	s_and_saveexec_b64 s[94:95], vcc
	s_cbranch_execz .LBB6_3663
; %bb.3660:                             ;   in Loop: Header=BB6_3657 Depth=2
	v_and_b32_e32 v14, 0xffff, v16
	v_and_b32_e32 v51, 0x7f, v14
	v_cmp_ne_u32_e32 vcc, s54, v51
	v_mov_b32_e32 v60, 0x7f800001
	s_and_saveexec_b64 s[30:31], vcc
	s_cbranch_execz .LBB6_3662
; %bb.3661:                             ;   in Loop: Header=BB6_3657 Depth=2
	v_mov_b32_e32 v5, v47
	v_mov_b32_e32 v47, v42
	v_and_b32_e32 v42, 7, v14
	s_waitcnt vmcnt(0) lgkmcnt(0)
	v_mov_b32_e32 v60, v43
	v_lshrrev_b32_e32 v43, 3, v51
	v_cmp_gt_u32_e32 vcc, 8, v51
	v_ffbh_u32_e32 v51, v42
	v_min_u32_e32 v51, 32, v51
	v_subrev_u32_e32 v53, 28, v51
	v_lshlrev_b64 v[53:54], v53, v[14:15]
	v_sub_u32_e32 v14, 29, v51
	v_and_b32_e32 v51, 7, v53
	v_cndmask_b32_e32 v14, v43, v14, vcc
	v_cndmask_b32_e32 v51, v42, v51, vcc
	v_lshlrev_b32_e32 v53, 24, v16
	v_lshlrev_b32_e32 v51, 20, v51
	v_and_b32_e32 v53, 0x80000000, v53
	v_lshl_add_u32 v14, v14, 23, v21
	v_mov_b32_e32 v43, v60
	v_mov_b32_e32 v42, v47
	;; [unrolled: 1-line block ×3, first 2 shown]
	v_or3_b32 v60, v53, v14, v51
.LBB6_3662:                             ;   in Loop: Header=BB6_3657 Depth=2
	s_or_b64 exec, exec, s[30:31]
.LBB6_3663:                             ;   in Loop: Header=BB6_3657 Depth=2
	s_or_b64 exec, exec, s[94:95]
.LBB6_3664:                             ;   in Loop: Header=BB6_3657 Depth=2
	s_or_b64 exec, exec, s[22:23]
	v_and_b32_e32 v14, 0xff, v15
	v_cmp_ne_u16_e32 vcc, 0, v14
	s_and_saveexec_b64 s[22:23], vcc
	s_cbranch_execz .LBB6_3670
; %bb.3665:                             ;   in Loop: Header=BB6_3657 Depth=2
	v_cmp_ne_u16_e32 vcc, s53, v14
	v_bfrev_b32_e32 v50, 1
	s_and_saveexec_b64 s[94:95], vcc
	s_cbranch_execz .LBB6_3669
; %bb.3666:                             ;   in Loop: Header=BB6_3657 Depth=2
	v_and_b32_e32 v51, 0x7f, v15
	v_cmp_ne_u32_e32 vcc, s54, v51
	v_mov_b32_e32 v50, 0x7f800001
	s_and_saveexec_b64 s[30:31], vcc
	s_cbranch_execz .LBB6_3668
; %bb.3667:                             ;   in Loop: Header=BB6_3657 Depth=2
	v_and_b32_e32 v53, 7, v14
	v_ffbh_u32_e32 v50, v53
	v_mov_b32_e32 v5, v47
	v_mov_b32_e32 v47, v42
	v_min_u32_e32 v42, 32, v50
	v_subrev_u32_e32 v50, 28, v42
	v_lshrrev_b32_e32 v54, 3, v51
	v_cmp_gt_u32_e32 vcc, 8, v51
	v_lshlrev_b64 v[50:51], v50, v[14:15]
	v_sub_u32_e32 v14, 29, v42
	v_and_b32_e32 v50, 7, v50
	v_cndmask_b32_e32 v14, v54, v14, vcc
	v_cndmask_b32_e32 v50, v53, v50, vcc
	v_lshlrev_b32_e32 v51, 24, v15
	v_lshlrev_b32_e32 v50, 20, v50
	v_and_b32_e32 v51, 0x80000000, v51
	v_lshl_add_u32 v14, v14, 23, v21
	v_mov_b32_e32 v42, v47
	v_mov_b32_e32 v47, v5
	v_or3_b32 v50, v51, v14, v50
.LBB6_3668:                             ;   in Loop: Header=BB6_3657 Depth=2
	s_or_b64 exec, exec, s[30:31]
.LBB6_3669:                             ;   in Loop: Header=BB6_3657 Depth=2
	s_or_b64 exec, exec, s[94:95]
.LBB6_3670:                             ;   in Loop: Header=BB6_3657 Depth=2
	s_or_b64 exec, exec, s[22:23]
	v_max_f32_e32 v14, v50, v50
	v_max_f32_e32 v50, v60, v60
	;; [unrolled: 1-line block ×3, first 2 shown]
	s_mov_b64 s[22:23], 0
.LBB6_3671:                             ;   in Loop: Header=BB6_3657 Depth=2
	s_and_b64 vcc, exec, s[22:23]
	v_mov_b32_e32 v5, v23
	s_cbranch_vccz .LBB6_3685
; %bb.3672:                             ;   in Loop: Header=BB6_3657 Depth=2
	v_mov_b32_e32 v50, 0
	v_mov_b32_e32 v60, 0
	s_and_saveexec_b64 s[22:23], s[20:21]
	s_cbranch_execz .LBB6_3678
; %bb.3673:                             ;   in Loop: Header=BB6_3657 Depth=2
	v_cmp_ne_u16_e32 vcc, s53, v16
	v_bfrev_b32_e32 v60, 1
	s_and_saveexec_b64 s[20:21], vcc
	s_cbranch_execz .LBB6_3677
; %bb.3674:                             ;   in Loop: Header=BB6_3657 Depth=2
	v_and_b32_e32 v14, 0xffff, v16
	v_and_b32_e32 v51, 0x7f, v14
	v_cmp_ne_u32_e32 vcc, s54, v51
	v_mov_b32_e32 v60, 0x7f800001
	s_and_saveexec_b64 s[94:95], vcc
	s_cbranch_execz .LBB6_3676
; %bb.3675:                             ;   in Loop: Header=BB6_3657 Depth=2
	v_mov_b32_e32 v5, v47
	v_mov_b32_e32 v47, v42
	v_and_b32_e32 v42, 7, v14
	s_waitcnt vmcnt(0) lgkmcnt(0)
	v_mov_b32_e32 v60, v43
	v_lshrrev_b32_e32 v43, 3, v51
	v_cmp_gt_u32_e32 vcc, 8, v51
	v_ffbh_u32_e32 v51, v42
	v_min_u32_e32 v51, 32, v51
	v_subrev_u32_e32 v53, 28, v51
	v_lshlrev_b64 v[53:54], v53, v[14:15]
	v_sub_u32_e32 v14, 29, v51
	v_and_b32_e32 v51, 7, v53
	v_cndmask_b32_e32 v14, v43, v14, vcc
	v_cndmask_b32_e32 v51, v42, v51, vcc
	v_lshlrev_b32_e32 v16, 24, v16
	v_lshlrev_b32_e32 v51, 20, v51
	v_and_b32_e32 v16, 0x80000000, v16
	v_lshl_add_u32 v14, v14, 23, v21
	v_mov_b32_e32 v43, v60
	v_mov_b32_e32 v42, v47
	;; [unrolled: 1-line block ×4, first 2 shown]
	v_or3_b32 v60, v16, v14, v51
.LBB6_3676:                             ;   in Loop: Header=BB6_3657 Depth=2
	s_or_b64 exec, exec, s[94:95]
.LBB6_3677:                             ;   in Loop: Header=BB6_3657 Depth=2
	s_or_b64 exec, exec, s[20:21]
.LBB6_3678:                             ;   in Loop: Header=BB6_3657 Depth=2
	s_or_b64 exec, exec, s[22:23]
	v_and_b32_e32 v14, 0xff, v15
	v_cmp_ne_u16_e32 vcc, 0, v14
	s_and_saveexec_b64 s[20:21], vcc
	s_cbranch_execz .LBB6_3684
; %bb.3679:                             ;   in Loop: Header=BB6_3657 Depth=2
	v_cmp_ne_u16_e32 vcc, s53, v14
	v_bfrev_b32_e32 v50, 1
	s_and_saveexec_b64 s[22:23], vcc
	s_cbranch_execz .LBB6_3683
; %bb.3680:                             ;   in Loop: Header=BB6_3657 Depth=2
	v_and_b32_e32 v16, 0x7f, v15
	v_cmp_ne_u32_e32 vcc, s54, v16
	v_mov_b32_e32 v50, 0x7f800001
	s_and_saveexec_b64 s[94:95], vcc
	s_cbranch_execz .LBB6_3682
; %bb.3681:                             ;   in Loop: Header=BB6_3657 Depth=2
	v_and_b32_e32 v53, 7, v14
	v_lshrrev_b32_e32 v54, 3, v16
	v_cmp_gt_u32_e32 vcc, 8, v16
	v_ffbh_u32_e32 v16, v53
	v_min_u32_e32 v16, 32, v16
	v_subrev_u32_e32 v50, 28, v16
	v_lshlrev_b64 v[50:51], v50, v[14:15]
	v_sub_u32_e32 v14, 29, v16
	v_and_b32_e32 v16, 7, v50
	v_cndmask_b32_e32 v14, v54, v14, vcc
	v_cndmask_b32_e32 v16, v53, v16, vcc
	v_lshlrev_b32_e32 v15, 24, v15
	v_lshlrev_b32_e32 v16, 20, v16
	v_and_b32_e32 v15, 0x80000000, v15
	v_lshl_add_u32 v14, v14, 23, v21
	v_or3_b32 v50, v15, v14, v16
.LBB6_3682:                             ;   in Loop: Header=BB6_3657 Depth=2
	s_or_b64 exec, exec, s[94:95]
.LBB6_3683:                             ;   in Loop: Header=BB6_3657 Depth=2
	s_or_b64 exec, exec, s[22:23]
.LBB6_3684:                             ;   in Loop: Header=BB6_3657 Depth=2
	s_or_b64 exec, exec, s[20:21]
	v_max_f32_e32 v14, v50, v50
	v_max_f32_e32 v15, v60, v60
	v_min_f32_e32 v14, v15, v14
.LBB6_3685:                             ;   in Loop: Header=BB6_3657 Depth=2
	v_and_b32_e32 v60, 0x7f800000, v14
	buffer_store_dword v47, off, s[0:3], s33 offset:108 ; 4-byte Folded Spill
	v_cmp_ne_u64_e32 vcc, s[72:73], v[60:61]
                                        ; implicit-def: $vgpr47
	s_mov_b64 s[20:21], exec
	s_and_b64 s[94:95], s[20:21], vcc
	s_xor_b64 s[22:23], s[94:95], s[20:21]
	v_mov_b32_e32 v23, v8
	s_mov_b64 exec, s[94:95]
	s_cbranch_execz .LBB6_3703
; %bb.3686:                             ;   in Loop: Header=BB6_3657 Depth=2
	v_and_b32_e32 v60, 0x7fffffff, v14
	v_cmp_gt_u64_e32 vcc, s[74:75], v[60:61]
	v_and_b32_sdwa v50, v14, s53 dst_sel:DWORD dst_unused:UNUSED_PAD src0_sel:BYTE_3 src1_sel:DWORD
                                        ; implicit-def: $vgpr47
	s_and_saveexec_b64 s[20:21], vcc
	s_xor_b64 s[94:95], exec, s[20:21]
	s_cbranch_execz .LBB6_3700
; %bb.3687:                             ;   in Loop: Header=BB6_3657 Depth=2
	v_cmp_ne_u32_e32 vcc, 0, v14
	v_mov_b32_e32 v47, 0
	s_and_saveexec_b64 s[30:31], vcc
	s_cbranch_execz .LBB6_3699
; %bb.3688:                             ;   in Loop: Header=BB6_3657 Depth=2
	v_bfe_u32 v51, v14, 23, 8
	v_and_b32_e32 v15, 0x7fffff, v14
	v_cmp_gt_u32_e64 s[20:21], s64, v51
	v_sub_u32_e32 v14, 0x79, v51
	v_cmp_eq_u32_e32 vcc, 0, v51
	v_cndmask_b32_e64 v14, 0, v14, s[20:21]
	v_mov_b32_e32 v53, 0x78
	v_cndmask_b32_e32 v53, v14, v53, vcc
	v_or_b32_e32 v16, 0x800000, v15
	v_add_u32_e32 v14, 20, v53
	v_cndmask_b32_e32 v60, v16, v15, vcc
	v_lshlrev_b64 v[14:15], v14, -1
	v_add_u32_e32 v16, 19, v53
	v_mov_b32_e32 v47, v42
	s_waitcnt vmcnt(0) lgkmcnt(0)
	v_mov_b32_e32 v54, v43
	v_lshlrev_b64 v[42:43], v16, 1
	v_bfi_b32 v15, v15, 0, 0
	v_bfi_b32 v14, v14, 0, v60
	v_cmp_eq_u64_e64 s[20:21], v[14:15], v[42:43]
	v_lshrrev_b64 v[14:15], v53, v[60:61]
	v_mov_b32_e32 v16, v15
	v_mov_b32_e32 v15, v14
	s_and_saveexec_b64 s[34:35], s[20:21]
; %bb.3689:                             ;   in Loop: Header=BB6_3657 Depth=2
	v_bfe_u32 v15, v14, 20, 1
	v_add_co_u32_e64 v15, s[20:21], v14, v15
	v_add_co_u32_e64 v15, s[20:21], -1, v15
; %bb.3690:                             ;   in Loop: Header=BB6_3657 Depth=2
	s_or_b64 exec, exec, s[34:35]
	v_add_u32_e32 v16, 0xffffff81, v51
	v_cndmask_b32_e32 v16, v16, v46, vcc
	v_lshrrev_b32_e32 v51, 23, v14
	v_add3_u32 v53, v53, v16, v51
	v_add_u32_e32 v51, 6, v53
	v_and_b32_e32 v15, 0xfffff, v15
	v_add_u32_e32 v60, v15, v14
	v_cmp_ne_u32_e32 vcc, 0, v51
                                        ; implicit-def: $vgpr14_vgpr15
                                        ; implicit-def: $vgpr16
	s_and_saveexec_b64 s[20:21], vcc
	s_xor_b64 s[20:21], exec, s[20:21]
; %bb.3691:                             ;   in Loop: Header=BB6_3657 Depth=2
	v_cmp_lt_u64_e32 vcc, s[76:77], v[60:61]
	v_add_u32_e32 v14, 7, v53
	v_cndmask_b32_e32 v16, v51, v14, vcc
	v_cndmask_b32_e64 v14, 0, 1, vcc
	v_lshrrev_b64 v[14:15], v14, v[60:61]
; %bb.3692:                             ;   in Loop: Header=BB6_3657 Depth=2
	s_or_saveexec_b64 s[20:21], s[20:21]
	v_mov_b32_e32 v43, v54
	v_mov_b32_e32 v42, v47
	s_xor_b64 exec, exec, s[20:21]
; %bb.3693:                             ;   in Loop: Header=BB6_3657 Depth=2
	v_mov_b32_e32 v14, v60
	v_bfe_u32 v16, v60, 23, 1
	v_mov_b32_e32 v15, v61
; %bb.3694:                             ;   in Loop: Header=BB6_3657 Depth=2
	s_or_b64 exec, exec, s[20:21]
	v_lshrrev_b64 v[14:15], 20, v[14:15]
	v_cmp_gt_i32_e32 vcc, 16, v16
	v_cndmask_b32_e32 v15, 0, v15, vcc
	v_cndmask_b32_e32 v14, 7, v14, vcc
	v_cmp_ne_u64_e32 vcc, 0, v[14:15]
	v_cmp_ne_u32_e64 s[20:21], 0, v16
	s_or_b64 s[20:21], s[20:21], vcc
                                        ; implicit-def: $vgpr47
	s_and_saveexec_b64 vcc, s[20:21]
	s_xor_b64 s[20:21], exec, vcc
; %bb.3695:                             ;   in Loop: Header=BB6_3657 Depth=2
	v_min_i32_e32 v15, 15, v16
	v_lshl_or_b32 v15, v15, 3, v50
	v_and_or_b32 v47, v14, 7, v15
                                        ; implicit-def: $vgpr50
; %bb.3696:                             ;   in Loop: Header=BB6_3657 Depth=2
	s_andn2_saveexec_b64 s[20:21], s[20:21]
; %bb.3697:                             ;   in Loop: Header=BB6_3657 Depth=2
	v_mov_b32_e32 v47, v50
; %bb.3698:                             ;   in Loop: Header=BB6_3657 Depth=2
	s_or_b64 exec, exec, s[20:21]
.LBB6_3699:                             ;   in Loop: Header=BB6_3657 Depth=2
	s_or_b64 exec, exec, s[30:31]
                                        ; implicit-def: $vgpr50
.LBB6_3700:                             ;   in Loop: Header=BB6_3657 Depth=2
	s_andn2_saveexec_b64 s[20:21], s[94:95]
; %bb.3701:                             ;   in Loop: Header=BB6_3657 Depth=2
	v_or_b32_e32 v47, 0x7e, v50
; %bb.3702:                             ;   in Loop: Header=BB6_3657 Depth=2
	s_or_b64 exec, exec, s[20:21]
                                        ; implicit-def: $vgpr14
.LBB6_3703:                             ;   in Loop: Header=BB6_3657 Depth=2
	s_andn2_saveexec_b64 s[20:21], s[22:23]
; %bb.3704:                             ;   in Loop: Header=BB6_3657 Depth=2
	v_or_b32_sdwa v47, v14, s54 dst_sel:DWORD dst_unused:UNUSED_PAD src0_sel:BYTE_3 src1_sel:DWORD
; %bb.3705:                             ;   in Loop: Header=BB6_3657 Depth=2
	s_or_b64 exec, exec, s[20:21]
	v_and_b32_e32 v14, 0xff, v41
	v_cndmask_b32_e64 v15, 0, 1, s[28:29]
	v_cmp_ne_u16_e64 s[22:23], 0, v14
	v_cmp_ne_u32_e64 s[20:21], 1, v15
	s_andn2_b64 vcc, exec, s[28:29]
	s_mov_b64 s[94:95], -1
                                        ; implicit-def: $vgpr15
	s_cbranch_vccnz .LBB6_3719
; %bb.3706:                             ;   in Loop: Header=BB6_3657 Depth=2
	v_mov_b32_e32 v50, 0
	v_mov_b32_e32 v16, 0
	s_and_saveexec_b64 s[94:95], s[22:23]
	s_cbranch_execz .LBB6_3712
; %bb.3707:                             ;   in Loop: Header=BB6_3657 Depth=2
	v_cmp_ne_u16_e32 vcc, s53, v14
	v_bfrev_b32_e32 v16, 1
	s_and_saveexec_b64 s[30:31], vcc
	s_cbranch_execz .LBB6_3711
; %bb.3708:                             ;   in Loop: Header=BB6_3657 Depth=2
	v_and_b32_e32 v15, 0x7f, v41
	v_cmp_ne_u32_e32 vcc, s54, v15
	v_mov_b32_e32 v16, 0x7f800001
	s_and_saveexec_b64 s[34:35], vcc
	s_cbranch_execz .LBB6_3710
; %bb.3709:                             ;   in Loop: Header=BB6_3657 Depth=2
	v_and_b32_e32 v51, 7, v14
	v_lshrrev_b32_e32 v53, 3, v15
	v_cmp_gt_u32_e32 vcc, 8, v15
	v_ffbh_u32_e32 v15, v51
	v_min_u32_e32 v54, 32, v15
	v_subrev_u32_e32 v15, 28, v54
	v_lshlrev_b64 v[15:16], v15, v[14:15]
	v_sub_u32_e32 v16, 29, v54
	v_and_b32_e32 v15, 7, v15
	v_cndmask_b32_e32 v16, v53, v16, vcc
	v_cndmask_b32_e32 v15, v51, v15, vcc
	v_lshlrev_b32_e32 v51, 24, v41
	v_lshlrev_b32_e32 v15, 20, v15
	v_and_b32_e32 v51, 0x80000000, v51
	v_lshl_add_u32 v16, v16, 23, v21
	v_or3_b32 v16, v51, v16, v15
.LBB6_3710:                             ;   in Loop: Header=BB6_3657 Depth=2
	s_or_b64 exec, exec, s[34:35]
.LBB6_3711:                             ;   in Loop: Header=BB6_3657 Depth=2
	s_or_b64 exec, exec, s[30:31]
.LBB6_3712:                             ;   in Loop: Header=BB6_3657 Depth=2
	s_or_b64 exec, exec, s[94:95]
	v_and_b32_e32 v15, 0xff, v40
	v_cmp_ne_u16_e32 vcc, 0, v15
	s_and_saveexec_b64 s[94:95], vcc
	s_cbranch_execz .LBB6_3718
; %bb.3713:                             ;   in Loop: Header=BB6_3657 Depth=2
	v_cmp_ne_u16_e32 vcc, s53, v15
	v_bfrev_b32_e32 v50, 1
	s_and_saveexec_b64 s[30:31], vcc
	s_cbranch_execz .LBB6_3717
; %bb.3714:                             ;   in Loop: Header=BB6_3657 Depth=2
	v_and_b32_e32 v51, 0x7f, v40
	v_cmp_ne_u32_e32 vcc, s54, v51
	v_mov_b32_e32 v50, 0x7f800001
	s_and_saveexec_b64 s[34:35], vcc
	s_cbranch_execz .LBB6_3716
; %bb.3715:                             ;   in Loop: Header=BB6_3657 Depth=2
	v_and_b32_e32 v53, 7, v15
	v_ffbh_u32_e32 v50, v53
	v_mov_b32_e32 v46, v42
	v_min_u32_e32 v42, 32, v50
	v_subrev_u32_e32 v50, 28, v42
	v_lshrrev_b32_e32 v54, 3, v51
	v_cmp_gt_u32_e32 vcc, 8, v51
	v_lshlrev_b64 v[50:51], v50, v[15:16]
	v_sub_u32_e32 v15, 29, v42
	v_and_b32_e32 v50, 7, v50
	v_cndmask_b32_e32 v15, v54, v15, vcc
	v_cndmask_b32_e32 v50, v53, v50, vcc
	v_lshlrev_b32_e32 v51, 24, v40
	v_lshlrev_b32_e32 v50, 20, v50
	v_and_b32_e32 v51, 0x80000000, v51
	v_lshl_add_u32 v15, v15, 23, v21
	v_mov_b32_e32 v42, v46
	v_or3_b32 v50, v51, v15, v50
.LBB6_3716:                             ;   in Loop: Header=BB6_3657 Depth=2
	s_or_b64 exec, exec, s[34:35]
.LBB6_3717:                             ;   in Loop: Header=BB6_3657 Depth=2
	s_or_b64 exec, exec, s[30:31]
.LBB6_3718:                             ;   in Loop: Header=BB6_3657 Depth=2
	s_or_b64 exec, exec, s[94:95]
	v_max_f32_e32 v15, v50, v50
	v_max_f32_e32 v16, v16, v16
	;; [unrolled: 1-line block ×3, first 2 shown]
	s_mov_b64 s[94:95], 0
.LBB6_3719:                             ;   in Loop: Header=BB6_3657 Depth=2
	s_and_b64 vcc, exec, s[94:95]
	s_cbranch_vccz .LBB6_3733
; %bb.3720:                             ;   in Loop: Header=BB6_3657 Depth=2
	v_mov_b32_e32 v16, 0
	v_mov_b32_e32 v15, 0
	s_and_saveexec_b64 s[94:95], s[22:23]
	s_cbranch_execz .LBB6_3726
; %bb.3721:                             ;   in Loop: Header=BB6_3657 Depth=2
	v_cmp_ne_u16_e32 vcc, s53, v14
	v_bfrev_b32_e32 v15, 1
	s_and_saveexec_b64 s[22:23], vcc
	s_cbranch_execz .LBB6_3725
; %bb.3722:                             ;   in Loop: Header=BB6_3657 Depth=2
	v_and_b32_e32 v50, 0x7f, v41
	v_cmp_ne_u32_e32 vcc, s54, v50
	v_mov_b32_e32 v15, 0x7f800001
	s_and_saveexec_b64 s[30:31], vcc
	s_cbranch_execz .LBB6_3724
; %bb.3723:                             ;   in Loop: Header=BB6_3657 Depth=2
	v_and_b32_e32 v51, 7, v14
	v_ffbh_u32_e32 v15, v51
	v_lshrrev_b32_e32 v53, 3, v50
	v_cmp_gt_u32_e32 vcc, 8, v50
	v_min_u32_e32 v50, 32, v15
	v_subrev_u32_e32 v15, 28, v50
	v_lshlrev_b64 v[14:15], v15, v[14:15]
	v_sub_u32_e32 v15, 29, v50
	v_and_b32_e32 v14, 7, v14
	v_cndmask_b32_e32 v15, v53, v15, vcc
	v_cndmask_b32_e32 v14, v51, v14, vcc
	v_lshlrev_b32_e32 v50, 24, v41
	v_lshlrev_b32_e32 v14, 20, v14
	v_and_b32_e32 v50, 0x80000000, v50
	v_lshl_add_u32 v15, v15, 23, v21
	v_or3_b32 v15, v50, v15, v14
.LBB6_3724:                             ;   in Loop: Header=BB6_3657 Depth=2
	s_or_b64 exec, exec, s[30:31]
.LBB6_3725:                             ;   in Loop: Header=BB6_3657 Depth=2
	s_or_b64 exec, exec, s[22:23]
.LBB6_3726:                             ;   in Loop: Header=BB6_3657 Depth=2
	s_or_b64 exec, exec, s[94:95]
	v_and_b32_e32 v14, 0xff, v40
	v_cmp_ne_u16_e32 vcc, 0, v14
	s_and_saveexec_b64 s[22:23], vcc
	s_cbranch_execz .LBB6_3732
; %bb.3727:                             ;   in Loop: Header=BB6_3657 Depth=2
	v_cmp_ne_u16_e32 vcc, s53, v14
	v_bfrev_b32_e32 v16, 1
	s_and_saveexec_b64 s[94:95], vcc
	s_cbranch_execz .LBB6_3731
; %bb.3728:                             ;   in Loop: Header=BB6_3657 Depth=2
	v_and_b32_e32 v50, 0x7f, v40
	v_cmp_ne_u32_e32 vcc, s54, v50
	v_mov_b32_e32 v16, 0x7f800001
	s_and_saveexec_b64 s[30:31], vcc
	s_cbranch_execz .LBB6_3730
; %bb.3729:                             ;   in Loop: Header=BB6_3657 Depth=2
	v_and_b32_e32 v16, 7, v14
	v_lshrrev_b32_e32 v53, 3, v50
	v_cmp_gt_u32_e32 vcc, 8, v50
	v_ffbh_u32_e32 v50, v16
	v_min_u32_e32 v54, 32, v50
	v_subrev_u32_e32 v50, 28, v54
	v_lshlrev_b64 v[50:51], v50, v[14:15]
	v_sub_u32_e32 v14, 29, v54
	v_and_b32_e32 v50, 7, v50
	v_cndmask_b32_e32 v14, v53, v14, vcc
	v_cndmask_b32_e32 v16, v16, v50, vcc
	v_lshlrev_b32_e32 v50, 24, v40
	v_lshlrev_b32_e32 v16, 20, v16
	v_and_b32_e32 v50, 0x80000000, v50
	v_lshl_add_u32 v14, v14, 23, v21
	v_or3_b32 v16, v50, v14, v16
.LBB6_3730:                             ;   in Loop: Header=BB6_3657 Depth=2
	s_or_b64 exec, exec, s[30:31]
.LBB6_3731:                             ;   in Loop: Header=BB6_3657 Depth=2
	s_or_b64 exec, exec, s[94:95]
.LBB6_3732:                             ;   in Loop: Header=BB6_3657 Depth=2
	s_or_b64 exec, exec, s[22:23]
	v_max_f32_e32 v14, v16, v16
	v_max_f32_e32 v15, v15, v15
	v_min_f32_e32 v15, v15, v14
.LBB6_3733:                             ;   in Loop: Header=BB6_3657 Depth=2
	v_and_b32_e32 v60, 0x7f800000, v15
	v_cmp_ne_u64_e32 vcc, s[72:73], v[60:61]
                                        ; implicit-def: $vgpr46
	s_mov_b64 s[22:23], exec
	s_and_b64 vcc, s[22:23], vcc
	s_xor_b64 s[94:95], vcc, s[22:23]
	v_mov_b32_e32 v41, 0xffffff82
	s_mov_b64 exec, vcc
	s_cbranch_execz .LBB6_3751
; %bb.3734:                             ;   in Loop: Header=BB6_3657 Depth=2
	v_and_b32_e32 v60, 0x7fffffff, v15
	v_cmp_gt_u64_e32 vcc, s[74:75], v[60:61]
	v_and_b32_sdwa v50, v15, s53 dst_sel:DWORD dst_unused:UNUSED_PAD src0_sel:BYTE_3 src1_sel:DWORD
                                        ; implicit-def: $vgpr46
	s_and_saveexec_b64 s[22:23], vcc
	s_xor_b64 s[30:31], exec, s[22:23]
	s_cbranch_execz .LBB6_3748
; %bb.3735:                             ;   in Loop: Header=BB6_3657 Depth=2
	v_cmp_ne_u32_e32 vcc, 0, v15
	v_mov_b32_e32 v46, 0
	s_and_saveexec_b64 s[34:35], vcc
	s_cbranch_execz .LBB6_3747
; %bb.3736:                             ;   in Loop: Header=BB6_3657 Depth=2
	v_bfe_u32 v51, v15, 23, 8
	v_and_b32_e32 v14, 0x7fffff, v15
	v_cmp_gt_u32_e64 s[22:23], s64, v51
	v_sub_u32_e32 v15, 0x79, v51
	v_cmp_eq_u32_e32 vcc, 0, v51
	v_cndmask_b32_e64 v15, 0, v15, s[22:23]
	v_mov_b32_e32 v53, 0x78
	v_or_b32_e32 v16, 0x800000, v14
	v_cndmask_b32_e32 v53, v15, v53, vcc
	v_cndmask_b32_e32 v60, v16, v14, vcc
	v_add_u32_e32 v14, 20, v53
	v_lshlrev_b64 v[14:15], v14, -1
	v_add_u32_e32 v16, 19, v53
	v_lshlrev_b64 v[40:41], v16, 1
	v_bfi_b32 v15, v15, 0, 0
	v_bfi_b32 v14, v14, 0, v60
	v_cmp_eq_u64_e64 s[22:23], v[14:15], v[40:41]
	v_lshrrev_b64 v[14:15], v53, v[60:61]
	v_mov_b32_e32 v16, v15
	v_mov_b32_e32 v15, v14
	s_and_saveexec_b64 s[36:37], s[22:23]
; %bb.3737:                             ;   in Loop: Header=BB6_3657 Depth=2
	v_bfe_u32 v15, v14, 20, 1
	v_add_co_u32_e64 v15, s[22:23], v14, v15
	v_add_co_u32_e64 v15, s[22:23], -1, v15
; %bb.3738:                             ;   in Loop: Header=BB6_3657 Depth=2
	s_or_b64 exec, exec, s[36:37]
	v_add_u32_e32 v16, 0xffffff81, v51
	v_mov_b32_e32 v41, 0xffffff82
	v_cndmask_b32_e32 v16, v16, v41, vcc
	v_lshrrev_b32_e32 v51, 23, v14
	v_add3_u32 v53, v53, v16, v51
	v_add_u32_e32 v51, 6, v53
	v_and_b32_e32 v15, 0xfffff, v15
	v_add_u32_e32 v60, v15, v14
	v_cmp_ne_u32_e32 vcc, 0, v51
                                        ; implicit-def: $vgpr14_vgpr15
                                        ; implicit-def: $vgpr16
	s_and_saveexec_b64 s[22:23], vcc
	s_xor_b64 s[22:23], exec, s[22:23]
; %bb.3739:                             ;   in Loop: Header=BB6_3657 Depth=2
	v_cmp_lt_u64_e32 vcc, s[76:77], v[60:61]
	v_add_u32_e32 v14, 7, v53
	v_cndmask_b32_e32 v16, v51, v14, vcc
	v_cndmask_b32_e64 v14, 0, 1, vcc
	v_lshrrev_b64 v[14:15], v14, v[60:61]
; %bb.3740:                             ;   in Loop: Header=BB6_3657 Depth=2
	s_andn2_saveexec_b64 s[22:23], s[22:23]
; %bb.3741:                             ;   in Loop: Header=BB6_3657 Depth=2
	v_mov_b32_e32 v14, v60
	v_bfe_u32 v16, v60, 23, 1
	v_mov_b32_e32 v15, v61
; %bb.3742:                             ;   in Loop: Header=BB6_3657 Depth=2
	s_or_b64 exec, exec, s[22:23]
	v_lshrrev_b64 v[14:15], 20, v[14:15]
	v_cmp_gt_i32_e32 vcc, 16, v16
	v_cndmask_b32_e32 v15, 0, v15, vcc
	v_cndmask_b32_e32 v14, 7, v14, vcc
	v_cmp_ne_u64_e32 vcc, 0, v[14:15]
	v_cmp_ne_u32_e64 s[22:23], 0, v16
	s_or_b64 s[22:23], s[22:23], vcc
                                        ; implicit-def: $vgpr46
	s_and_saveexec_b64 vcc, s[22:23]
	s_xor_b64 s[22:23], exec, vcc
; %bb.3743:                             ;   in Loop: Header=BB6_3657 Depth=2
	v_min_i32_e32 v15, 15, v16
	v_lshl_or_b32 v15, v15, 3, v50
	v_and_or_b32 v46, v14, 7, v15
                                        ; implicit-def: $vgpr50
; %bb.3744:                             ;   in Loop: Header=BB6_3657 Depth=2
	s_andn2_saveexec_b64 s[22:23], s[22:23]
; %bb.3745:                             ;   in Loop: Header=BB6_3657 Depth=2
	v_mov_b32_e32 v46, v50
; %bb.3746:                             ;   in Loop: Header=BB6_3657 Depth=2
	s_or_b64 exec, exec, s[22:23]
.LBB6_3747:                             ;   in Loop: Header=BB6_3657 Depth=2
	s_or_b64 exec, exec, s[34:35]
                                        ; implicit-def: $vgpr50
.LBB6_3748:                             ;   in Loop: Header=BB6_3657 Depth=2
	s_andn2_saveexec_b64 s[22:23], s[30:31]
; %bb.3749:                             ;   in Loop: Header=BB6_3657 Depth=2
	v_or_b32_e32 v46, 0x7e, v50
; %bb.3750:                             ;   in Loop: Header=BB6_3657 Depth=2
	s_or_b64 exec, exec, s[22:23]
                                        ; implicit-def: $vgpr15
.LBB6_3751:                             ;   in Loop: Header=BB6_3657 Depth=2
	s_andn2_saveexec_b64 s[22:23], s[94:95]
; %bb.3752:                             ;   in Loop: Header=BB6_3657 Depth=2
	v_or_b32_sdwa v46, v15, s54 dst_sel:DWORD dst_unused:UNUSED_PAD src0_sel:BYTE_3 src1_sel:DWORD
; %bb.3753:                             ;   in Loop: Header=BB6_3657 Depth=2
	s_or_b64 exec, exec, s[22:23]
	v_and_b32_e32 v14, 0xff, v48
	v_cmp_ne_u16_e64 s[22:23], 0, v14
	s_and_b64 vcc, exec, s[20:21]
	s_mov_b64 s[94:95], -1
                                        ; implicit-def: $vgpr15
	s_cbranch_vccnz .LBB6_3767
; %bb.3754:                             ;   in Loop: Header=BB6_3657 Depth=2
	v_mov_b32_e32 v50, 0
	v_mov_b32_e32 v16, 0
	s_and_saveexec_b64 s[94:95], s[22:23]
	s_cbranch_execz .LBB6_3760
; %bb.3755:                             ;   in Loop: Header=BB6_3657 Depth=2
	v_cmp_ne_u16_e32 vcc, s53, v14
	v_bfrev_b32_e32 v16, 1
	s_and_saveexec_b64 s[30:31], vcc
	s_cbranch_execz .LBB6_3759
; %bb.3756:                             ;   in Loop: Header=BB6_3657 Depth=2
	v_and_b32_e32 v15, 0x7f, v48
	v_cmp_ne_u32_e32 vcc, s54, v15
	v_mov_b32_e32 v16, 0x7f800001
	s_and_saveexec_b64 s[34:35], vcc
	s_cbranch_execz .LBB6_3758
; %bb.3757:                             ;   in Loop: Header=BB6_3657 Depth=2
	v_and_b32_e32 v51, 7, v14
	v_lshrrev_b32_e32 v53, 3, v15
	v_cmp_gt_u32_e32 vcc, 8, v15
	v_ffbh_u32_e32 v15, v51
	v_min_u32_e32 v54, 32, v15
	v_subrev_u32_e32 v15, 28, v54
	v_lshlrev_b64 v[15:16], v15, v[14:15]
	v_sub_u32_e32 v16, 29, v54
	v_and_b32_e32 v15, 7, v15
	v_cndmask_b32_e32 v16, v53, v16, vcc
	v_cndmask_b32_e32 v15, v51, v15, vcc
	v_lshlrev_b32_e32 v51, 24, v48
	v_lshlrev_b32_e32 v15, 20, v15
	v_and_b32_e32 v51, 0x80000000, v51
	v_lshl_add_u32 v16, v16, 23, v21
	v_or3_b32 v16, v51, v16, v15
.LBB6_3758:                             ;   in Loop: Header=BB6_3657 Depth=2
	s_or_b64 exec, exec, s[34:35]
.LBB6_3759:                             ;   in Loop: Header=BB6_3657 Depth=2
	s_or_b64 exec, exec, s[30:31]
.LBB6_3760:                             ;   in Loop: Header=BB6_3657 Depth=2
	s_or_b64 exec, exec, s[94:95]
	v_and_b32_e32 v15, 0xff, v39
	v_cmp_ne_u16_e32 vcc, 0, v15
	s_and_saveexec_b64 s[94:95], vcc
	s_cbranch_execz .LBB6_3766
; %bb.3761:                             ;   in Loop: Header=BB6_3657 Depth=2
	v_cmp_ne_u16_e32 vcc, s53, v15
	v_bfrev_b32_e32 v50, 1
	s_and_saveexec_b64 s[30:31], vcc
	s_cbranch_execz .LBB6_3765
; %bb.3762:                             ;   in Loop: Header=BB6_3657 Depth=2
	v_and_b32_e32 v51, 0x7f, v39
	v_cmp_ne_u32_e32 vcc, s54, v51
	v_mov_b32_e32 v50, 0x7f800001
	s_and_saveexec_b64 s[34:35], vcc
	s_cbranch_execz .LBB6_3764
; %bb.3763:                             ;   in Loop: Header=BB6_3657 Depth=2
	v_and_b32_e32 v53, 7, v15
	v_ffbh_u32_e32 v50, v53
	v_min_u32_e32 v40, 32, v50
	v_subrev_u32_e32 v50, 28, v40
	v_lshrrev_b32_e32 v54, 3, v51
	v_cmp_gt_u32_e32 vcc, 8, v51
	v_lshlrev_b64 v[50:51], v50, v[15:16]
	v_sub_u32_e32 v15, 29, v40
	v_and_b32_e32 v50, 7, v50
	v_cndmask_b32_e32 v15, v54, v15, vcc
	v_cndmask_b32_e32 v50, v53, v50, vcc
	v_lshlrev_b32_e32 v51, 24, v39
	v_lshlrev_b32_e32 v50, 20, v50
	v_and_b32_e32 v51, 0x80000000, v51
	v_lshl_add_u32 v15, v15, 23, v21
	v_or3_b32 v50, v51, v15, v50
.LBB6_3764:                             ;   in Loop: Header=BB6_3657 Depth=2
	s_or_b64 exec, exec, s[34:35]
.LBB6_3765:                             ;   in Loop: Header=BB6_3657 Depth=2
	s_or_b64 exec, exec, s[30:31]
.LBB6_3766:                             ;   in Loop: Header=BB6_3657 Depth=2
	s_or_b64 exec, exec, s[94:95]
	v_max_f32_e32 v15, v50, v50
	v_max_f32_e32 v16, v16, v16
	;; [unrolled: 1-line block ×3, first 2 shown]
	s_mov_b64 s[94:95], 0
.LBB6_3767:                             ;   in Loop: Header=BB6_3657 Depth=2
	s_and_b64 vcc, exec, s[94:95]
	s_cbranch_vccz .LBB6_3781
; %bb.3768:                             ;   in Loop: Header=BB6_3657 Depth=2
	v_mov_b32_e32 v16, 0
	v_mov_b32_e32 v15, 0
	s_and_saveexec_b64 s[94:95], s[22:23]
	s_cbranch_execz .LBB6_3774
; %bb.3769:                             ;   in Loop: Header=BB6_3657 Depth=2
	v_cmp_ne_u16_e32 vcc, s53, v14
	v_bfrev_b32_e32 v15, 1
	s_and_saveexec_b64 s[22:23], vcc
	s_cbranch_execz .LBB6_3773
; %bb.3770:                             ;   in Loop: Header=BB6_3657 Depth=2
	v_and_b32_e32 v50, 0x7f, v48
	v_cmp_ne_u32_e32 vcc, s54, v50
	v_mov_b32_e32 v15, 0x7f800001
	s_and_saveexec_b64 s[30:31], vcc
	s_cbranch_execz .LBB6_3772
; %bb.3771:                             ;   in Loop: Header=BB6_3657 Depth=2
	v_and_b32_e32 v51, 7, v14
	v_ffbh_u32_e32 v15, v51
	v_lshrrev_b32_e32 v53, 3, v50
	v_cmp_gt_u32_e32 vcc, 8, v50
	v_min_u32_e32 v50, 32, v15
	v_subrev_u32_e32 v15, 28, v50
	v_lshlrev_b64 v[14:15], v15, v[14:15]
	v_sub_u32_e32 v15, 29, v50
	v_and_b32_e32 v14, 7, v14
	v_cndmask_b32_e32 v15, v53, v15, vcc
	v_cndmask_b32_e32 v14, v51, v14, vcc
	v_lshlrev_b32_e32 v48, 24, v48
	v_lshlrev_b32_e32 v14, 20, v14
	v_and_b32_e32 v48, 0x80000000, v48
	v_lshl_add_u32 v15, v15, 23, v21
	v_or3_b32 v15, v48, v15, v14
.LBB6_3772:                             ;   in Loop: Header=BB6_3657 Depth=2
	s_or_b64 exec, exec, s[30:31]
.LBB6_3773:                             ;   in Loop: Header=BB6_3657 Depth=2
	s_or_b64 exec, exec, s[22:23]
.LBB6_3774:                             ;   in Loop: Header=BB6_3657 Depth=2
	s_or_b64 exec, exec, s[94:95]
	v_and_b32_e32 v14, 0xff, v39
	v_cmp_ne_u16_e32 vcc, 0, v14
	s_and_saveexec_b64 s[22:23], vcc
	s_cbranch_execz .LBB6_3780
; %bb.3775:                             ;   in Loop: Header=BB6_3657 Depth=2
	v_cmp_ne_u16_e32 vcc, s53, v14
	v_bfrev_b32_e32 v16, 1
	s_and_saveexec_b64 s[94:95], vcc
	s_cbranch_execz .LBB6_3779
; %bb.3776:                             ;   in Loop: Header=BB6_3657 Depth=2
	v_and_b32_e32 v48, 0x7f, v39
	v_cmp_ne_u32_e32 vcc, s54, v48
	v_mov_b32_e32 v16, 0x7f800001
	s_and_saveexec_b64 s[30:31], vcc
	s_cbranch_execz .LBB6_3778
; %bb.3777:                             ;   in Loop: Header=BB6_3657 Depth=2
	v_and_b32_e32 v16, 7, v14
	v_lshrrev_b32_e32 v53, 3, v48
	v_cmp_gt_u32_e32 vcc, 8, v48
	v_ffbh_u32_e32 v48, v16
	v_min_u32_e32 v48, 32, v48
	v_subrev_u32_e32 v50, 28, v48
	v_lshlrev_b64 v[50:51], v50, v[14:15]
	v_sub_u32_e32 v14, 29, v48
	v_and_b32_e32 v48, 7, v50
	v_cndmask_b32_e32 v14, v53, v14, vcc
	v_cndmask_b32_e32 v16, v16, v48, vcc
	v_lshlrev_b32_e32 v39, 24, v39
	v_lshlrev_b32_e32 v16, 20, v16
	v_and_b32_e32 v39, 0x80000000, v39
	v_lshl_add_u32 v14, v14, 23, v21
	v_or3_b32 v16, v39, v14, v16
.LBB6_3778:                             ;   in Loop: Header=BB6_3657 Depth=2
	s_or_b64 exec, exec, s[30:31]
.LBB6_3779:                             ;   in Loop: Header=BB6_3657 Depth=2
	s_or_b64 exec, exec, s[94:95]
.LBB6_3780:                             ;   in Loop: Header=BB6_3657 Depth=2
	s_or_b64 exec, exec, s[22:23]
	v_max_f32_e32 v14, v16, v16
	v_max_f32_e32 v15, v15, v15
	v_min_f32_e32 v15, v15, v14
.LBB6_3781:                             ;   in Loop: Header=BB6_3657 Depth=2
	v_and_b32_e32 v60, 0x7f800000, v15
	v_cmp_ne_u64_e32 vcc, s[72:73], v[60:61]
                                        ; implicit-def: $vgpr54
	s_and_saveexec_b64 s[22:23], vcc
	s_xor_b64 s[94:95], exec, s[22:23]
	s_cbranch_execz .LBB6_3799
; %bb.3782:                             ;   in Loop: Header=BB6_3657 Depth=2
	v_and_b32_e32 v60, 0x7fffffff, v15
	v_cmp_gt_u64_e32 vcc, s[74:75], v[60:61]
	v_and_b32_sdwa v39, v15, s53 dst_sel:DWORD dst_unused:UNUSED_PAD src0_sel:BYTE_3 src1_sel:DWORD
                                        ; implicit-def: $vgpr54
	s_and_saveexec_b64 s[22:23], vcc
	s_xor_b64 s[30:31], exec, s[22:23]
	s_cbranch_execz .LBB6_3796
; %bb.3783:                             ;   in Loop: Header=BB6_3657 Depth=2
	v_cmp_ne_u32_e32 vcc, 0, v15
	v_mov_b32_e32 v54, 0
	s_and_saveexec_b64 s[34:35], vcc
	s_cbranch_execz .LBB6_3795
; %bb.3784:                             ;   in Loop: Header=BB6_3657 Depth=2
	v_bfe_u32 v48, v15, 23, 8
	v_and_b32_e32 v14, 0x7fffff, v15
	v_cmp_gt_u32_e64 s[22:23], s64, v48
	v_sub_u32_e32 v15, 0x79, v48
	v_cmp_eq_u32_e32 vcc, 0, v48
	v_cndmask_b32_e64 v15, 0, v15, s[22:23]
	v_mov_b32_e32 v50, 0x78
	v_or_b32_e32 v16, 0x800000, v14
	v_cndmask_b32_e32 v50, v15, v50, vcc
	v_cndmask_b32_e32 v60, v16, v14, vcc
	v_add_u32_e32 v14, 20, v50
	v_lshlrev_b64 v[14:15], v14, -1
	v_add_u32_e32 v16, 19, v50
	v_lshlrev_b64 v[53:54], v16, 1
	v_bfi_b32 v15, v15, 0, 0
	v_bfi_b32 v14, v14, 0, v60
	v_cmp_eq_u64_e64 s[22:23], v[14:15], v[53:54]
	v_lshrrev_b64 v[14:15], v50, v[60:61]
	v_mov_b32_e32 v16, v15
	v_mov_b32_e32 v15, v14
	s_and_saveexec_b64 s[36:37], s[22:23]
; %bb.3785:                             ;   in Loop: Header=BB6_3657 Depth=2
	v_bfe_u32 v15, v14, 20, 1
	v_add_co_u32_e64 v15, s[22:23], v14, v15
	v_add_co_u32_e64 v15, s[22:23], -1, v15
; %bb.3786:                             ;   in Loop: Header=BB6_3657 Depth=2
	s_or_b64 exec, exec, s[36:37]
	v_add_u32_e32 v16, 0xffffff81, v48
	v_cndmask_b32_e32 v16, v16, v41, vcc
	v_lshrrev_b32_e32 v48, 23, v14
	v_add3_u32 v50, v50, v16, v48
	v_add_u32_e32 v48, 6, v50
	v_and_b32_e32 v15, 0xfffff, v15
	v_add_u32_e32 v60, v15, v14
	v_cmp_ne_u32_e32 vcc, 0, v48
                                        ; implicit-def: $vgpr14_vgpr15
                                        ; implicit-def: $vgpr16
	s_and_saveexec_b64 s[22:23], vcc
	s_xor_b64 s[22:23], exec, s[22:23]
; %bb.3787:                             ;   in Loop: Header=BB6_3657 Depth=2
	v_cmp_lt_u64_e32 vcc, s[76:77], v[60:61]
	v_add_u32_e32 v14, 7, v50
	v_cndmask_b32_e32 v16, v48, v14, vcc
	v_cndmask_b32_e64 v14, 0, 1, vcc
	v_lshrrev_b64 v[14:15], v14, v[60:61]
; %bb.3788:                             ;   in Loop: Header=BB6_3657 Depth=2
	s_andn2_saveexec_b64 s[22:23], s[22:23]
; %bb.3789:                             ;   in Loop: Header=BB6_3657 Depth=2
	v_mov_b32_e32 v14, v60
	v_bfe_u32 v16, v60, 23, 1
	v_mov_b32_e32 v15, v61
; %bb.3790:                             ;   in Loop: Header=BB6_3657 Depth=2
	s_or_b64 exec, exec, s[22:23]
	v_lshrrev_b64 v[14:15], 20, v[14:15]
	v_cmp_gt_i32_e32 vcc, 16, v16
	v_cndmask_b32_e32 v15, 0, v15, vcc
	v_cndmask_b32_e32 v14, 7, v14, vcc
	v_cmp_ne_u64_e32 vcc, 0, v[14:15]
	v_cmp_ne_u32_e64 s[22:23], 0, v16
	s_or_b64 s[22:23], s[22:23], vcc
                                        ; implicit-def: $vgpr54
	s_and_saveexec_b64 vcc, s[22:23]
	s_xor_b64 s[22:23], exec, vcc
; %bb.3791:                             ;   in Loop: Header=BB6_3657 Depth=2
	v_min_i32_e32 v15, 15, v16
	v_lshl_or_b32 v15, v15, 3, v39
	v_and_or_b32 v54, v14, 7, v15
                                        ; implicit-def: $vgpr39
; %bb.3792:                             ;   in Loop: Header=BB6_3657 Depth=2
	s_andn2_saveexec_b64 s[22:23], s[22:23]
; %bb.3793:                             ;   in Loop: Header=BB6_3657 Depth=2
	v_mov_b32_e32 v54, v39
; %bb.3794:                             ;   in Loop: Header=BB6_3657 Depth=2
	s_or_b64 exec, exec, s[22:23]
.LBB6_3795:                             ;   in Loop: Header=BB6_3657 Depth=2
	s_or_b64 exec, exec, s[34:35]
                                        ; implicit-def: $vgpr39
.LBB6_3796:                             ;   in Loop: Header=BB6_3657 Depth=2
	s_andn2_saveexec_b64 s[22:23], s[30:31]
; %bb.3797:                             ;   in Loop: Header=BB6_3657 Depth=2
	v_or_b32_e32 v54, 0x7e, v39
; %bb.3798:                             ;   in Loop: Header=BB6_3657 Depth=2
	s_or_b64 exec, exec, s[22:23]
                                        ; implicit-def: $vgpr15
.LBB6_3799:                             ;   in Loop: Header=BB6_3657 Depth=2
	s_andn2_saveexec_b64 s[22:23], s[94:95]
; %bb.3800:                             ;   in Loop: Header=BB6_3657 Depth=2
	v_or_b32_sdwa v54, v15, s54 dst_sel:DWORD dst_unused:UNUSED_PAD src0_sel:BYTE_3 src1_sel:DWORD
; %bb.3801:                             ;   in Loop: Header=BB6_3657 Depth=2
	s_or_b64 exec, exec, s[22:23]
	v_and_b32_e32 v14, 0xff, v37
	v_cmp_ne_u16_e64 s[22:23], 0, v14
	s_and_b64 vcc, exec, s[20:21]
	s_mov_b64 s[94:95], -1
                                        ; implicit-def: $vgpr15
	s_cbranch_vccnz .LBB6_3815
; %bb.3802:                             ;   in Loop: Header=BB6_3657 Depth=2
	v_mov_b32_e32 v39, 0
	v_mov_b32_e32 v16, 0
	s_and_saveexec_b64 s[94:95], s[22:23]
	s_cbranch_execz .LBB6_3808
; %bb.3803:                             ;   in Loop: Header=BB6_3657 Depth=2
	v_cmp_ne_u16_e32 vcc, s53, v14
	v_bfrev_b32_e32 v16, 1
	s_and_saveexec_b64 s[30:31], vcc
	s_cbranch_execz .LBB6_3807
; %bb.3804:                             ;   in Loop: Header=BB6_3657 Depth=2
	v_and_b32_e32 v15, 0x7f, v37
	v_cmp_ne_u32_e32 vcc, s54, v15
	v_mov_b32_e32 v16, 0x7f800001
	s_and_saveexec_b64 s[34:35], vcc
	s_cbranch_execz .LBB6_3806
; %bb.3805:                             ;   in Loop: Header=BB6_3657 Depth=2
	v_and_b32_e32 v48, 7, v14
	v_lshrrev_b32_e32 v50, 3, v15
	v_cmp_gt_u32_e32 vcc, 8, v15
	v_ffbh_u32_e32 v15, v48
	v_min_u32_e32 v51, 32, v15
	v_subrev_u32_e32 v15, 28, v51
	v_lshlrev_b64 v[15:16], v15, v[14:15]
	v_sub_u32_e32 v16, 29, v51
	v_and_b32_e32 v15, 7, v15
	v_cndmask_b32_e32 v16, v50, v16, vcc
	v_cndmask_b32_e32 v15, v48, v15, vcc
	v_lshlrev_b32_e32 v48, 24, v37
	v_lshlrev_b32_e32 v15, 20, v15
	v_and_b32_e32 v48, 0x80000000, v48
	v_lshl_add_u32 v16, v16, 23, v21
	v_or3_b32 v16, v48, v16, v15
.LBB6_3806:                             ;   in Loop: Header=BB6_3657 Depth=2
	s_or_b64 exec, exec, s[34:35]
.LBB6_3807:                             ;   in Loop: Header=BB6_3657 Depth=2
	s_or_b64 exec, exec, s[30:31]
.LBB6_3808:                             ;   in Loop: Header=BB6_3657 Depth=2
	s_or_b64 exec, exec, s[94:95]
	v_and_b32_e32 v15, 0xff, v36
	v_cmp_ne_u16_e32 vcc, 0, v15
	s_and_saveexec_b64 s[94:95], vcc
	s_cbranch_execz .LBB6_3814
; %bb.3809:                             ;   in Loop: Header=BB6_3657 Depth=2
	v_cmp_ne_u16_e32 vcc, s53, v15
	v_bfrev_b32_e32 v39, 1
	s_and_saveexec_b64 s[30:31], vcc
	s_cbranch_execz .LBB6_3813
; %bb.3810:                             ;   in Loop: Header=BB6_3657 Depth=2
	v_and_b32_e32 v48, 0x7f, v36
	v_cmp_ne_u32_e32 vcc, s54, v48
	v_mov_b32_e32 v39, 0x7f800001
	s_and_saveexec_b64 s[34:35], vcc
	s_cbranch_execz .LBB6_3812
; %bb.3811:                             ;   in Loop: Header=BB6_3657 Depth=2
	v_and_b32_e32 v39, 7, v15
	v_lshrrev_b32_e32 v53, 3, v48
	v_cmp_gt_u32_e32 vcc, 8, v48
	v_ffbh_u32_e32 v48, v39
	v_min_u32_e32 v48, 32, v48
	v_subrev_u32_e32 v50, 28, v48
	v_lshlrev_b64 v[50:51], v50, v[15:16]
	v_sub_u32_e32 v15, 29, v48
	v_and_b32_e32 v48, 7, v50
	v_cndmask_b32_e32 v15, v53, v15, vcc
	v_cndmask_b32_e32 v39, v39, v48, vcc
	v_lshlrev_b32_e32 v48, 24, v36
	v_lshlrev_b32_e32 v39, 20, v39
	v_and_b32_e32 v48, 0x80000000, v48
	v_lshl_add_u32 v15, v15, 23, v21
	v_or3_b32 v39, v48, v15, v39
.LBB6_3812:                             ;   in Loop: Header=BB6_3657 Depth=2
	s_or_b64 exec, exec, s[34:35]
.LBB6_3813:                             ;   in Loop: Header=BB6_3657 Depth=2
	s_or_b64 exec, exec, s[30:31]
.LBB6_3814:                             ;   in Loop: Header=BB6_3657 Depth=2
	s_or_b64 exec, exec, s[94:95]
	v_max_f32_e32 v15, v39, v39
	v_max_f32_e32 v16, v16, v16
	;; [unrolled: 1-line block ×3, first 2 shown]
	s_mov_b64 s[94:95], 0
.LBB6_3815:                             ;   in Loop: Header=BB6_3657 Depth=2
	s_and_b64 vcc, exec, s[94:95]
	s_cbranch_vccz .LBB6_3829
; %bb.3816:                             ;   in Loop: Header=BB6_3657 Depth=2
	v_mov_b32_e32 v16, 0
	v_mov_b32_e32 v15, 0
	s_and_saveexec_b64 s[94:95], s[22:23]
	s_cbranch_execz .LBB6_3822
; %bb.3817:                             ;   in Loop: Header=BB6_3657 Depth=2
	v_cmp_ne_u16_e32 vcc, s53, v14
	v_bfrev_b32_e32 v15, 1
	s_and_saveexec_b64 s[22:23], vcc
	s_cbranch_execz .LBB6_3821
; %bb.3818:                             ;   in Loop: Header=BB6_3657 Depth=2
	v_and_b32_e32 v39, 0x7f, v37
	v_cmp_ne_u32_e32 vcc, s54, v39
	v_mov_b32_e32 v15, 0x7f800001
	s_and_saveexec_b64 s[30:31], vcc
	s_cbranch_execz .LBB6_3820
; %bb.3819:                             ;   in Loop: Header=BB6_3657 Depth=2
	v_and_b32_e32 v48, 7, v14
	v_ffbh_u32_e32 v15, v48
	v_lshrrev_b32_e32 v50, 3, v39
	v_cmp_gt_u32_e32 vcc, 8, v39
	v_min_u32_e32 v39, 32, v15
	v_subrev_u32_e32 v15, 28, v39
	v_lshlrev_b64 v[14:15], v15, v[14:15]
	v_sub_u32_e32 v15, 29, v39
	v_and_b32_e32 v14, 7, v14
	v_cndmask_b32_e32 v15, v50, v15, vcc
	v_cndmask_b32_e32 v14, v48, v14, vcc
	v_lshlrev_b32_e32 v37, 24, v37
	v_lshlrev_b32_e32 v14, 20, v14
	v_and_b32_e32 v37, 0x80000000, v37
	v_lshl_add_u32 v15, v15, 23, v21
	v_or3_b32 v15, v37, v15, v14
.LBB6_3820:                             ;   in Loop: Header=BB6_3657 Depth=2
	s_or_b64 exec, exec, s[30:31]
.LBB6_3821:                             ;   in Loop: Header=BB6_3657 Depth=2
	s_or_b64 exec, exec, s[22:23]
.LBB6_3822:                             ;   in Loop: Header=BB6_3657 Depth=2
	s_or_b64 exec, exec, s[94:95]
	v_and_b32_e32 v14, 0xff, v36
	v_cmp_ne_u16_e32 vcc, 0, v14
	s_and_saveexec_b64 s[22:23], vcc
	s_cbranch_execz .LBB6_3828
; %bb.3823:                             ;   in Loop: Header=BB6_3657 Depth=2
	v_cmp_ne_u16_e32 vcc, s53, v14
	v_bfrev_b32_e32 v16, 1
	s_and_saveexec_b64 s[94:95], vcc
	s_cbranch_execz .LBB6_3827
; %bb.3824:                             ;   in Loop: Header=BB6_3657 Depth=2
	v_and_b32_e32 v37, 0x7f, v36
	v_cmp_ne_u32_e32 vcc, s54, v37
	v_mov_b32_e32 v16, 0x7f800001
	s_and_saveexec_b64 s[30:31], vcc
	s_cbranch_execz .LBB6_3826
; %bb.3825:                             ;   in Loop: Header=BB6_3657 Depth=2
	v_and_b32_e32 v16, 7, v14
	v_lshrrev_b32_e32 v39, 3, v37
	v_cmp_gt_u32_e32 vcc, 8, v37
	v_ffbh_u32_e32 v37, v16
	v_min_u32_e32 v37, 32, v37
	v_subrev_u32_e32 v48, 28, v37
	v_lshlrev_b64 v[50:51], v48, v[14:15]
	v_sub_u32_e32 v14, 29, v37
	v_and_b32_e32 v37, 7, v50
	v_cndmask_b32_e32 v14, v39, v14, vcc
	v_cndmask_b32_e32 v16, v16, v37, vcc
	v_lshlrev_b32_e32 v36, 24, v36
	v_lshlrev_b32_e32 v16, 20, v16
	v_and_b32_e32 v36, 0x80000000, v36
	v_lshl_add_u32 v14, v14, 23, v21
	v_or3_b32 v16, v36, v14, v16
.LBB6_3826:                             ;   in Loop: Header=BB6_3657 Depth=2
	s_or_b64 exec, exec, s[30:31]
.LBB6_3827:                             ;   in Loop: Header=BB6_3657 Depth=2
	s_or_b64 exec, exec, s[94:95]
.LBB6_3828:                             ;   in Loop: Header=BB6_3657 Depth=2
	s_or_b64 exec, exec, s[22:23]
	v_max_f32_e32 v14, v16, v16
	v_max_f32_e32 v15, v15, v15
	v_min_f32_e32 v15, v15, v14
.LBB6_3829:                             ;   in Loop: Header=BB6_3657 Depth=2
	v_and_b32_e32 v60, 0x7f800000, v15
	v_cmp_ne_u64_e32 vcc, s[72:73], v[60:61]
                                        ; implicit-def: $vgpr53
	s_and_saveexec_b64 s[22:23], vcc
	s_xor_b64 s[94:95], exec, s[22:23]
	s_cbranch_execz .LBB6_3847
; %bb.3830:                             ;   in Loop: Header=BB6_3657 Depth=2
	v_and_b32_e32 v60, 0x7fffffff, v15
	v_cmp_gt_u64_e32 vcc, s[74:75], v[60:61]
	v_and_b32_sdwa v36, v15, s53 dst_sel:DWORD dst_unused:UNUSED_PAD src0_sel:BYTE_3 src1_sel:DWORD
                                        ; implicit-def: $vgpr53
	s_and_saveexec_b64 s[22:23], vcc
	s_xor_b64 s[30:31], exec, s[22:23]
	s_cbranch_execz .LBB6_3844
; %bb.3831:                             ;   in Loop: Header=BB6_3657 Depth=2
	v_cmp_ne_u32_e32 vcc, 0, v15
	v_mov_b32_e32 v53, 0
	s_and_saveexec_b64 s[34:35], vcc
	s_cbranch_execz .LBB6_3843
; %bb.3832:                             ;   in Loop: Header=BB6_3657 Depth=2
	v_bfe_u32 v37, v15, 23, 8
	v_and_b32_e32 v14, 0x7fffff, v15
	v_cmp_gt_u32_e64 s[22:23], s64, v37
	v_sub_u32_e32 v15, 0x79, v37
	v_cmp_eq_u32_e32 vcc, 0, v37
	v_cndmask_b32_e64 v15, 0, v15, s[22:23]
	v_mov_b32_e32 v39, 0x78
	v_or_b32_e32 v16, 0x800000, v14
	v_cndmask_b32_e32 v39, v15, v39, vcc
	v_cndmask_b32_e32 v60, v16, v14, vcc
	v_add_u32_e32 v14, 20, v39
	v_lshlrev_b64 v[14:15], v14, -1
	v_add_u32_e32 v16, 19, v39
	v_lshlrev_b64 v[50:51], v16, 1
	v_bfi_b32 v15, v15, 0, 0
	v_bfi_b32 v14, v14, 0, v60
	v_cmp_eq_u64_e64 s[22:23], v[14:15], v[50:51]
	v_lshrrev_b64 v[14:15], v39, v[60:61]
	v_mov_b32_e32 v16, v15
	v_mov_b32_e32 v15, v14
	s_and_saveexec_b64 s[36:37], s[22:23]
; %bb.3833:                             ;   in Loop: Header=BB6_3657 Depth=2
	v_bfe_u32 v15, v14, 20, 1
	v_add_co_u32_e64 v15, s[22:23], v14, v15
	v_add_co_u32_e64 v15, s[22:23], -1, v15
; %bb.3834:                             ;   in Loop: Header=BB6_3657 Depth=2
	s_or_b64 exec, exec, s[36:37]
	v_add_u32_e32 v16, 0xffffff81, v37
	v_cndmask_b32_e32 v16, v16, v41, vcc
	v_lshrrev_b32_e32 v37, 23, v14
	v_add3_u32 v39, v39, v16, v37
	v_add_u32_e32 v37, 6, v39
	v_and_b32_e32 v15, 0xfffff, v15
	v_add_u32_e32 v60, v15, v14
	v_cmp_ne_u32_e32 vcc, 0, v37
                                        ; implicit-def: $vgpr14_vgpr15
                                        ; implicit-def: $vgpr16
	s_and_saveexec_b64 s[22:23], vcc
	s_xor_b64 s[22:23], exec, s[22:23]
; %bb.3835:                             ;   in Loop: Header=BB6_3657 Depth=2
	v_cmp_lt_u64_e32 vcc, s[76:77], v[60:61]
	v_add_u32_e32 v14, 7, v39
	v_cndmask_b32_e32 v16, v37, v14, vcc
	v_cndmask_b32_e64 v14, 0, 1, vcc
	v_lshrrev_b64 v[14:15], v14, v[60:61]
; %bb.3836:                             ;   in Loop: Header=BB6_3657 Depth=2
	s_andn2_saveexec_b64 s[22:23], s[22:23]
; %bb.3837:                             ;   in Loop: Header=BB6_3657 Depth=2
	v_mov_b32_e32 v14, v60
	v_bfe_u32 v16, v60, 23, 1
	v_mov_b32_e32 v15, v61
; %bb.3838:                             ;   in Loop: Header=BB6_3657 Depth=2
	s_or_b64 exec, exec, s[22:23]
	v_lshrrev_b64 v[14:15], 20, v[14:15]
	v_cmp_gt_i32_e32 vcc, 16, v16
	v_cndmask_b32_e32 v15, 0, v15, vcc
	v_cndmask_b32_e32 v14, 7, v14, vcc
	v_cmp_ne_u64_e32 vcc, 0, v[14:15]
	v_cmp_ne_u32_e64 s[22:23], 0, v16
	s_or_b64 s[22:23], s[22:23], vcc
                                        ; implicit-def: $vgpr53
	s_and_saveexec_b64 vcc, s[22:23]
	s_xor_b64 s[22:23], exec, vcc
; %bb.3839:                             ;   in Loop: Header=BB6_3657 Depth=2
	v_min_i32_e32 v15, 15, v16
	v_lshl_or_b32 v15, v15, 3, v36
	v_and_or_b32 v53, v14, 7, v15
                                        ; implicit-def: $vgpr36
; %bb.3840:                             ;   in Loop: Header=BB6_3657 Depth=2
	s_andn2_saveexec_b64 s[22:23], s[22:23]
; %bb.3841:                             ;   in Loop: Header=BB6_3657 Depth=2
	v_mov_b32_e32 v53, v36
; %bb.3842:                             ;   in Loop: Header=BB6_3657 Depth=2
	s_or_b64 exec, exec, s[22:23]
.LBB6_3843:                             ;   in Loop: Header=BB6_3657 Depth=2
	s_or_b64 exec, exec, s[34:35]
                                        ; implicit-def: $vgpr36
.LBB6_3844:                             ;   in Loop: Header=BB6_3657 Depth=2
	s_andn2_saveexec_b64 s[22:23], s[30:31]
; %bb.3845:                             ;   in Loop: Header=BB6_3657 Depth=2
	v_or_b32_e32 v53, 0x7e, v36
; %bb.3846:                             ;   in Loop: Header=BB6_3657 Depth=2
	s_or_b64 exec, exec, s[22:23]
                                        ; implicit-def: $vgpr15
.LBB6_3847:                             ;   in Loop: Header=BB6_3657 Depth=2
	s_andn2_saveexec_b64 s[22:23], s[94:95]
; %bb.3848:                             ;   in Loop: Header=BB6_3657 Depth=2
	v_or_b32_sdwa v53, v15, s54 dst_sel:DWORD dst_unused:UNUSED_PAD src0_sel:BYTE_3 src1_sel:DWORD
; %bb.3849:                             ;   in Loop: Header=BB6_3657 Depth=2
	s_or_b64 exec, exec, s[22:23]
	v_and_b32_e32 v14, 0xff, v3
	v_cmp_ne_u16_e64 s[22:23], 0, v14
	s_and_b64 vcc, exec, s[20:21]
	s_mov_b64 s[94:95], -1
                                        ; implicit-def: $vgpr15
	s_cbranch_vccnz .LBB6_3863
; %bb.3850:                             ;   in Loop: Header=BB6_3657 Depth=2
	v_mov_b32_e32 v36, 0
	v_mov_b32_e32 v16, 0
	s_and_saveexec_b64 s[94:95], s[22:23]
	s_cbranch_execz .LBB6_3856
; %bb.3851:                             ;   in Loop: Header=BB6_3657 Depth=2
	v_cmp_ne_u16_e32 vcc, s53, v14
	v_bfrev_b32_e32 v16, 1
	s_and_saveexec_b64 s[30:31], vcc
	s_cbranch_execz .LBB6_3855
; %bb.3852:                             ;   in Loop: Header=BB6_3657 Depth=2
	v_and_b32_e32 v15, 0x7f, v3
	v_cmp_ne_u32_e32 vcc, s54, v15
	v_mov_b32_e32 v16, 0x7f800001
	s_and_saveexec_b64 s[34:35], vcc
	s_cbranch_execz .LBB6_3854
; %bb.3853:                             ;   in Loop: Header=BB6_3657 Depth=2
	v_and_b32_e32 v37, 7, v14
	v_lshrrev_b32_e32 v39, 3, v15
	v_cmp_gt_u32_e32 vcc, 8, v15
	v_ffbh_u32_e32 v15, v37
	v_min_u32_e32 v48, 32, v15
	v_subrev_u32_e32 v15, 28, v48
	v_lshlrev_b64 v[15:16], v15, v[14:15]
	v_sub_u32_e32 v16, 29, v48
	v_and_b32_e32 v15, 7, v15
	v_cndmask_b32_e32 v16, v39, v16, vcc
	v_cndmask_b32_e32 v15, v37, v15, vcc
	v_lshlrev_b32_e32 v37, 24, v3
	v_lshlrev_b32_e32 v15, 20, v15
	v_and_b32_e32 v37, 0x80000000, v37
	v_lshl_add_u32 v16, v16, 23, v21
	v_or3_b32 v16, v37, v16, v15
.LBB6_3854:                             ;   in Loop: Header=BB6_3657 Depth=2
	s_or_b64 exec, exec, s[34:35]
.LBB6_3855:                             ;   in Loop: Header=BB6_3657 Depth=2
	s_or_b64 exec, exec, s[30:31]
.LBB6_3856:                             ;   in Loop: Header=BB6_3657 Depth=2
	s_or_b64 exec, exec, s[94:95]
	v_and_b32_e32 v15, 0xff, v2
	v_cmp_ne_u16_e32 vcc, 0, v15
	s_and_saveexec_b64 s[94:95], vcc
	s_cbranch_execz .LBB6_3862
; %bb.3857:                             ;   in Loop: Header=BB6_3657 Depth=2
	v_cmp_ne_u16_e32 vcc, s53, v15
	v_bfrev_b32_e32 v36, 1
	s_and_saveexec_b64 s[30:31], vcc
	s_cbranch_execz .LBB6_3861
; %bb.3858:                             ;   in Loop: Header=BB6_3657 Depth=2
	v_and_b32_e32 v37, 0x7f, v2
	v_cmp_ne_u32_e32 vcc, s54, v37
	v_mov_b32_e32 v36, 0x7f800001
	s_and_saveexec_b64 s[34:35], vcc
	s_cbranch_execz .LBB6_3860
; %bb.3859:                             ;   in Loop: Header=BB6_3657 Depth=2
	v_and_b32_e32 v39, 7, v15
	v_ffbh_u32_e32 v36, v39
	v_min_u32_e32 v50, 32, v36
	v_subrev_u32_e32 v36, 28, v50
	v_lshrrev_b32_e32 v48, 3, v37
	v_cmp_gt_u32_e32 vcc, 8, v37
	v_lshlrev_b64 v[36:37], v36, v[15:16]
	v_sub_u32_e32 v15, 29, v50
	v_and_b32_e32 v36, 7, v36
	v_cndmask_b32_e32 v15, v48, v15, vcc
	v_cndmask_b32_e32 v36, v39, v36, vcc
	v_lshlrev_b32_e32 v37, 24, v2
	v_lshlrev_b32_e32 v36, 20, v36
	v_and_b32_e32 v37, 0x80000000, v37
	v_lshl_add_u32 v15, v15, 23, v21
	v_or3_b32 v36, v37, v15, v36
.LBB6_3860:                             ;   in Loop: Header=BB6_3657 Depth=2
	s_or_b64 exec, exec, s[34:35]
.LBB6_3861:                             ;   in Loop: Header=BB6_3657 Depth=2
	s_or_b64 exec, exec, s[30:31]
.LBB6_3862:                             ;   in Loop: Header=BB6_3657 Depth=2
	s_or_b64 exec, exec, s[94:95]
	v_max_f32_e32 v15, v36, v36
	v_max_f32_e32 v16, v16, v16
	;; [unrolled: 1-line block ×3, first 2 shown]
	s_mov_b64 s[94:95], 0
.LBB6_3863:                             ;   in Loop: Header=BB6_3657 Depth=2
	s_and_b64 vcc, exec, s[94:95]
	s_cbranch_vccz .LBB6_3877
; %bb.3864:                             ;   in Loop: Header=BB6_3657 Depth=2
	v_mov_b32_e32 v16, 0
	v_mov_b32_e32 v15, 0
	s_and_saveexec_b64 s[94:95], s[22:23]
	s_cbranch_execz .LBB6_3870
; %bb.3865:                             ;   in Loop: Header=BB6_3657 Depth=2
	v_cmp_ne_u16_e32 vcc, s53, v14
	v_bfrev_b32_e32 v15, 1
	s_and_saveexec_b64 s[22:23], vcc
	s_cbranch_execz .LBB6_3869
; %bb.3866:                             ;   in Loop: Header=BB6_3657 Depth=2
	v_and_b32_e32 v36, 0x7f, v3
	v_cmp_ne_u32_e32 vcc, s54, v36
	v_mov_b32_e32 v15, 0x7f800001
	s_and_saveexec_b64 s[30:31], vcc
	s_cbranch_execz .LBB6_3868
; %bb.3867:                             ;   in Loop: Header=BB6_3657 Depth=2
	v_and_b32_e32 v37, 7, v14
	v_ffbh_u32_e32 v15, v37
	v_lshrrev_b32_e32 v39, 3, v36
	v_cmp_gt_u32_e32 vcc, 8, v36
	v_min_u32_e32 v36, 32, v15
	v_subrev_u32_e32 v15, 28, v36
	v_lshlrev_b64 v[14:15], v15, v[14:15]
	v_sub_u32_e32 v15, 29, v36
	v_and_b32_e32 v14, 7, v14
	v_cndmask_b32_e32 v15, v39, v15, vcc
	v_cndmask_b32_e32 v14, v37, v14, vcc
	v_lshlrev_b32_e32 v3, 24, v3
	v_lshlrev_b32_e32 v14, 20, v14
	v_and_b32_e32 v3, 0x80000000, v3
	v_lshl_add_u32 v15, v15, 23, v21
	v_or3_b32 v15, v3, v15, v14
.LBB6_3868:                             ;   in Loop: Header=BB6_3657 Depth=2
	s_or_b64 exec, exec, s[30:31]
.LBB6_3869:                             ;   in Loop: Header=BB6_3657 Depth=2
	s_or_b64 exec, exec, s[22:23]
.LBB6_3870:                             ;   in Loop: Header=BB6_3657 Depth=2
	s_or_b64 exec, exec, s[94:95]
	v_and_b32_e32 v14, 0xff, v2
	v_cmp_ne_u16_e32 vcc, 0, v14
	s_and_saveexec_b64 s[22:23], vcc
	s_cbranch_execz .LBB6_3876
; %bb.3871:                             ;   in Loop: Header=BB6_3657 Depth=2
	v_cmp_ne_u16_e32 vcc, s53, v14
	v_bfrev_b32_e32 v16, 1
	s_and_saveexec_b64 s[94:95], vcc
	s_cbranch_execz .LBB6_3875
; %bb.3872:                             ;   in Loop: Header=BB6_3657 Depth=2
	v_and_b32_e32 v3, 0x7f, v2
	v_cmp_ne_u32_e32 vcc, s54, v3
	v_mov_b32_e32 v16, 0x7f800001
	s_and_saveexec_b64 s[30:31], vcc
	s_cbranch_execz .LBB6_3874
; %bb.3873:                             ;   in Loop: Header=BB6_3657 Depth=2
	v_and_b32_e32 v16, 7, v14
	v_lshrrev_b32_e32 v39, 3, v3
	v_cmp_gt_u32_e32 vcc, 8, v3
	v_ffbh_u32_e32 v3, v16
	v_min_u32_e32 v3, 32, v3
	v_subrev_u32_e32 v36, 28, v3
	v_lshlrev_b64 v[36:37], v36, v[14:15]
	v_sub_u32_e32 v3, 29, v3
	v_and_b32_e32 v14, 7, v36
	v_cndmask_b32_e32 v3, v39, v3, vcc
	v_cndmask_b32_e32 v14, v16, v14, vcc
	v_lshlrev_b32_e32 v2, 24, v2
	v_lshlrev_b32_e32 v14, 20, v14
	v_and_b32_e32 v2, 0x80000000, v2
	v_lshl_add_u32 v3, v3, 23, v21
	v_or3_b32 v16, v2, v3, v14
.LBB6_3874:                             ;   in Loop: Header=BB6_3657 Depth=2
	s_or_b64 exec, exec, s[30:31]
.LBB6_3875:                             ;   in Loop: Header=BB6_3657 Depth=2
	s_or_b64 exec, exec, s[94:95]
.LBB6_3876:                             ;   in Loop: Header=BB6_3657 Depth=2
	s_or_b64 exec, exec, s[22:23]
	v_max_f32_e32 v2, v16, v16
	v_max_f32_e32 v3, v15, v15
	v_min_f32_e32 v15, v3, v2
.LBB6_3877:                             ;   in Loop: Header=BB6_3657 Depth=2
	v_and_b32_e32 v60, 0x7f800000, v15
	v_cmp_ne_u64_e32 vcc, s[72:73], v[60:61]
                                        ; implicit-def: $vgpr39
	s_and_saveexec_b64 s[22:23], vcc
	s_xor_b64 s[94:95], exec, s[22:23]
	s_cbranch_execz .LBB6_3895
; %bb.3878:                             ;   in Loop: Header=BB6_3657 Depth=2
	v_and_b32_e32 v60, 0x7fffffff, v15
	v_cmp_gt_u64_e32 vcc, s[74:75], v[60:61]
	v_and_b32_sdwa v2, v15, s53 dst_sel:DWORD dst_unused:UNUSED_PAD src0_sel:BYTE_3 src1_sel:DWORD
                                        ; implicit-def: $vgpr39
	s_and_saveexec_b64 s[22:23], vcc
	s_xor_b64 s[30:31], exec, s[22:23]
	s_cbranch_execz .LBB6_3892
; %bb.3879:                             ;   in Loop: Header=BB6_3657 Depth=2
	v_cmp_ne_u32_e32 vcc, 0, v15
	v_mov_b32_e32 v39, 0
	s_and_saveexec_b64 s[34:35], vcc
	s_cbranch_execz .LBB6_3891
; %bb.3880:                             ;   in Loop: Header=BB6_3657 Depth=2
	v_bfe_u32 v3, v15, 23, 8
	v_and_b32_e32 v14, 0x7fffff, v15
	v_cmp_gt_u32_e64 s[22:23], s64, v3
	v_sub_u32_e32 v15, 0x79, v3
	v_cmp_eq_u32_e32 vcc, 0, v3
	v_cndmask_b32_e64 v15, 0, v15, s[22:23]
	v_mov_b32_e32 v36, 0x78
	v_or_b32_e32 v16, 0x800000, v14
	v_cndmask_b32_e32 v36, v15, v36, vcc
	v_cndmask_b32_e32 v60, v16, v14, vcc
	v_add_u32_e32 v14, 20, v36
	v_lshlrev_b64 v[14:15], v14, -1
	v_add_u32_e32 v16, 19, v36
	v_lshlrev_b64 v[50:51], v16, 1
	v_bfi_b32 v15, v15, 0, 0
	v_bfi_b32 v14, v14, 0, v60
	v_cmp_eq_u64_e64 s[22:23], v[14:15], v[50:51]
	v_lshrrev_b64 v[14:15], v36, v[60:61]
	v_mov_b32_e32 v16, v15
	v_mov_b32_e32 v15, v14
	s_and_saveexec_b64 s[36:37], s[22:23]
; %bb.3881:                             ;   in Loop: Header=BB6_3657 Depth=2
	v_bfe_u32 v15, v14, 20, 1
	v_add_co_u32_e64 v15, s[22:23], v14, v15
	v_add_co_u32_e64 v15, s[22:23], -1, v15
; %bb.3882:                             ;   in Loop: Header=BB6_3657 Depth=2
	s_or_b64 exec, exec, s[36:37]
	v_add_u32_e32 v3, 0xffffff81, v3
	v_cndmask_b32_e32 v3, v3, v41, vcc
	v_lshrrev_b32_e32 v16, 23, v14
	v_add3_u32 v36, v36, v3, v16
	v_add_u32_e32 v16, 6, v36
	v_and_b32_e32 v3, 0xfffff, v15
	v_add_u32_e32 v60, v3, v14
	v_cmp_ne_u32_e32 vcc, 0, v16
                                        ; implicit-def: $vgpr14_vgpr15
                                        ; implicit-def: $vgpr3
	s_and_saveexec_b64 s[22:23], vcc
	s_xor_b64 s[22:23], exec, s[22:23]
; %bb.3883:                             ;   in Loop: Header=BB6_3657 Depth=2
	v_cmp_lt_u64_e32 vcc, s[76:77], v[60:61]
	v_add_u32_e32 v3, 7, v36
	v_cndmask_b32_e64 v14, 0, 1, vcc
	v_lshrrev_b64 v[14:15], v14, v[60:61]
	v_cndmask_b32_e32 v3, v16, v3, vcc
; %bb.3884:                             ;   in Loop: Header=BB6_3657 Depth=2
	s_andn2_saveexec_b64 s[22:23], s[22:23]
; %bb.3885:                             ;   in Loop: Header=BB6_3657 Depth=2
	v_mov_b32_e32 v14, v60
	v_bfe_u32 v3, v60, 23, 1
	v_mov_b32_e32 v15, v61
; %bb.3886:                             ;   in Loop: Header=BB6_3657 Depth=2
	s_or_b64 exec, exec, s[22:23]
	v_lshrrev_b64 v[14:15], 20, v[14:15]
	v_cmp_gt_i32_e32 vcc, 16, v3
	v_cndmask_b32_e32 v15, 0, v15, vcc
	v_cndmask_b32_e32 v14, 7, v14, vcc
	v_cmp_ne_u64_e32 vcc, 0, v[14:15]
	v_cmp_ne_u32_e64 s[22:23], 0, v3
	s_or_b64 s[22:23], s[22:23], vcc
                                        ; implicit-def: $vgpr39
	s_and_saveexec_b64 vcc, s[22:23]
	s_xor_b64 s[22:23], exec, vcc
; %bb.3887:                             ;   in Loop: Header=BB6_3657 Depth=2
	v_min_i32_e32 v3, 15, v3
	v_lshl_or_b32 v2, v3, 3, v2
	v_and_or_b32 v39, v14, 7, v2
                                        ; implicit-def: $vgpr2
; %bb.3888:                             ;   in Loop: Header=BB6_3657 Depth=2
	s_andn2_saveexec_b64 s[22:23], s[22:23]
; %bb.3889:                             ;   in Loop: Header=BB6_3657 Depth=2
	v_mov_b32_e32 v39, v2
; %bb.3890:                             ;   in Loop: Header=BB6_3657 Depth=2
	s_or_b64 exec, exec, s[22:23]
.LBB6_3891:                             ;   in Loop: Header=BB6_3657 Depth=2
	s_or_b64 exec, exec, s[34:35]
                                        ; implicit-def: $vgpr2
.LBB6_3892:                             ;   in Loop: Header=BB6_3657 Depth=2
	s_andn2_saveexec_b64 s[22:23], s[30:31]
; %bb.3893:                             ;   in Loop: Header=BB6_3657 Depth=2
	v_or_b32_e32 v39, 0x7e, v2
; %bb.3894:                             ;   in Loop: Header=BB6_3657 Depth=2
	s_or_b64 exec, exec, s[22:23]
                                        ; implicit-def: $vgpr15
.LBB6_3895:                             ;   in Loop: Header=BB6_3657 Depth=2
	s_andn2_saveexec_b64 s[22:23], s[94:95]
; %bb.3896:                             ;   in Loop: Header=BB6_3657 Depth=2
	v_or_b32_sdwa v39, v15, s54 dst_sel:DWORD dst_unused:UNUSED_PAD src0_sel:BYTE_3 src1_sel:DWORD
; %bb.3897:                             ;   in Loop: Header=BB6_3657 Depth=2
	s_or_b64 exec, exec, s[22:23]
	v_and_b32_e32 v14, 0xff, v34
	v_cmp_ne_u16_e64 s[22:23], 0, v14
	s_and_b64 vcc, exec, s[20:21]
	s_mov_b64 s[94:95], -1
                                        ; implicit-def: $vgpr3
	s_cbranch_vccnz .LBB6_3911
; %bb.3898:                             ;   in Loop: Header=BB6_3657 Depth=2
	v_mov_b32_e32 v3, 0
	v_mov_b32_e32 v2, 0
	s_and_saveexec_b64 s[94:95], s[22:23]
	s_cbranch_execz .LBB6_3904
; %bb.3899:                             ;   in Loop: Header=BB6_3657 Depth=2
	v_cmp_ne_u16_e32 vcc, s53, v14
	v_bfrev_b32_e32 v2, 1
	s_and_saveexec_b64 s[30:31], vcc
	s_cbranch_execz .LBB6_3903
; %bb.3900:                             ;   in Loop: Header=BB6_3657 Depth=2
	v_and_b32_e32 v15, 0x7f, v34
	v_cmp_ne_u32_e32 vcc, s54, v15
	v_mov_b32_e32 v2, 0x7f800001
	s_and_saveexec_b64 s[34:35], vcc
	s_cbranch_execz .LBB6_3902
; %bb.3901:                             ;   in Loop: Header=BB6_3657 Depth=2
	v_and_b32_e32 v2, 7, v14
	v_lshrrev_b32_e32 v36, 3, v15
	v_cmp_gt_u32_e32 vcc, 8, v15
	v_ffbh_u32_e32 v15, v2
	v_min_u32_e32 v37, 32, v15
	v_subrev_u32_e32 v15, 28, v37
	v_lshlrev_b64 v[15:16], v15, v[14:15]
	v_sub_u32_e32 v16, 29, v37
	v_and_b32_e32 v15, 7, v15
	v_cndmask_b32_e32 v16, v36, v16, vcc
	v_cndmask_b32_e32 v2, v2, v15, vcc
	v_lshlrev_b32_e32 v15, 24, v34
	v_lshlrev_b32_e32 v2, 20, v2
	v_and_b32_e32 v15, 0x80000000, v15
	v_lshl_add_u32 v16, v16, 23, v21
	v_or3_b32 v2, v15, v16, v2
.LBB6_3902:                             ;   in Loop: Header=BB6_3657 Depth=2
	s_or_b64 exec, exec, s[34:35]
.LBB6_3903:                             ;   in Loop: Header=BB6_3657 Depth=2
	s_or_b64 exec, exec, s[30:31]
.LBB6_3904:                             ;   in Loop: Header=BB6_3657 Depth=2
	s_or_b64 exec, exec, s[94:95]
	v_and_b32_e32 v15, 0xff, v33
	v_cmp_ne_u16_e32 vcc, 0, v15
	s_and_saveexec_b64 s[94:95], vcc
	s_cbranch_execz .LBB6_3910
; %bb.3905:                             ;   in Loop: Header=BB6_3657 Depth=2
	v_cmp_ne_u16_e32 vcc, s53, v15
	v_bfrev_b32_e32 v3, 1
	s_and_saveexec_b64 s[30:31], vcc
	s_cbranch_execz .LBB6_3909
; %bb.3906:                             ;   in Loop: Header=BB6_3657 Depth=2
	v_and_b32_e32 v16, 0x7f, v33
	v_cmp_ne_u32_e32 vcc, s54, v16
	v_mov_b32_e32 v3, 0x7f800001
	s_and_saveexec_b64 s[34:35], vcc
	s_cbranch_execz .LBB6_3908
; %bb.3907:                             ;   in Loop: Header=BB6_3657 Depth=2
	v_and_b32_e32 v3, 7, v15
	v_lshrrev_b32_e32 v36, 3, v16
	v_cmp_gt_u32_e32 vcc, 8, v16
	v_ffbh_u32_e32 v16, v3
	v_min_u32_e32 v37, 32, v16
	v_subrev_u32_e32 v16, 28, v37
	v_lshlrev_b64 v[15:16], v16, v[15:16]
	v_sub_u32_e32 v16, 29, v37
	v_and_b32_e32 v15, 7, v15
	v_cndmask_b32_e32 v16, v36, v16, vcc
	v_cndmask_b32_e32 v3, v3, v15, vcc
	v_lshlrev_b32_e32 v15, 24, v33
	v_lshlrev_b32_e32 v3, 20, v3
	v_and_b32_e32 v15, 0x80000000, v15
	v_lshl_add_u32 v16, v16, 23, v21
	v_or3_b32 v3, v15, v16, v3
.LBB6_3908:                             ;   in Loop: Header=BB6_3657 Depth=2
	s_or_b64 exec, exec, s[34:35]
.LBB6_3909:                             ;   in Loop: Header=BB6_3657 Depth=2
	s_or_b64 exec, exec, s[30:31]
.LBB6_3910:                             ;   in Loop: Header=BB6_3657 Depth=2
	s_or_b64 exec, exec, s[94:95]
	v_max_f32_e32 v3, v3, v3
	v_max_f32_e32 v2, v2, v2
	;; [unrolled: 1-line block ×3, first 2 shown]
	s_mov_b64 s[94:95], 0
.LBB6_3911:                             ;   in Loop: Header=BB6_3657 Depth=2
	s_and_b64 vcc, exec, s[94:95]
	s_cbranch_vccz .LBB6_3925
; %bb.3912:                             ;   in Loop: Header=BB6_3657 Depth=2
	v_mov_b32_e32 v3, 0
	v_mov_b32_e32 v2, 0
	s_and_saveexec_b64 s[94:95], s[22:23]
	s_cbranch_execz .LBB6_3918
; %bb.3913:                             ;   in Loop: Header=BB6_3657 Depth=2
	v_cmp_ne_u16_e32 vcc, s53, v14
	v_bfrev_b32_e32 v2, 1
	s_and_saveexec_b64 s[22:23], vcc
	s_cbranch_execz .LBB6_3917
; %bb.3914:                             ;   in Loop: Header=BB6_3657 Depth=2
	v_and_b32_e32 v15, 0x7f, v34
	v_cmp_ne_u32_e32 vcc, s54, v15
	v_mov_b32_e32 v2, 0x7f800001
	s_and_saveexec_b64 s[30:31], vcc
	s_cbranch_execz .LBB6_3916
; %bb.3915:                             ;   in Loop: Header=BB6_3657 Depth=2
	v_and_b32_e32 v2, 7, v14
	v_lshrrev_b32_e32 v16, 3, v15
	v_cmp_gt_u32_e32 vcc, 8, v15
	v_ffbh_u32_e32 v15, v2
	v_min_u32_e32 v36, 32, v15
	v_subrev_u32_e32 v15, 28, v36
	v_lshlrev_b64 v[14:15], v15, v[14:15]
	v_sub_u32_e32 v15, 29, v36
	v_and_b32_e32 v14, 7, v14
	v_cndmask_b32_e32 v15, v16, v15, vcc
	v_cndmask_b32_e32 v2, v2, v14, vcc
	v_lshlrev_b32_e32 v14, 24, v34
	v_lshlrev_b32_e32 v2, 20, v2
	v_and_b32_e32 v14, 0x80000000, v14
	v_lshl_add_u32 v15, v15, 23, v21
	v_or3_b32 v2, v14, v15, v2
.LBB6_3916:                             ;   in Loop: Header=BB6_3657 Depth=2
	s_or_b64 exec, exec, s[30:31]
.LBB6_3917:                             ;   in Loop: Header=BB6_3657 Depth=2
	s_or_b64 exec, exec, s[22:23]
.LBB6_3918:                             ;   in Loop: Header=BB6_3657 Depth=2
	s_or_b64 exec, exec, s[94:95]
	v_and_b32_e32 v14, 0xff, v33
	v_cmp_ne_u16_e32 vcc, 0, v14
	s_and_saveexec_b64 s[22:23], vcc
	s_cbranch_execz .LBB6_3924
; %bb.3919:                             ;   in Loop: Header=BB6_3657 Depth=2
	v_cmp_ne_u16_e32 vcc, s53, v14
	v_bfrev_b32_e32 v3, 1
	s_and_saveexec_b64 s[94:95], vcc
	s_cbranch_execz .LBB6_3923
; %bb.3920:                             ;   in Loop: Header=BB6_3657 Depth=2
	v_and_b32_e32 v15, 0x7f, v33
	v_cmp_ne_u32_e32 vcc, s54, v15
	v_mov_b32_e32 v3, 0x7f800001
	s_and_saveexec_b64 s[30:31], vcc
	s_cbranch_execz .LBB6_3922
; %bb.3921:                             ;   in Loop: Header=BB6_3657 Depth=2
	v_and_b32_e32 v3, 7, v14
	v_lshrrev_b32_e32 v16, 3, v15
	v_cmp_gt_u32_e32 vcc, 8, v15
	v_ffbh_u32_e32 v15, v3
	v_min_u32_e32 v34, 32, v15
	v_subrev_u32_e32 v15, 28, v34
	v_lshlrev_b64 v[14:15], v15, v[14:15]
	v_sub_u32_e32 v15, 29, v34
	v_and_b32_e32 v14, 7, v14
	v_cndmask_b32_e32 v15, v16, v15, vcc
	v_cndmask_b32_e32 v3, v3, v14, vcc
	v_lshlrev_b32_e32 v14, 24, v33
	v_lshlrev_b32_e32 v3, 20, v3
	v_and_b32_e32 v14, 0x80000000, v14
	v_lshl_add_u32 v15, v15, 23, v21
	v_or3_b32 v3, v14, v15, v3
.LBB6_3922:                             ;   in Loop: Header=BB6_3657 Depth=2
	s_or_b64 exec, exec, s[30:31]
.LBB6_3923:                             ;   in Loop: Header=BB6_3657 Depth=2
	s_or_b64 exec, exec, s[94:95]
.LBB6_3924:                             ;   in Loop: Header=BB6_3657 Depth=2
	s_or_b64 exec, exec, s[22:23]
	v_max_f32_e32 v3, v3, v3
	v_max_f32_e32 v2, v2, v2
	v_min_f32_e32 v3, v2, v3
.LBB6_3925:                             ;   in Loop: Header=BB6_3657 Depth=2
	v_and_b32_e32 v60, 0x7f800000, v3
	v_cmp_ne_u64_e32 vcc, s[72:73], v[60:61]
                                        ; implicit-def: $vgpr48
	s_and_saveexec_b64 s[22:23], vcc
	s_xor_b64 s[94:95], exec, s[22:23]
	s_cbranch_execz .LBB6_3943
; %bb.3926:                             ;   in Loop: Header=BB6_3657 Depth=2
	v_and_b32_e32 v60, 0x7fffffff, v3
	v_cmp_gt_u64_e32 vcc, s[74:75], v[60:61]
	v_and_b32_sdwa v2, v3, s53 dst_sel:DWORD dst_unused:UNUSED_PAD src0_sel:BYTE_3 src1_sel:DWORD
                                        ; implicit-def: $vgpr48
	s_and_saveexec_b64 s[22:23], vcc
	s_xor_b64 s[30:31], exec, s[22:23]
	s_cbranch_execz .LBB6_3940
; %bb.3927:                             ;   in Loop: Header=BB6_3657 Depth=2
	v_cmp_ne_u32_e32 vcc, 0, v3
	v_mov_b32_e32 v48, 0
	s_and_saveexec_b64 s[34:35], vcc
	s_cbranch_execz .LBB6_3939
; %bb.3928:                             ;   in Loop: Header=BB6_3657 Depth=2
	v_and_b32_e32 v14, 0x7fffff, v3
	v_bfe_u32 v3, v3, 23, 8
	v_cmp_gt_u32_e64 s[22:23], s64, v3
	v_sub_u32_e32 v15, 0x79, v3
	v_cmp_eq_u32_e32 vcc, 0, v3
	v_cndmask_b32_e64 v15, 0, v15, s[22:23]
	v_mov_b32_e32 v33, 0x78
	v_or_b32_e32 v16, 0x800000, v14
	v_cndmask_b32_e32 v33, v15, v33, vcc
	v_cndmask_b32_e32 v60, v16, v14, vcc
	v_add_u32_e32 v14, 20, v33
	v_lshlrev_b64 v[14:15], v14, -1
	v_add_u32_e32 v16, 19, v33
	v_lshlrev_b64 v[36:37], v16, 1
	v_bfi_b32 v15, v15, 0, 0
	v_bfi_b32 v14, v14, 0, v60
	v_cmp_eq_u64_e64 s[22:23], v[14:15], v[36:37]
	v_lshrrev_b64 v[14:15], v33, v[60:61]
	v_mov_b32_e32 v16, v15
	v_mov_b32_e32 v15, v14
	s_and_saveexec_b64 s[36:37], s[22:23]
; %bb.3929:                             ;   in Loop: Header=BB6_3657 Depth=2
	v_bfe_u32 v15, v14, 20, 1
	v_add_co_u32_e64 v15, s[22:23], v14, v15
	v_add_co_u32_e64 v15, s[22:23], -1, v15
; %bb.3930:                             ;   in Loop: Header=BB6_3657 Depth=2
	s_or_b64 exec, exec, s[36:37]
	v_add_u32_e32 v3, 0xffffff81, v3
	v_cndmask_b32_e32 v3, v3, v41, vcc
	v_lshrrev_b32_e32 v16, 23, v14
	v_add3_u32 v33, v33, v3, v16
	v_add_u32_e32 v16, 6, v33
	v_and_b32_e32 v3, 0xfffff, v15
	v_add_u32_e32 v60, v3, v14
	v_cmp_ne_u32_e32 vcc, 0, v16
                                        ; implicit-def: $vgpr14_vgpr15
                                        ; implicit-def: $vgpr3
	s_and_saveexec_b64 s[22:23], vcc
	s_xor_b64 s[22:23], exec, s[22:23]
; %bb.3931:                             ;   in Loop: Header=BB6_3657 Depth=2
	v_cmp_lt_u64_e32 vcc, s[76:77], v[60:61]
	v_add_u32_e32 v3, 7, v33
	v_cndmask_b32_e64 v14, 0, 1, vcc
	v_lshrrev_b64 v[14:15], v14, v[60:61]
	v_cndmask_b32_e32 v3, v16, v3, vcc
; %bb.3932:                             ;   in Loop: Header=BB6_3657 Depth=2
	s_andn2_saveexec_b64 s[22:23], s[22:23]
; %bb.3933:                             ;   in Loop: Header=BB6_3657 Depth=2
	v_mov_b32_e32 v14, v60
	v_bfe_u32 v3, v60, 23, 1
	v_mov_b32_e32 v15, v61
; %bb.3934:                             ;   in Loop: Header=BB6_3657 Depth=2
	s_or_b64 exec, exec, s[22:23]
	v_lshrrev_b64 v[14:15], 20, v[14:15]
	v_cmp_gt_i32_e32 vcc, 16, v3
	v_cndmask_b32_e32 v15, 0, v15, vcc
	v_cndmask_b32_e32 v14, 7, v14, vcc
	v_cmp_ne_u64_e32 vcc, 0, v[14:15]
	v_cmp_ne_u32_e64 s[22:23], 0, v3
	s_or_b64 s[22:23], s[22:23], vcc
                                        ; implicit-def: $vgpr48
	s_and_saveexec_b64 vcc, s[22:23]
	s_xor_b64 s[22:23], exec, vcc
; %bb.3935:                             ;   in Loop: Header=BB6_3657 Depth=2
	v_min_i32_e32 v3, 15, v3
	v_lshl_or_b32 v2, v3, 3, v2
	v_and_or_b32 v48, v14, 7, v2
                                        ; implicit-def: $vgpr2
; %bb.3936:                             ;   in Loop: Header=BB6_3657 Depth=2
	s_andn2_saveexec_b64 s[22:23], s[22:23]
; %bb.3937:                             ;   in Loop: Header=BB6_3657 Depth=2
	v_mov_b32_e32 v48, v2
; %bb.3938:                             ;   in Loop: Header=BB6_3657 Depth=2
	s_or_b64 exec, exec, s[22:23]
.LBB6_3939:                             ;   in Loop: Header=BB6_3657 Depth=2
	s_or_b64 exec, exec, s[34:35]
                                        ; implicit-def: $vgpr2
.LBB6_3940:                             ;   in Loop: Header=BB6_3657 Depth=2
	s_andn2_saveexec_b64 s[22:23], s[30:31]
; %bb.3941:                             ;   in Loop: Header=BB6_3657 Depth=2
	v_or_b32_e32 v48, 0x7e, v2
; %bb.3942:                             ;   in Loop: Header=BB6_3657 Depth=2
	s_or_b64 exec, exec, s[22:23]
                                        ; implicit-def: $vgpr3
.LBB6_3943:                             ;   in Loop: Header=BB6_3657 Depth=2
	s_andn2_saveexec_b64 s[22:23], s[94:95]
; %bb.3944:                             ;   in Loop: Header=BB6_3657 Depth=2
	v_or_b32_sdwa v48, v3, s54 dst_sel:DWORD dst_unused:UNUSED_PAD src0_sel:BYTE_3 src1_sel:DWORD
; %bb.3945:                             ;   in Loop: Header=BB6_3657 Depth=2
	s_or_b64 exec, exec, s[22:23]
	v_and_b32_e32 v14, 0xff, v31
	v_cmp_ne_u16_e64 s[22:23], 0, v14
	s_and_b64 vcc, exec, s[20:21]
	s_mov_b64 s[94:95], -1
                                        ; implicit-def: $vgpr3
	s_cbranch_vccnz .LBB6_3959
; %bb.3946:                             ;   in Loop: Header=BB6_3657 Depth=2
	v_mov_b32_e32 v3, 0
	v_mov_b32_e32 v2, 0
	s_and_saveexec_b64 s[94:95], s[22:23]
	s_cbranch_execz .LBB6_3952
; %bb.3947:                             ;   in Loop: Header=BB6_3657 Depth=2
	v_cmp_ne_u16_e32 vcc, s53, v14
	v_bfrev_b32_e32 v2, 1
	s_and_saveexec_b64 s[30:31], vcc
	s_cbranch_execz .LBB6_3951
; %bb.3948:                             ;   in Loop: Header=BB6_3657 Depth=2
	v_and_b32_e32 v15, 0x7f, v31
	v_cmp_ne_u32_e32 vcc, s54, v15
	v_mov_b32_e32 v2, 0x7f800001
	s_and_saveexec_b64 s[34:35], vcc
	s_cbranch_execz .LBB6_3950
; %bb.3949:                             ;   in Loop: Header=BB6_3657 Depth=2
	v_and_b32_e32 v2, 7, v14
	v_lshrrev_b32_e32 v33, 3, v15
	v_cmp_gt_u32_e32 vcc, 8, v15
	v_ffbh_u32_e32 v15, v2
	v_min_u32_e32 v34, 32, v15
	v_subrev_u32_e32 v15, 28, v34
	v_lshlrev_b64 v[15:16], v15, v[14:15]
	v_sub_u32_e32 v16, 29, v34
	v_and_b32_e32 v15, 7, v15
	v_cndmask_b32_e32 v16, v33, v16, vcc
	v_cndmask_b32_e32 v2, v2, v15, vcc
	v_lshlrev_b32_e32 v15, 24, v31
	v_lshlrev_b32_e32 v2, 20, v2
	v_and_b32_e32 v15, 0x80000000, v15
	v_lshl_add_u32 v16, v16, 23, v21
	v_or3_b32 v2, v15, v16, v2
.LBB6_3950:                             ;   in Loop: Header=BB6_3657 Depth=2
	s_or_b64 exec, exec, s[34:35]
.LBB6_3951:                             ;   in Loop: Header=BB6_3657 Depth=2
	s_or_b64 exec, exec, s[30:31]
.LBB6_3952:                             ;   in Loop: Header=BB6_3657 Depth=2
	s_or_b64 exec, exec, s[94:95]
	v_and_b32_e32 v15, 0xff, v49
	v_cmp_ne_u16_e32 vcc, 0, v15
	s_and_saveexec_b64 s[94:95], vcc
	s_cbranch_execz .LBB6_3958
; %bb.3953:                             ;   in Loop: Header=BB6_3657 Depth=2
	v_cmp_ne_u16_e32 vcc, s53, v15
	v_bfrev_b32_e32 v3, 1
	s_and_saveexec_b64 s[30:31], vcc
	s_cbranch_execz .LBB6_3957
; %bb.3954:                             ;   in Loop: Header=BB6_3657 Depth=2
	v_and_b32_e32 v16, 0x7f, v49
	v_cmp_ne_u32_e32 vcc, s54, v16
	v_mov_b32_e32 v3, 0x7f800001
	s_and_saveexec_b64 s[34:35], vcc
	s_cbranch_execz .LBB6_3956
; %bb.3955:                             ;   in Loop: Header=BB6_3657 Depth=2
	v_and_b32_e32 v3, 7, v15
	v_lshrrev_b32_e32 v33, 3, v16
	v_cmp_gt_u32_e32 vcc, 8, v16
	v_ffbh_u32_e32 v16, v3
	v_min_u32_e32 v34, 32, v16
	v_subrev_u32_e32 v16, 28, v34
	v_lshlrev_b64 v[15:16], v16, v[15:16]
	v_sub_u32_e32 v16, 29, v34
	v_and_b32_e32 v15, 7, v15
	v_cndmask_b32_e32 v16, v33, v16, vcc
	v_cndmask_b32_e32 v3, v3, v15, vcc
	v_lshlrev_b32_e32 v15, 24, v49
	v_lshlrev_b32_e32 v3, 20, v3
	v_and_b32_e32 v15, 0x80000000, v15
	v_lshl_add_u32 v16, v16, 23, v21
	v_or3_b32 v3, v15, v16, v3
.LBB6_3956:                             ;   in Loop: Header=BB6_3657 Depth=2
	s_or_b64 exec, exec, s[34:35]
.LBB6_3957:                             ;   in Loop: Header=BB6_3657 Depth=2
	s_or_b64 exec, exec, s[30:31]
.LBB6_3958:                             ;   in Loop: Header=BB6_3657 Depth=2
	s_or_b64 exec, exec, s[94:95]
	v_max_f32_e32 v3, v3, v3
	v_max_f32_e32 v2, v2, v2
	;; [unrolled: 1-line block ×3, first 2 shown]
	s_mov_b64 s[94:95], 0
.LBB6_3959:                             ;   in Loop: Header=BB6_3657 Depth=2
	s_and_b64 vcc, exec, s[94:95]
	s_cbranch_vccz .LBB6_3973
; %bb.3960:                             ;   in Loop: Header=BB6_3657 Depth=2
	v_mov_b32_e32 v3, 0
	v_mov_b32_e32 v2, 0
	s_and_saveexec_b64 s[94:95], s[22:23]
	s_cbranch_execz .LBB6_3966
; %bb.3961:                             ;   in Loop: Header=BB6_3657 Depth=2
	v_cmp_ne_u16_e32 vcc, s53, v14
	v_bfrev_b32_e32 v2, 1
	s_and_saveexec_b64 s[22:23], vcc
	s_cbranch_execz .LBB6_3965
; %bb.3962:                             ;   in Loop: Header=BB6_3657 Depth=2
	v_and_b32_e32 v15, 0x7f, v31
	v_cmp_ne_u32_e32 vcc, s54, v15
	v_mov_b32_e32 v2, 0x7f800001
	s_and_saveexec_b64 s[30:31], vcc
	s_cbranch_execz .LBB6_3964
; %bb.3963:                             ;   in Loop: Header=BB6_3657 Depth=2
	v_and_b32_e32 v2, 7, v14
	v_lshrrev_b32_e32 v16, 3, v15
	v_cmp_gt_u32_e32 vcc, 8, v15
	v_ffbh_u32_e32 v15, v2
	v_min_u32_e32 v33, 32, v15
	v_subrev_u32_e32 v15, 28, v33
	v_lshlrev_b64 v[14:15], v15, v[14:15]
	v_sub_u32_e32 v15, 29, v33
	v_and_b32_e32 v14, 7, v14
	v_cndmask_b32_e32 v15, v16, v15, vcc
	v_cndmask_b32_e32 v2, v2, v14, vcc
	v_lshlrev_b32_e32 v14, 24, v31
	v_lshlrev_b32_e32 v2, 20, v2
	v_and_b32_e32 v14, 0x80000000, v14
	v_lshl_add_u32 v15, v15, 23, v21
	v_or3_b32 v2, v14, v15, v2
.LBB6_3964:                             ;   in Loop: Header=BB6_3657 Depth=2
	s_or_b64 exec, exec, s[30:31]
.LBB6_3965:                             ;   in Loop: Header=BB6_3657 Depth=2
	s_or_b64 exec, exec, s[22:23]
.LBB6_3966:                             ;   in Loop: Header=BB6_3657 Depth=2
	s_or_b64 exec, exec, s[94:95]
	v_and_b32_e32 v14, 0xff, v49
	v_cmp_ne_u16_e32 vcc, 0, v14
	s_and_saveexec_b64 s[22:23], vcc
	s_cbranch_execz .LBB6_3972
; %bb.3967:                             ;   in Loop: Header=BB6_3657 Depth=2
	v_cmp_ne_u16_e32 vcc, s53, v14
	v_bfrev_b32_e32 v3, 1
	s_and_saveexec_b64 s[94:95], vcc
	s_cbranch_execz .LBB6_3971
; %bb.3968:                             ;   in Loop: Header=BB6_3657 Depth=2
	v_and_b32_e32 v15, 0x7f, v49
	v_cmp_ne_u32_e32 vcc, s54, v15
	v_mov_b32_e32 v3, 0x7f800001
	s_and_saveexec_b64 s[30:31], vcc
	s_cbranch_execz .LBB6_3970
; %bb.3969:                             ;   in Loop: Header=BB6_3657 Depth=2
	v_and_b32_e32 v3, 7, v14
	v_lshrrev_b32_e32 v16, 3, v15
	v_cmp_gt_u32_e32 vcc, 8, v15
	v_ffbh_u32_e32 v15, v3
	v_min_u32_e32 v31, 32, v15
	v_subrev_u32_e32 v15, 28, v31
	v_lshlrev_b64 v[14:15], v15, v[14:15]
	v_sub_u32_e32 v15, 29, v31
	v_and_b32_e32 v14, 7, v14
	v_cndmask_b32_e32 v15, v16, v15, vcc
	v_cndmask_b32_e32 v3, v3, v14, vcc
	v_lshlrev_b32_e32 v14, 24, v49
	v_lshlrev_b32_e32 v3, 20, v3
	v_and_b32_e32 v14, 0x80000000, v14
	v_lshl_add_u32 v15, v15, 23, v21
	v_or3_b32 v3, v14, v15, v3
.LBB6_3970:                             ;   in Loop: Header=BB6_3657 Depth=2
	s_or_b64 exec, exec, s[30:31]
.LBB6_3971:                             ;   in Loop: Header=BB6_3657 Depth=2
	s_or_b64 exec, exec, s[94:95]
.LBB6_3972:                             ;   in Loop: Header=BB6_3657 Depth=2
	s_or_b64 exec, exec, s[22:23]
	v_max_f32_e32 v3, v3, v3
	v_max_f32_e32 v2, v2, v2
	v_min_f32_e32 v3, v2, v3
.LBB6_3973:                             ;   in Loop: Header=BB6_3657 Depth=2
	v_and_b32_e32 v60, 0x7f800000, v3
	v_cmp_ne_u64_e32 vcc, s[72:73], v[60:61]
                                        ; implicit-def: $vgpr49
	s_and_saveexec_b64 s[22:23], vcc
	s_xor_b64 s[94:95], exec, s[22:23]
	s_cbranch_execz .LBB6_3991
; %bb.3974:                             ;   in Loop: Header=BB6_3657 Depth=2
	v_and_b32_e32 v60, 0x7fffffff, v3
	v_cmp_gt_u64_e32 vcc, s[74:75], v[60:61]
	v_and_b32_sdwa v2, v3, s53 dst_sel:DWORD dst_unused:UNUSED_PAD src0_sel:BYTE_3 src1_sel:DWORD
                                        ; implicit-def: $vgpr49
	s_and_saveexec_b64 s[22:23], vcc
	s_xor_b64 s[30:31], exec, s[22:23]
	s_cbranch_execz .LBB6_3988
; %bb.3975:                             ;   in Loop: Header=BB6_3657 Depth=2
	v_cmp_ne_u32_e32 vcc, 0, v3
	v_mov_b32_e32 v49, 0
	s_and_saveexec_b64 s[34:35], vcc
	s_cbranch_execz .LBB6_3987
; %bb.3976:                             ;   in Loop: Header=BB6_3657 Depth=2
	v_and_b32_e32 v14, 0x7fffff, v3
	v_bfe_u32 v3, v3, 23, 8
	v_cmp_gt_u32_e64 s[22:23], s64, v3
	v_sub_u32_e32 v15, 0x79, v3
	v_cmp_eq_u32_e32 vcc, 0, v3
	v_cndmask_b32_e64 v15, 0, v15, s[22:23]
	v_mov_b32_e32 v31, 0x78
	v_or_b32_e32 v16, 0x800000, v14
	v_cndmask_b32_e32 v31, v15, v31, vcc
	v_cndmask_b32_e32 v60, v16, v14, vcc
	v_add_u32_e32 v14, 20, v31
	v_lshlrev_b64 v[14:15], v14, -1
	v_add_u32_e32 v16, 19, v31
	v_lshlrev_b64 v[33:34], v16, 1
	v_bfi_b32 v15, v15, 0, 0
	v_bfi_b32 v14, v14, 0, v60
	v_cmp_eq_u64_e64 s[22:23], v[14:15], v[33:34]
	v_lshrrev_b64 v[14:15], v31, v[60:61]
	v_mov_b32_e32 v16, v15
	v_mov_b32_e32 v15, v14
	s_and_saveexec_b64 s[36:37], s[22:23]
; %bb.3977:                             ;   in Loop: Header=BB6_3657 Depth=2
	v_bfe_u32 v15, v14, 20, 1
	v_add_co_u32_e64 v15, s[22:23], v14, v15
	v_add_co_u32_e64 v15, s[22:23], -1, v15
; %bb.3978:                             ;   in Loop: Header=BB6_3657 Depth=2
	s_or_b64 exec, exec, s[36:37]
	v_add_u32_e32 v3, 0xffffff81, v3
	v_cndmask_b32_e32 v3, v3, v41, vcc
	v_lshrrev_b32_e32 v16, 23, v14
	v_add3_u32 v31, v31, v3, v16
	v_add_u32_e32 v16, 6, v31
	v_and_b32_e32 v3, 0xfffff, v15
	v_add_u32_e32 v60, v3, v14
	v_cmp_ne_u32_e32 vcc, 0, v16
                                        ; implicit-def: $vgpr14_vgpr15
                                        ; implicit-def: $vgpr3
	s_and_saveexec_b64 s[22:23], vcc
	s_xor_b64 s[22:23], exec, s[22:23]
; %bb.3979:                             ;   in Loop: Header=BB6_3657 Depth=2
	v_cmp_lt_u64_e32 vcc, s[76:77], v[60:61]
	v_add_u32_e32 v3, 7, v31
	v_cndmask_b32_e64 v14, 0, 1, vcc
	v_lshrrev_b64 v[14:15], v14, v[60:61]
	v_cndmask_b32_e32 v3, v16, v3, vcc
; %bb.3980:                             ;   in Loop: Header=BB6_3657 Depth=2
	s_andn2_saveexec_b64 s[22:23], s[22:23]
; %bb.3981:                             ;   in Loop: Header=BB6_3657 Depth=2
	v_mov_b32_e32 v14, v60
	v_bfe_u32 v3, v60, 23, 1
	v_mov_b32_e32 v15, v61
; %bb.3982:                             ;   in Loop: Header=BB6_3657 Depth=2
	s_or_b64 exec, exec, s[22:23]
	v_lshrrev_b64 v[14:15], 20, v[14:15]
	v_cmp_gt_i32_e32 vcc, 16, v3
	v_cndmask_b32_e32 v15, 0, v15, vcc
	v_cndmask_b32_e32 v14, 7, v14, vcc
	v_cmp_ne_u64_e32 vcc, 0, v[14:15]
	v_cmp_ne_u32_e64 s[22:23], 0, v3
	s_or_b64 s[22:23], s[22:23], vcc
                                        ; implicit-def: $vgpr49
	s_and_saveexec_b64 vcc, s[22:23]
	s_xor_b64 s[22:23], exec, vcc
; %bb.3983:                             ;   in Loop: Header=BB6_3657 Depth=2
	v_min_i32_e32 v3, 15, v3
	v_lshl_or_b32 v2, v3, 3, v2
	v_and_or_b32 v49, v14, 7, v2
                                        ; implicit-def: $vgpr2
; %bb.3984:                             ;   in Loop: Header=BB6_3657 Depth=2
	s_andn2_saveexec_b64 s[22:23], s[22:23]
; %bb.3985:                             ;   in Loop: Header=BB6_3657 Depth=2
	v_mov_b32_e32 v49, v2
; %bb.3986:                             ;   in Loop: Header=BB6_3657 Depth=2
	s_or_b64 exec, exec, s[22:23]
.LBB6_3987:                             ;   in Loop: Header=BB6_3657 Depth=2
	s_or_b64 exec, exec, s[34:35]
                                        ; implicit-def: $vgpr2
.LBB6_3988:                             ;   in Loop: Header=BB6_3657 Depth=2
	s_andn2_saveexec_b64 s[22:23], s[30:31]
; %bb.3989:                             ;   in Loop: Header=BB6_3657 Depth=2
	v_or_b32_e32 v49, 0x7e, v2
; %bb.3990:                             ;   in Loop: Header=BB6_3657 Depth=2
	s_or_b64 exec, exec, s[22:23]
                                        ; implicit-def: $vgpr3
.LBB6_3991:                             ;   in Loop: Header=BB6_3657 Depth=2
	s_andn2_saveexec_b64 s[22:23], s[94:95]
; %bb.3992:                             ;   in Loop: Header=BB6_3657 Depth=2
	v_or_b32_sdwa v49, v3, s54 dst_sel:DWORD dst_unused:UNUSED_PAD src0_sel:BYTE_3 src1_sel:DWORD
; %bb.3993:                             ;   in Loop: Header=BB6_3657 Depth=2
	s_or_b64 exec, exec, s[22:23]
	v_and_b32_e32 v14, 0xff, v30
	v_cmp_ne_u16_e64 s[22:23], 0, v14
	s_and_b64 vcc, exec, s[20:21]
	s_mov_b64 s[94:95], -1
                                        ; implicit-def: $vgpr3
	s_cbranch_vccnz .LBB6_4007
; %bb.3994:                             ;   in Loop: Header=BB6_3657 Depth=2
	v_mov_b32_e32 v3, 0
	v_mov_b32_e32 v2, 0
	s_and_saveexec_b64 s[94:95], s[22:23]
	s_cbranch_execz .LBB6_4000
; %bb.3995:                             ;   in Loop: Header=BB6_3657 Depth=2
	v_cmp_ne_u16_e32 vcc, s53, v14
	v_bfrev_b32_e32 v2, 1
	s_and_saveexec_b64 s[30:31], vcc
	s_cbranch_execz .LBB6_3999
; %bb.3996:                             ;   in Loop: Header=BB6_3657 Depth=2
	v_and_b32_e32 v15, 0x7f, v30
	v_cmp_ne_u32_e32 vcc, s54, v15
	v_mov_b32_e32 v2, 0x7f800001
	s_and_saveexec_b64 s[34:35], vcc
	s_cbranch_execz .LBB6_3998
; %bb.3997:                             ;   in Loop: Header=BB6_3657 Depth=2
	v_and_b32_e32 v2, 7, v14
	v_lshrrev_b32_e32 v31, 3, v15
	v_cmp_gt_u32_e32 vcc, 8, v15
	v_ffbh_u32_e32 v15, v2
	v_min_u32_e32 v33, 32, v15
	v_subrev_u32_e32 v15, 28, v33
	v_lshlrev_b64 v[15:16], v15, v[14:15]
	v_sub_u32_e32 v16, 29, v33
	v_and_b32_e32 v15, 7, v15
	v_cndmask_b32_e32 v16, v31, v16, vcc
	v_cndmask_b32_e32 v2, v2, v15, vcc
	v_lshlrev_b32_e32 v15, 24, v30
	v_lshlrev_b32_e32 v2, 20, v2
	v_and_b32_e32 v15, 0x80000000, v15
	v_lshl_add_u32 v16, v16, 23, v21
	v_or3_b32 v2, v15, v16, v2
.LBB6_3998:                             ;   in Loop: Header=BB6_3657 Depth=2
	s_or_b64 exec, exec, s[34:35]
.LBB6_3999:                             ;   in Loop: Header=BB6_3657 Depth=2
	s_or_b64 exec, exec, s[30:31]
.LBB6_4000:                             ;   in Loop: Header=BB6_3657 Depth=2
	s_or_b64 exec, exec, s[94:95]
	v_and_b32_e32 v15, 0xff, v52
	v_cmp_ne_u16_e32 vcc, 0, v15
	s_and_saveexec_b64 s[94:95], vcc
	s_cbranch_execz .LBB6_4006
; %bb.4001:                             ;   in Loop: Header=BB6_3657 Depth=2
	v_cmp_ne_u16_e32 vcc, s53, v15
	v_bfrev_b32_e32 v3, 1
	s_and_saveexec_b64 s[30:31], vcc
	s_cbranch_execz .LBB6_4005
; %bb.4002:                             ;   in Loop: Header=BB6_3657 Depth=2
	v_and_b32_e32 v16, 0x7f, v52
	v_cmp_ne_u32_e32 vcc, s54, v16
	v_mov_b32_e32 v3, 0x7f800001
	s_and_saveexec_b64 s[34:35], vcc
	s_cbranch_execz .LBB6_4004
; %bb.4003:                             ;   in Loop: Header=BB6_3657 Depth=2
	v_and_b32_e32 v3, 7, v15
	v_lshrrev_b32_e32 v31, 3, v16
	v_cmp_gt_u32_e32 vcc, 8, v16
	v_ffbh_u32_e32 v16, v3
	v_min_u32_e32 v33, 32, v16
	v_subrev_u32_e32 v16, 28, v33
	v_lshlrev_b64 v[15:16], v16, v[15:16]
	v_sub_u32_e32 v16, 29, v33
	v_and_b32_e32 v15, 7, v15
	v_cndmask_b32_e32 v16, v31, v16, vcc
	v_cndmask_b32_e32 v3, v3, v15, vcc
	v_lshlrev_b32_e32 v15, 24, v52
	v_lshlrev_b32_e32 v3, 20, v3
	v_and_b32_e32 v15, 0x80000000, v15
	v_lshl_add_u32 v16, v16, 23, v21
	v_or3_b32 v3, v15, v16, v3
.LBB6_4004:                             ;   in Loop: Header=BB6_3657 Depth=2
	s_or_b64 exec, exec, s[34:35]
.LBB6_4005:                             ;   in Loop: Header=BB6_3657 Depth=2
	s_or_b64 exec, exec, s[30:31]
.LBB6_4006:                             ;   in Loop: Header=BB6_3657 Depth=2
	s_or_b64 exec, exec, s[94:95]
	v_max_f32_e32 v3, v3, v3
	v_max_f32_e32 v2, v2, v2
	;; [unrolled: 1-line block ×3, first 2 shown]
	s_mov_b64 s[94:95], 0
.LBB6_4007:                             ;   in Loop: Header=BB6_3657 Depth=2
	s_and_b64 vcc, exec, s[94:95]
	s_cbranch_vccz .LBB6_4021
; %bb.4008:                             ;   in Loop: Header=BB6_3657 Depth=2
	v_mov_b32_e32 v3, 0
	v_mov_b32_e32 v2, 0
	s_and_saveexec_b64 s[94:95], s[22:23]
	s_cbranch_execz .LBB6_4014
; %bb.4009:                             ;   in Loop: Header=BB6_3657 Depth=2
	v_cmp_ne_u16_e32 vcc, s53, v14
	v_bfrev_b32_e32 v2, 1
	s_and_saveexec_b64 s[22:23], vcc
	s_cbranch_execz .LBB6_4013
; %bb.4010:                             ;   in Loop: Header=BB6_3657 Depth=2
	v_and_b32_e32 v15, 0x7f, v30
	v_cmp_ne_u32_e32 vcc, s54, v15
	v_mov_b32_e32 v2, 0x7f800001
	s_and_saveexec_b64 s[30:31], vcc
	s_cbranch_execz .LBB6_4012
; %bb.4011:                             ;   in Loop: Header=BB6_3657 Depth=2
	v_and_b32_e32 v2, 7, v14
	v_lshrrev_b32_e32 v16, 3, v15
	v_cmp_gt_u32_e32 vcc, 8, v15
	v_ffbh_u32_e32 v15, v2
	v_min_u32_e32 v31, 32, v15
	v_subrev_u32_e32 v15, 28, v31
	v_lshlrev_b64 v[14:15], v15, v[14:15]
	v_sub_u32_e32 v15, 29, v31
	v_and_b32_e32 v14, 7, v14
	v_cndmask_b32_e32 v15, v16, v15, vcc
	v_cndmask_b32_e32 v2, v2, v14, vcc
	v_lshlrev_b32_e32 v14, 24, v30
	v_lshlrev_b32_e32 v2, 20, v2
	v_and_b32_e32 v14, 0x80000000, v14
	v_lshl_add_u32 v15, v15, 23, v21
	v_or3_b32 v2, v14, v15, v2
.LBB6_4012:                             ;   in Loop: Header=BB6_3657 Depth=2
	s_or_b64 exec, exec, s[30:31]
.LBB6_4013:                             ;   in Loop: Header=BB6_3657 Depth=2
	s_or_b64 exec, exec, s[22:23]
.LBB6_4014:                             ;   in Loop: Header=BB6_3657 Depth=2
	s_or_b64 exec, exec, s[94:95]
	v_and_b32_e32 v14, 0xff, v52
	v_cmp_ne_u16_e32 vcc, 0, v14
	s_and_saveexec_b64 s[22:23], vcc
	s_cbranch_execz .LBB6_4020
; %bb.4015:                             ;   in Loop: Header=BB6_3657 Depth=2
	v_cmp_ne_u16_e32 vcc, s53, v14
	v_bfrev_b32_e32 v3, 1
	s_and_saveexec_b64 s[94:95], vcc
	s_cbranch_execz .LBB6_4019
; %bb.4016:                             ;   in Loop: Header=BB6_3657 Depth=2
	v_and_b32_e32 v15, 0x7f, v52
	v_cmp_ne_u32_e32 vcc, s54, v15
	v_mov_b32_e32 v3, 0x7f800001
	s_and_saveexec_b64 s[30:31], vcc
	s_cbranch_execz .LBB6_4018
; %bb.4017:                             ;   in Loop: Header=BB6_3657 Depth=2
	v_and_b32_e32 v3, 7, v14
	v_lshrrev_b32_e32 v16, 3, v15
	v_cmp_gt_u32_e32 vcc, 8, v15
	v_ffbh_u32_e32 v15, v3
	v_min_u32_e32 v30, 32, v15
	v_subrev_u32_e32 v15, 28, v30
	v_lshlrev_b64 v[14:15], v15, v[14:15]
	v_sub_u32_e32 v15, 29, v30
	v_and_b32_e32 v14, 7, v14
	v_cndmask_b32_e32 v15, v16, v15, vcc
	v_cndmask_b32_e32 v3, v3, v14, vcc
	v_lshlrev_b32_e32 v14, 24, v52
	v_lshlrev_b32_e32 v3, 20, v3
	v_and_b32_e32 v14, 0x80000000, v14
	v_lshl_add_u32 v15, v15, 23, v21
	v_or3_b32 v3, v14, v15, v3
.LBB6_4018:                             ;   in Loop: Header=BB6_3657 Depth=2
	s_or_b64 exec, exec, s[30:31]
.LBB6_4019:                             ;   in Loop: Header=BB6_3657 Depth=2
	s_or_b64 exec, exec, s[94:95]
.LBB6_4020:                             ;   in Loop: Header=BB6_3657 Depth=2
	s_or_b64 exec, exec, s[22:23]
	v_max_f32_e32 v3, v3, v3
	v_max_f32_e32 v2, v2, v2
	v_min_f32_e32 v3, v2, v3
.LBB6_4021:                             ;   in Loop: Header=BB6_3657 Depth=2
	v_and_b32_e32 v60, 0x7f800000, v3
	v_cmp_ne_u64_e32 vcc, s[72:73], v[60:61]
                                        ; implicit-def: $vgpr52
	s_and_saveexec_b64 s[22:23], vcc
	s_xor_b64 s[94:95], exec, s[22:23]
	s_cbranch_execz .LBB6_4039
; %bb.4022:                             ;   in Loop: Header=BB6_3657 Depth=2
	v_and_b32_e32 v60, 0x7fffffff, v3
	v_cmp_gt_u64_e32 vcc, s[74:75], v[60:61]
	v_and_b32_sdwa v2, v3, s53 dst_sel:DWORD dst_unused:UNUSED_PAD src0_sel:BYTE_3 src1_sel:DWORD
                                        ; implicit-def: $vgpr52
	s_and_saveexec_b64 s[22:23], vcc
	s_xor_b64 s[30:31], exec, s[22:23]
	s_cbranch_execz .LBB6_4036
; %bb.4023:                             ;   in Loop: Header=BB6_3657 Depth=2
	v_cmp_ne_u32_e32 vcc, 0, v3
	v_mov_b32_e32 v52, 0
	s_and_saveexec_b64 s[34:35], vcc
	s_cbranch_execz .LBB6_4035
; %bb.4024:                             ;   in Loop: Header=BB6_3657 Depth=2
	v_and_b32_e32 v14, 0x7fffff, v3
	v_bfe_u32 v3, v3, 23, 8
	v_cmp_gt_u32_e64 s[22:23], s64, v3
	v_sub_u32_e32 v15, 0x79, v3
	v_cmp_eq_u32_e32 vcc, 0, v3
	v_cndmask_b32_e64 v15, 0, v15, s[22:23]
	v_mov_b32_e32 v30, 0x78
	v_or_b32_e32 v16, 0x800000, v14
	v_cndmask_b32_e32 v30, v15, v30, vcc
	v_cndmask_b32_e32 v60, v16, v14, vcc
	v_add_u32_e32 v14, 20, v30
	v_lshlrev_b64 v[14:15], v14, -1
	v_add_u32_e32 v16, 19, v30
	v_lshlrev_b64 v[33:34], v16, 1
	v_bfi_b32 v15, v15, 0, 0
	v_bfi_b32 v14, v14, 0, v60
	v_cmp_eq_u64_e64 s[22:23], v[14:15], v[33:34]
	v_lshrrev_b64 v[14:15], v30, v[60:61]
	v_mov_b32_e32 v16, v15
	v_mov_b32_e32 v15, v14
	s_and_saveexec_b64 s[36:37], s[22:23]
; %bb.4025:                             ;   in Loop: Header=BB6_3657 Depth=2
	v_bfe_u32 v15, v14, 20, 1
	v_add_co_u32_e64 v15, s[22:23], v14, v15
	v_add_co_u32_e64 v15, s[22:23], -1, v15
; %bb.4026:                             ;   in Loop: Header=BB6_3657 Depth=2
	s_or_b64 exec, exec, s[36:37]
	v_add_u32_e32 v3, 0xffffff81, v3
	v_cndmask_b32_e32 v3, v3, v41, vcc
	v_lshrrev_b32_e32 v16, 23, v14
	v_add3_u32 v30, v30, v3, v16
	v_add_u32_e32 v16, 6, v30
	v_and_b32_e32 v3, 0xfffff, v15
	v_add_u32_e32 v60, v3, v14
	v_cmp_ne_u32_e32 vcc, 0, v16
                                        ; implicit-def: $vgpr14_vgpr15
                                        ; implicit-def: $vgpr3
	s_and_saveexec_b64 s[22:23], vcc
	s_xor_b64 s[22:23], exec, s[22:23]
; %bb.4027:                             ;   in Loop: Header=BB6_3657 Depth=2
	v_cmp_lt_u64_e32 vcc, s[76:77], v[60:61]
	v_add_u32_e32 v3, 7, v30
	v_cndmask_b32_e64 v14, 0, 1, vcc
	v_lshrrev_b64 v[14:15], v14, v[60:61]
	v_cndmask_b32_e32 v3, v16, v3, vcc
; %bb.4028:                             ;   in Loop: Header=BB6_3657 Depth=2
	s_andn2_saveexec_b64 s[22:23], s[22:23]
; %bb.4029:                             ;   in Loop: Header=BB6_3657 Depth=2
	v_mov_b32_e32 v14, v60
	v_bfe_u32 v3, v60, 23, 1
	v_mov_b32_e32 v15, v61
; %bb.4030:                             ;   in Loop: Header=BB6_3657 Depth=2
	s_or_b64 exec, exec, s[22:23]
	v_lshrrev_b64 v[14:15], 20, v[14:15]
	v_cmp_gt_i32_e32 vcc, 16, v3
	v_cndmask_b32_e32 v15, 0, v15, vcc
	v_cndmask_b32_e32 v14, 7, v14, vcc
	v_cmp_ne_u64_e32 vcc, 0, v[14:15]
	v_cmp_ne_u32_e64 s[22:23], 0, v3
	s_or_b64 s[22:23], s[22:23], vcc
                                        ; implicit-def: $vgpr52
	s_and_saveexec_b64 vcc, s[22:23]
	s_xor_b64 s[22:23], exec, vcc
; %bb.4031:                             ;   in Loop: Header=BB6_3657 Depth=2
	v_min_i32_e32 v3, 15, v3
	v_lshl_or_b32 v2, v3, 3, v2
	v_and_or_b32 v52, v14, 7, v2
                                        ; implicit-def: $vgpr2
; %bb.4032:                             ;   in Loop: Header=BB6_3657 Depth=2
	s_andn2_saveexec_b64 s[22:23], s[22:23]
; %bb.4033:                             ;   in Loop: Header=BB6_3657 Depth=2
	v_mov_b32_e32 v52, v2
; %bb.4034:                             ;   in Loop: Header=BB6_3657 Depth=2
	s_or_b64 exec, exec, s[22:23]
.LBB6_4035:                             ;   in Loop: Header=BB6_3657 Depth=2
	s_or_b64 exec, exec, s[34:35]
                                        ; implicit-def: $vgpr2
.LBB6_4036:                             ;   in Loop: Header=BB6_3657 Depth=2
	s_andn2_saveexec_b64 s[22:23], s[30:31]
; %bb.4037:                             ;   in Loop: Header=BB6_3657 Depth=2
	v_or_b32_e32 v52, 0x7e, v2
; %bb.4038:                             ;   in Loop: Header=BB6_3657 Depth=2
	s_or_b64 exec, exec, s[22:23]
                                        ; implicit-def: $vgpr3
.LBB6_4039:                             ;   in Loop: Header=BB6_3657 Depth=2
	s_andn2_saveexec_b64 s[22:23], s[94:95]
; %bb.4040:                             ;   in Loop: Header=BB6_3657 Depth=2
	v_or_b32_sdwa v52, v3, s54 dst_sel:DWORD dst_unused:UNUSED_PAD src0_sel:BYTE_3 src1_sel:DWORD
; %bb.4041:                             ;   in Loop: Header=BB6_3657 Depth=2
	s_or_b64 exec, exec, s[22:23]
	v_and_b32_e32 v14, 0xff, v38
	v_cmp_ne_u16_e64 s[22:23], 0, v14
	s_and_b64 vcc, exec, s[20:21]
	s_mov_b64 s[94:95], -1
                                        ; implicit-def: $vgpr3
	s_cbranch_vccnz .LBB6_4055
; %bb.4042:                             ;   in Loop: Header=BB6_3657 Depth=2
	v_mov_b32_e32 v3, 0
	v_mov_b32_e32 v2, 0
	s_and_saveexec_b64 s[94:95], s[22:23]
	s_cbranch_execz .LBB6_4048
; %bb.4043:                             ;   in Loop: Header=BB6_3657 Depth=2
	v_cmp_ne_u16_e32 vcc, s53, v14
	v_bfrev_b32_e32 v2, 1
	s_and_saveexec_b64 s[30:31], vcc
	s_cbranch_execz .LBB6_4047
; %bb.4044:                             ;   in Loop: Header=BB6_3657 Depth=2
	v_and_b32_e32 v15, 0x7f, v38
	v_cmp_ne_u32_e32 vcc, s54, v15
	v_mov_b32_e32 v2, 0x7f800001
	s_and_saveexec_b64 s[34:35], vcc
	s_cbranch_execz .LBB6_4046
; %bb.4045:                             ;   in Loop: Header=BB6_3657 Depth=2
	v_and_b32_e32 v2, 7, v14
	v_lshrrev_b32_e32 v30, 3, v15
	v_cmp_gt_u32_e32 vcc, 8, v15
	v_ffbh_u32_e32 v15, v2
	v_min_u32_e32 v31, 32, v15
	v_subrev_u32_e32 v15, 28, v31
	v_lshlrev_b64 v[15:16], v15, v[14:15]
	v_sub_u32_e32 v16, 29, v31
	v_and_b32_e32 v15, 7, v15
	v_cndmask_b32_e32 v16, v30, v16, vcc
	v_cndmask_b32_e32 v2, v2, v15, vcc
	v_lshlrev_b32_e32 v15, 24, v38
	v_lshlrev_b32_e32 v2, 20, v2
	v_and_b32_e32 v15, 0x80000000, v15
	v_lshl_add_u32 v16, v16, 23, v21
	v_or3_b32 v2, v15, v16, v2
.LBB6_4046:                             ;   in Loop: Header=BB6_3657 Depth=2
	s_or_b64 exec, exec, s[34:35]
.LBB6_4047:                             ;   in Loop: Header=BB6_3657 Depth=2
	s_or_b64 exec, exec, s[30:31]
.LBB6_4048:                             ;   in Loop: Header=BB6_3657 Depth=2
	s_or_b64 exec, exec, s[94:95]
	v_and_b32_e32 v15, 0xff, v55
	v_cmp_ne_u16_e32 vcc, 0, v15
	s_and_saveexec_b64 s[94:95], vcc
	s_cbranch_execz .LBB6_4054
; %bb.4049:                             ;   in Loop: Header=BB6_3657 Depth=2
	v_cmp_ne_u16_e32 vcc, s53, v15
	v_bfrev_b32_e32 v3, 1
	s_and_saveexec_b64 s[30:31], vcc
	s_cbranch_execz .LBB6_4053
; %bb.4050:                             ;   in Loop: Header=BB6_3657 Depth=2
	v_and_b32_e32 v16, 0x7f, v55
	v_cmp_ne_u32_e32 vcc, s54, v16
	v_mov_b32_e32 v3, 0x7f800001
	s_and_saveexec_b64 s[34:35], vcc
	s_cbranch_execz .LBB6_4052
; %bb.4051:                             ;   in Loop: Header=BB6_3657 Depth=2
	v_and_b32_e32 v3, 7, v15
	v_lshrrev_b32_e32 v30, 3, v16
	v_cmp_gt_u32_e32 vcc, 8, v16
	v_ffbh_u32_e32 v16, v3
	v_min_u32_e32 v31, 32, v16
	v_subrev_u32_e32 v16, 28, v31
	v_lshlrev_b64 v[15:16], v16, v[15:16]
	v_sub_u32_e32 v16, 29, v31
	v_and_b32_e32 v15, 7, v15
	v_cndmask_b32_e32 v16, v30, v16, vcc
	v_cndmask_b32_e32 v3, v3, v15, vcc
	v_lshlrev_b32_e32 v15, 24, v55
	v_lshlrev_b32_e32 v3, 20, v3
	v_and_b32_e32 v15, 0x80000000, v15
	v_lshl_add_u32 v16, v16, 23, v21
	v_or3_b32 v3, v15, v16, v3
.LBB6_4052:                             ;   in Loop: Header=BB6_3657 Depth=2
	s_or_b64 exec, exec, s[34:35]
.LBB6_4053:                             ;   in Loop: Header=BB6_3657 Depth=2
	s_or_b64 exec, exec, s[30:31]
.LBB6_4054:                             ;   in Loop: Header=BB6_3657 Depth=2
	s_or_b64 exec, exec, s[94:95]
	v_max_f32_e32 v3, v3, v3
	v_max_f32_e32 v2, v2, v2
	;; [unrolled: 1-line block ×3, first 2 shown]
	s_mov_b64 s[94:95], 0
.LBB6_4055:                             ;   in Loop: Header=BB6_3657 Depth=2
	s_and_b64 vcc, exec, s[94:95]
	s_cbranch_vccz .LBB6_4069
; %bb.4056:                             ;   in Loop: Header=BB6_3657 Depth=2
	v_mov_b32_e32 v3, 0
	v_mov_b32_e32 v2, 0
	s_and_saveexec_b64 s[94:95], s[22:23]
	s_cbranch_execz .LBB6_4062
; %bb.4057:                             ;   in Loop: Header=BB6_3657 Depth=2
	v_cmp_ne_u16_e32 vcc, s53, v14
	v_bfrev_b32_e32 v2, 1
	s_and_saveexec_b64 s[22:23], vcc
	s_cbranch_execz .LBB6_4061
; %bb.4058:                             ;   in Loop: Header=BB6_3657 Depth=2
	v_and_b32_e32 v15, 0x7f, v38
	v_cmp_ne_u32_e32 vcc, s54, v15
	v_mov_b32_e32 v2, 0x7f800001
	s_and_saveexec_b64 s[30:31], vcc
	s_cbranch_execz .LBB6_4060
; %bb.4059:                             ;   in Loop: Header=BB6_3657 Depth=2
	v_and_b32_e32 v2, 7, v14
	v_lshrrev_b32_e32 v16, 3, v15
	v_cmp_gt_u32_e32 vcc, 8, v15
	v_ffbh_u32_e32 v15, v2
	v_min_u32_e32 v30, 32, v15
	v_subrev_u32_e32 v15, 28, v30
	v_lshlrev_b64 v[14:15], v15, v[14:15]
	v_sub_u32_e32 v15, 29, v30
	v_and_b32_e32 v14, 7, v14
	v_cndmask_b32_e32 v15, v16, v15, vcc
	v_cndmask_b32_e32 v2, v2, v14, vcc
	v_lshlrev_b32_e32 v14, 24, v38
	v_lshlrev_b32_e32 v2, 20, v2
	v_and_b32_e32 v14, 0x80000000, v14
	v_lshl_add_u32 v15, v15, 23, v21
	v_or3_b32 v2, v14, v15, v2
.LBB6_4060:                             ;   in Loop: Header=BB6_3657 Depth=2
	s_or_b64 exec, exec, s[30:31]
.LBB6_4061:                             ;   in Loop: Header=BB6_3657 Depth=2
	s_or_b64 exec, exec, s[22:23]
.LBB6_4062:                             ;   in Loop: Header=BB6_3657 Depth=2
	s_or_b64 exec, exec, s[94:95]
	v_and_b32_e32 v14, 0xff, v55
	v_cmp_ne_u16_e32 vcc, 0, v14
	s_and_saveexec_b64 s[22:23], vcc
	s_cbranch_execz .LBB6_4068
; %bb.4063:                             ;   in Loop: Header=BB6_3657 Depth=2
	v_cmp_ne_u16_e32 vcc, s53, v14
	v_bfrev_b32_e32 v3, 1
	s_and_saveexec_b64 s[94:95], vcc
	s_cbranch_execz .LBB6_4067
; %bb.4064:                             ;   in Loop: Header=BB6_3657 Depth=2
	v_and_b32_e32 v15, 0x7f, v55
	v_cmp_ne_u32_e32 vcc, s54, v15
	v_mov_b32_e32 v3, 0x7f800001
	s_and_saveexec_b64 s[30:31], vcc
	s_cbranch_execz .LBB6_4066
; %bb.4065:                             ;   in Loop: Header=BB6_3657 Depth=2
	v_and_b32_e32 v3, 7, v14
	v_lshrrev_b32_e32 v16, 3, v15
	v_cmp_gt_u32_e32 vcc, 8, v15
	v_ffbh_u32_e32 v15, v3
	v_min_u32_e32 v30, 32, v15
	v_subrev_u32_e32 v15, 28, v30
	v_lshlrev_b64 v[14:15], v15, v[14:15]
	v_sub_u32_e32 v15, 29, v30
	v_and_b32_e32 v14, 7, v14
	v_cndmask_b32_e32 v15, v16, v15, vcc
	v_cndmask_b32_e32 v3, v3, v14, vcc
	v_lshlrev_b32_e32 v14, 24, v55
	v_lshlrev_b32_e32 v3, 20, v3
	v_and_b32_e32 v14, 0x80000000, v14
	v_lshl_add_u32 v15, v15, 23, v21
	v_or3_b32 v3, v14, v15, v3
.LBB6_4066:                             ;   in Loop: Header=BB6_3657 Depth=2
	s_or_b64 exec, exec, s[30:31]
.LBB6_4067:                             ;   in Loop: Header=BB6_3657 Depth=2
	s_or_b64 exec, exec, s[94:95]
.LBB6_4068:                             ;   in Loop: Header=BB6_3657 Depth=2
	s_or_b64 exec, exec, s[22:23]
	v_max_f32_e32 v3, v3, v3
	v_max_f32_e32 v2, v2, v2
	v_min_f32_e32 v3, v2, v3
.LBB6_4069:                             ;   in Loop: Header=BB6_3657 Depth=2
	v_and_b32_e32 v60, 0x7f800000, v3
	v_cmp_ne_u64_e32 vcc, s[72:73], v[60:61]
                                        ; implicit-def: $vgpr55
	s_mov_b64 s[22:23], exec
	v_mov_b32_e32 v36, v17
	buffer_load_dword v17, off, s[0:3], s33 offset:104 ; 4-byte Folded Reload
	s_and_b64 vcc, s[22:23], vcc
	s_xor_b64 s[94:95], vcc, s[22:23]
	v_mov_b32_e32 v37, v62
	v_bfrev_b32_e32 v62, 60
	v_mov_b32_e32 v38, v32
	v_mov_b32_e32 v21, v6
	s_mov_b64 exec, vcc
	s_cbranch_execz .LBB6_4087
; %bb.4070:                             ;   in Loop: Header=BB6_3657 Depth=2
	v_and_b32_e32 v60, 0x7fffffff, v3
	v_cmp_gt_u64_e32 vcc, s[74:75], v[60:61]
	v_and_b32_sdwa v2, v3, s53 dst_sel:DWORD dst_unused:UNUSED_PAD src0_sel:BYTE_3 src1_sel:DWORD
                                        ; implicit-def: $vgpr55
	s_and_saveexec_b64 s[22:23], vcc
	s_xor_b64 s[30:31], exec, s[22:23]
	s_cbranch_execz .LBB6_4084
; %bb.4071:                             ;   in Loop: Header=BB6_3657 Depth=2
	v_cmp_ne_u32_e32 vcc, 0, v3
	v_mov_b32_e32 v55, 0
	s_and_saveexec_b64 s[34:35], vcc
	s_cbranch_execz .LBB6_4083
; %bb.4072:                             ;   in Loop: Header=BB6_3657 Depth=2
	v_and_b32_e32 v14, 0x7fffff, v3
	v_bfe_u32 v3, v3, 23, 8
	v_cmp_gt_u32_e64 s[22:23], s64, v3
	v_sub_u32_e32 v15, 0x79, v3
	v_cmp_eq_u32_e32 vcc, 0, v3
	v_cndmask_b32_e64 v15, 0, v15, s[22:23]
	v_mov_b32_e32 v30, 0x78
	v_or_b32_e32 v16, 0x800000, v14
	v_cndmask_b32_e32 v30, v15, v30, vcc
	v_cndmask_b32_e32 v60, v16, v14, vcc
	v_add_u32_e32 v14, 20, v30
	v_lshlrev_b64 v[14:15], v14, -1
	v_add_u32_e32 v16, 19, v30
	v_lshlrev_b64 v[33:34], v16, 1
	v_bfi_b32 v15, v15, 0, 0
	v_bfi_b32 v14, v14, 0, v60
	v_cmp_eq_u64_e64 s[22:23], v[14:15], v[33:34]
	v_lshrrev_b64 v[14:15], v30, v[60:61]
	v_mov_b32_e32 v16, v15
	v_mov_b32_e32 v15, v14
	s_and_saveexec_b64 s[36:37], s[22:23]
; %bb.4073:                             ;   in Loop: Header=BB6_3657 Depth=2
	v_bfe_u32 v15, v14, 20, 1
	v_add_co_u32_e64 v15, s[22:23], v14, v15
	v_add_co_u32_e64 v15, s[22:23], -1, v15
; %bb.4074:                             ;   in Loop: Header=BB6_3657 Depth=2
	s_or_b64 exec, exec, s[36:37]
	v_add_u32_e32 v3, 0xffffff81, v3
	v_cndmask_b32_e32 v3, v3, v41, vcc
	v_lshrrev_b32_e32 v16, 23, v14
	v_add3_u32 v30, v30, v3, v16
	v_add_u32_e32 v16, 6, v30
	v_and_b32_e32 v3, 0xfffff, v15
	v_add_u32_e32 v60, v3, v14
	v_cmp_ne_u32_e32 vcc, 0, v16
                                        ; implicit-def: $vgpr14_vgpr15
                                        ; implicit-def: $vgpr3
	s_and_saveexec_b64 s[22:23], vcc
	s_xor_b64 s[22:23], exec, s[22:23]
; %bb.4075:                             ;   in Loop: Header=BB6_3657 Depth=2
	v_cmp_lt_u64_e32 vcc, s[76:77], v[60:61]
	v_add_u32_e32 v3, 7, v30
	v_cndmask_b32_e64 v14, 0, 1, vcc
	v_lshrrev_b64 v[14:15], v14, v[60:61]
	v_cndmask_b32_e32 v3, v16, v3, vcc
; %bb.4076:                             ;   in Loop: Header=BB6_3657 Depth=2
	s_andn2_saveexec_b64 s[22:23], s[22:23]
; %bb.4077:                             ;   in Loop: Header=BB6_3657 Depth=2
	v_mov_b32_e32 v14, v60
	v_bfe_u32 v3, v60, 23, 1
	v_mov_b32_e32 v15, v61
; %bb.4078:                             ;   in Loop: Header=BB6_3657 Depth=2
	s_or_b64 exec, exec, s[22:23]
	v_lshrrev_b64 v[14:15], 20, v[14:15]
	v_cmp_gt_i32_e32 vcc, 16, v3
	v_cndmask_b32_e32 v15, 0, v15, vcc
	v_cndmask_b32_e32 v14, 7, v14, vcc
	v_cmp_ne_u64_e32 vcc, 0, v[14:15]
	v_cmp_ne_u32_e64 s[22:23], 0, v3
	s_or_b64 s[22:23], s[22:23], vcc
                                        ; implicit-def: $vgpr55
	s_and_saveexec_b64 vcc, s[22:23]
	s_xor_b64 s[22:23], exec, vcc
; %bb.4079:                             ;   in Loop: Header=BB6_3657 Depth=2
	v_min_i32_e32 v3, 15, v3
	v_lshl_or_b32 v2, v3, 3, v2
	v_and_or_b32 v55, v14, 7, v2
                                        ; implicit-def: $vgpr2
; %bb.4080:                             ;   in Loop: Header=BB6_3657 Depth=2
	s_andn2_saveexec_b64 s[22:23], s[22:23]
; %bb.4081:                             ;   in Loop: Header=BB6_3657 Depth=2
	v_mov_b32_e32 v55, v2
; %bb.4082:                             ;   in Loop: Header=BB6_3657 Depth=2
	s_or_b64 exec, exec, s[22:23]
.LBB6_4083:                             ;   in Loop: Header=BB6_3657 Depth=2
	s_or_b64 exec, exec, s[34:35]
                                        ; implicit-def: $vgpr2
.LBB6_4084:                             ;   in Loop: Header=BB6_3657 Depth=2
	s_andn2_saveexec_b64 s[22:23], s[30:31]
; %bb.4085:                             ;   in Loop: Header=BB6_3657 Depth=2
	v_or_b32_e32 v55, 0x7e, v2
; %bb.4086:                             ;   in Loop: Header=BB6_3657 Depth=2
	s_or_b64 exec, exec, s[22:23]
                                        ; implicit-def: $vgpr3
.LBB6_4087:                             ;   in Loop: Header=BB6_3657 Depth=2
	s_andn2_saveexec_b64 s[22:23], s[94:95]
; %bb.4088:                             ;   in Loop: Header=BB6_3657 Depth=2
	v_or_b32_sdwa v55, v3, s54 dst_sel:DWORD dst_unused:UNUSED_PAD src0_sel:BYTE_3 src1_sel:DWORD
; %bb.4089:                             ;   in Loop: Header=BB6_3657 Depth=2
	s_or_b64 exec, exec, s[22:23]
	v_and_b32_e32 v14, 0xff, v28
	v_cmp_ne_u16_e64 s[22:23], 0, v14
	s_and_b64 vcc, exec, s[20:21]
	s_mov_b64 s[94:95], -1
                                        ; implicit-def: $vgpr3
	s_cbranch_vccnz .LBB6_4103
; %bb.4090:                             ;   in Loop: Header=BB6_3657 Depth=2
	v_mov_b32_e32 v3, 0
	v_mov_b32_e32 v2, 0
	s_and_saveexec_b64 s[94:95], s[22:23]
	s_cbranch_execz .LBB6_4096
; %bb.4091:                             ;   in Loop: Header=BB6_3657 Depth=2
	v_cmp_ne_u16_e32 vcc, s53, v14
	v_bfrev_b32_e32 v2, 1
	s_and_saveexec_b64 s[30:31], vcc
	s_cbranch_execz .LBB6_4095
; %bb.4092:                             ;   in Loop: Header=BB6_3657 Depth=2
	v_and_b32_e32 v15, 0x7f, v28
	v_cmp_ne_u32_e32 vcc, s54, v15
	v_mov_b32_e32 v2, 0x7f800001
	s_and_saveexec_b64 s[34:35], vcc
	s_cbranch_execz .LBB6_4094
; %bb.4093:                             ;   in Loop: Header=BB6_3657 Depth=2
	v_and_b32_e32 v2, 7, v14
	v_lshrrev_b32_e32 v30, 3, v15
	v_cmp_gt_u32_e32 vcc, 8, v15
	v_ffbh_u32_e32 v15, v2
	v_min_u32_e32 v31, 32, v15
	v_subrev_u32_e32 v15, 28, v31
	v_lshlrev_b64 v[15:16], v15, v[14:15]
	v_sub_u32_e32 v16, 29, v31
	v_and_b32_e32 v15, 7, v15
	v_cndmask_b32_e32 v16, v30, v16, vcc
	v_cndmask_b32_e32 v2, v2, v15, vcc
	v_lshlrev_b32_e32 v15, 24, v28
	v_lshlrev_b32_e32 v2, 20, v2
	v_and_b32_e32 v15, 0x80000000, v15
	v_lshl_add_u32 v16, v16, 23, v62
	v_or3_b32 v2, v15, v16, v2
.LBB6_4094:                             ;   in Loop: Header=BB6_3657 Depth=2
	s_or_b64 exec, exec, s[34:35]
.LBB6_4095:                             ;   in Loop: Header=BB6_3657 Depth=2
	s_or_b64 exec, exec, s[30:31]
.LBB6_4096:                             ;   in Loop: Header=BB6_3657 Depth=2
	s_or_b64 exec, exec, s[94:95]
	v_and_b32_e32 v15, 0xff, v44
	v_cmp_ne_u16_e32 vcc, 0, v15
	s_and_saveexec_b64 s[94:95], vcc
	s_cbranch_execz .LBB6_4102
; %bb.4097:                             ;   in Loop: Header=BB6_3657 Depth=2
	v_cmp_ne_u16_e32 vcc, s53, v15
	v_bfrev_b32_e32 v3, 1
	s_and_saveexec_b64 s[30:31], vcc
	s_cbranch_execz .LBB6_4101
; %bb.4098:                             ;   in Loop: Header=BB6_3657 Depth=2
	v_and_b32_e32 v16, 0x7f, v44
	v_cmp_ne_u32_e32 vcc, s54, v16
	v_mov_b32_e32 v3, 0x7f800001
	s_and_saveexec_b64 s[34:35], vcc
	s_cbranch_execz .LBB6_4100
; %bb.4099:                             ;   in Loop: Header=BB6_3657 Depth=2
	v_and_b32_e32 v3, 7, v15
	v_lshrrev_b32_e32 v30, 3, v16
	v_cmp_gt_u32_e32 vcc, 8, v16
	v_ffbh_u32_e32 v16, v3
	v_min_u32_e32 v31, 32, v16
	v_subrev_u32_e32 v16, 28, v31
	v_lshlrev_b64 v[15:16], v16, v[15:16]
	v_sub_u32_e32 v16, 29, v31
	v_and_b32_e32 v15, 7, v15
	v_cndmask_b32_e32 v16, v30, v16, vcc
	v_cndmask_b32_e32 v3, v3, v15, vcc
	v_lshlrev_b32_e32 v15, 24, v44
	v_lshlrev_b32_e32 v3, 20, v3
	v_and_b32_e32 v15, 0x80000000, v15
	v_lshl_add_u32 v16, v16, 23, v62
	v_or3_b32 v3, v15, v16, v3
.LBB6_4100:                             ;   in Loop: Header=BB6_3657 Depth=2
	s_or_b64 exec, exec, s[34:35]
.LBB6_4101:                             ;   in Loop: Header=BB6_3657 Depth=2
	s_or_b64 exec, exec, s[30:31]
.LBB6_4102:                             ;   in Loop: Header=BB6_3657 Depth=2
	s_or_b64 exec, exec, s[94:95]
	v_max_f32_e32 v3, v3, v3
	v_max_f32_e32 v2, v2, v2
	;; [unrolled: 1-line block ×3, first 2 shown]
	s_mov_b64 s[94:95], 0
.LBB6_4103:                             ;   in Loop: Header=BB6_3657 Depth=2
	s_and_b64 vcc, exec, s[94:95]
	s_cbranch_vccz .LBB6_4117
; %bb.4104:                             ;   in Loop: Header=BB6_3657 Depth=2
	v_mov_b32_e32 v3, 0
	v_mov_b32_e32 v2, 0
	s_and_saveexec_b64 s[94:95], s[22:23]
	s_cbranch_execz .LBB6_4110
; %bb.4105:                             ;   in Loop: Header=BB6_3657 Depth=2
	v_cmp_ne_u16_e32 vcc, s53, v14
	v_bfrev_b32_e32 v2, 1
	s_and_saveexec_b64 s[22:23], vcc
	s_cbranch_execz .LBB6_4109
; %bb.4106:                             ;   in Loop: Header=BB6_3657 Depth=2
	v_and_b32_e32 v15, 0x7f, v28
	v_cmp_ne_u32_e32 vcc, s54, v15
	v_mov_b32_e32 v2, 0x7f800001
	s_and_saveexec_b64 s[30:31], vcc
	s_cbranch_execz .LBB6_4108
; %bb.4107:                             ;   in Loop: Header=BB6_3657 Depth=2
	v_and_b32_e32 v2, 7, v14
	v_lshrrev_b32_e32 v16, 3, v15
	v_cmp_gt_u32_e32 vcc, 8, v15
	v_ffbh_u32_e32 v15, v2
	v_min_u32_e32 v30, 32, v15
	v_subrev_u32_e32 v15, 28, v30
	v_lshlrev_b64 v[14:15], v15, v[14:15]
	v_sub_u32_e32 v15, 29, v30
	v_and_b32_e32 v14, 7, v14
	v_cndmask_b32_e32 v15, v16, v15, vcc
	v_cndmask_b32_e32 v2, v2, v14, vcc
	v_lshlrev_b32_e32 v14, 24, v28
	v_lshlrev_b32_e32 v2, 20, v2
	v_and_b32_e32 v14, 0x80000000, v14
	v_lshl_add_u32 v15, v15, 23, v62
	v_or3_b32 v2, v14, v15, v2
.LBB6_4108:                             ;   in Loop: Header=BB6_3657 Depth=2
	s_or_b64 exec, exec, s[30:31]
.LBB6_4109:                             ;   in Loop: Header=BB6_3657 Depth=2
	s_or_b64 exec, exec, s[22:23]
.LBB6_4110:                             ;   in Loop: Header=BB6_3657 Depth=2
	s_or_b64 exec, exec, s[94:95]
	v_and_b32_e32 v14, 0xff, v44
	v_cmp_ne_u16_e32 vcc, 0, v14
	s_and_saveexec_b64 s[22:23], vcc
	s_cbranch_execz .LBB6_4116
; %bb.4111:                             ;   in Loop: Header=BB6_3657 Depth=2
	v_cmp_ne_u16_e32 vcc, s53, v14
	v_bfrev_b32_e32 v3, 1
	s_and_saveexec_b64 s[94:95], vcc
	s_cbranch_execz .LBB6_4115
; %bb.4112:                             ;   in Loop: Header=BB6_3657 Depth=2
	v_and_b32_e32 v15, 0x7f, v44
	v_cmp_ne_u32_e32 vcc, s54, v15
	v_mov_b32_e32 v3, 0x7f800001
	s_and_saveexec_b64 s[30:31], vcc
	s_cbranch_execz .LBB6_4114
; %bb.4113:                             ;   in Loop: Header=BB6_3657 Depth=2
	v_and_b32_e32 v3, 7, v14
	v_lshrrev_b32_e32 v16, 3, v15
	v_cmp_gt_u32_e32 vcc, 8, v15
	v_ffbh_u32_e32 v15, v3
	v_min_u32_e32 v28, 32, v15
	v_subrev_u32_e32 v15, 28, v28
	v_lshlrev_b64 v[14:15], v15, v[14:15]
	v_sub_u32_e32 v15, 29, v28
	v_and_b32_e32 v14, 7, v14
	v_cndmask_b32_e32 v15, v16, v15, vcc
	v_cndmask_b32_e32 v3, v3, v14, vcc
	v_lshlrev_b32_e32 v14, 24, v44
	v_lshlrev_b32_e32 v3, 20, v3
	v_and_b32_e32 v14, 0x80000000, v14
	v_lshl_add_u32 v15, v15, 23, v62
	v_or3_b32 v3, v14, v15, v3
.LBB6_4114:                             ;   in Loop: Header=BB6_3657 Depth=2
	s_or_b64 exec, exec, s[30:31]
.LBB6_4115:                             ;   in Loop: Header=BB6_3657 Depth=2
	s_or_b64 exec, exec, s[94:95]
.LBB6_4116:                             ;   in Loop: Header=BB6_3657 Depth=2
	s_or_b64 exec, exec, s[22:23]
	v_max_f32_e32 v3, v3, v3
	v_max_f32_e32 v2, v2, v2
	v_min_f32_e32 v3, v2, v3
.LBB6_4117:                             ;   in Loop: Header=BB6_3657 Depth=2
	v_and_b32_e32 v60, 0x7f800000, v3
	v_cmp_ne_u64_e32 vcc, s[72:73], v[60:61]
                                        ; implicit-def: $vgpr44
	s_and_saveexec_b64 s[22:23], vcc
	s_xor_b64 s[94:95], exec, s[22:23]
	s_cbranch_execz .LBB6_4135
; %bb.4118:                             ;   in Loop: Header=BB6_3657 Depth=2
	v_and_b32_e32 v60, 0x7fffffff, v3
	v_cmp_gt_u64_e32 vcc, s[74:75], v[60:61]
	v_and_b32_sdwa v2, v3, s53 dst_sel:DWORD dst_unused:UNUSED_PAD src0_sel:BYTE_3 src1_sel:DWORD
                                        ; implicit-def: $vgpr44
	s_and_saveexec_b64 s[22:23], vcc
	s_xor_b64 s[30:31], exec, s[22:23]
	s_cbranch_execz .LBB6_4132
; %bb.4119:                             ;   in Loop: Header=BB6_3657 Depth=2
	v_cmp_ne_u32_e32 vcc, 0, v3
	v_mov_b32_e32 v44, 0
	s_and_saveexec_b64 s[34:35], vcc
	s_cbranch_execz .LBB6_4131
; %bb.4120:                             ;   in Loop: Header=BB6_3657 Depth=2
	v_and_b32_e32 v14, 0x7fffff, v3
	v_bfe_u32 v3, v3, 23, 8
	v_cmp_gt_u32_e64 s[22:23], s64, v3
	v_sub_u32_e32 v15, 0x79, v3
	v_cmp_eq_u32_e32 vcc, 0, v3
	v_cndmask_b32_e64 v15, 0, v15, s[22:23]
	v_mov_b32_e32 v28, 0x78
	v_or_b32_e32 v16, 0x800000, v14
	v_cndmask_b32_e32 v28, v15, v28, vcc
	v_cndmask_b32_e32 v60, v16, v14, vcc
	v_add_u32_e32 v14, 20, v28
	v_lshlrev_b64 v[14:15], v14, -1
	v_add_u32_e32 v16, 19, v28
	v_lshlrev_b64 v[30:31], v16, 1
	v_bfi_b32 v15, v15, 0, 0
	v_bfi_b32 v14, v14, 0, v60
	v_cmp_eq_u64_e64 s[22:23], v[14:15], v[30:31]
	v_lshrrev_b64 v[14:15], v28, v[60:61]
	v_mov_b32_e32 v16, v15
	v_mov_b32_e32 v15, v14
	s_and_saveexec_b64 s[36:37], s[22:23]
; %bb.4121:                             ;   in Loop: Header=BB6_3657 Depth=2
	v_bfe_u32 v15, v14, 20, 1
	v_add_co_u32_e64 v15, s[22:23], v14, v15
	v_add_co_u32_e64 v15, s[22:23], -1, v15
; %bb.4122:                             ;   in Loop: Header=BB6_3657 Depth=2
	s_or_b64 exec, exec, s[36:37]
	v_add_u32_e32 v3, 0xffffff81, v3
	v_cndmask_b32_e32 v3, v3, v41, vcc
	v_lshrrev_b32_e32 v16, 23, v14
	v_add3_u32 v28, v28, v3, v16
	v_add_u32_e32 v16, 6, v28
	v_and_b32_e32 v3, 0xfffff, v15
	v_add_u32_e32 v60, v3, v14
	v_cmp_ne_u32_e32 vcc, 0, v16
                                        ; implicit-def: $vgpr14_vgpr15
                                        ; implicit-def: $vgpr3
	s_and_saveexec_b64 s[22:23], vcc
	s_xor_b64 s[22:23], exec, s[22:23]
; %bb.4123:                             ;   in Loop: Header=BB6_3657 Depth=2
	v_cmp_lt_u64_e32 vcc, s[76:77], v[60:61]
	v_add_u32_e32 v3, 7, v28
	v_cndmask_b32_e64 v14, 0, 1, vcc
	v_lshrrev_b64 v[14:15], v14, v[60:61]
	v_cndmask_b32_e32 v3, v16, v3, vcc
; %bb.4124:                             ;   in Loop: Header=BB6_3657 Depth=2
	s_andn2_saveexec_b64 s[22:23], s[22:23]
; %bb.4125:                             ;   in Loop: Header=BB6_3657 Depth=2
	v_mov_b32_e32 v14, v60
	v_bfe_u32 v3, v60, 23, 1
	v_mov_b32_e32 v15, v61
; %bb.4126:                             ;   in Loop: Header=BB6_3657 Depth=2
	s_or_b64 exec, exec, s[22:23]
	v_lshrrev_b64 v[14:15], 20, v[14:15]
	v_cmp_gt_i32_e32 vcc, 16, v3
	v_cndmask_b32_e32 v15, 0, v15, vcc
	v_cndmask_b32_e32 v14, 7, v14, vcc
	v_cmp_ne_u64_e32 vcc, 0, v[14:15]
	v_cmp_ne_u32_e64 s[22:23], 0, v3
	s_or_b64 s[22:23], s[22:23], vcc
                                        ; implicit-def: $vgpr44
	s_and_saveexec_b64 vcc, s[22:23]
	s_xor_b64 s[22:23], exec, vcc
; %bb.4127:                             ;   in Loop: Header=BB6_3657 Depth=2
	v_min_i32_e32 v3, 15, v3
	v_lshl_or_b32 v2, v3, 3, v2
	v_and_or_b32 v44, v14, 7, v2
                                        ; implicit-def: $vgpr2
; %bb.4128:                             ;   in Loop: Header=BB6_3657 Depth=2
	s_andn2_saveexec_b64 s[22:23], s[22:23]
; %bb.4129:                             ;   in Loop: Header=BB6_3657 Depth=2
	v_mov_b32_e32 v44, v2
; %bb.4130:                             ;   in Loop: Header=BB6_3657 Depth=2
	s_or_b64 exec, exec, s[22:23]
.LBB6_4131:                             ;   in Loop: Header=BB6_3657 Depth=2
	s_or_b64 exec, exec, s[34:35]
                                        ; implicit-def: $vgpr2
.LBB6_4132:                             ;   in Loop: Header=BB6_3657 Depth=2
	s_andn2_saveexec_b64 s[22:23], s[30:31]
; %bb.4133:                             ;   in Loop: Header=BB6_3657 Depth=2
	v_or_b32_e32 v44, 0x7e, v2
; %bb.4134:                             ;   in Loop: Header=BB6_3657 Depth=2
	s_or_b64 exec, exec, s[22:23]
                                        ; implicit-def: $vgpr3
.LBB6_4135:                             ;   in Loop: Header=BB6_3657 Depth=2
	s_andn2_saveexec_b64 s[22:23], s[94:95]
; %bb.4136:                             ;   in Loop: Header=BB6_3657 Depth=2
	v_or_b32_sdwa v44, v3, s54 dst_sel:DWORD dst_unused:UNUSED_PAD src0_sel:BYTE_3 src1_sel:DWORD
; %bb.4137:                             ;   in Loop: Header=BB6_3657 Depth=2
	s_or_b64 exec, exec, s[22:23]
	v_and_b32_e32 v14, 0xff, v27
	v_cmp_ne_u16_e64 s[22:23], 0, v14
	s_and_b64 vcc, exec, s[20:21]
	s_mov_b64 s[94:95], -1
                                        ; implicit-def: $vgpr3
	s_cbranch_vccnz .LBB6_4151
; %bb.4138:                             ;   in Loop: Header=BB6_3657 Depth=2
	v_mov_b32_e32 v3, 0
	v_mov_b32_e32 v2, 0
	s_and_saveexec_b64 s[94:95], s[22:23]
	s_cbranch_execz .LBB6_4144
; %bb.4139:                             ;   in Loop: Header=BB6_3657 Depth=2
	v_cmp_ne_u16_e32 vcc, s53, v14
	v_bfrev_b32_e32 v2, 1
	s_and_saveexec_b64 s[30:31], vcc
	s_cbranch_execz .LBB6_4143
; %bb.4140:                             ;   in Loop: Header=BB6_3657 Depth=2
	v_and_b32_e32 v15, 0x7f, v27
	v_cmp_ne_u32_e32 vcc, s54, v15
	v_mov_b32_e32 v2, 0x7f800001
	s_and_saveexec_b64 s[34:35], vcc
	s_cbranch_execz .LBB6_4142
; %bb.4141:                             ;   in Loop: Header=BB6_3657 Depth=2
	v_and_b32_e32 v2, 7, v14
	v_lshrrev_b32_e32 v28, 3, v15
	v_cmp_gt_u32_e32 vcc, 8, v15
	v_ffbh_u32_e32 v15, v2
	v_min_u32_e32 v30, 32, v15
	v_subrev_u32_e32 v15, 28, v30
	v_lshlrev_b64 v[15:16], v15, v[14:15]
	v_sub_u32_e32 v16, 29, v30
	v_and_b32_e32 v15, 7, v15
	v_cndmask_b32_e32 v16, v28, v16, vcc
	v_cndmask_b32_e32 v2, v2, v15, vcc
	v_lshlrev_b32_e32 v15, 24, v27
	v_lshlrev_b32_e32 v2, 20, v2
	v_and_b32_e32 v15, 0x80000000, v15
	v_lshl_add_u32 v16, v16, 23, v62
	v_or3_b32 v2, v15, v16, v2
.LBB6_4142:                             ;   in Loop: Header=BB6_3657 Depth=2
	s_or_b64 exec, exec, s[34:35]
.LBB6_4143:                             ;   in Loop: Header=BB6_3657 Depth=2
	s_or_b64 exec, exec, s[30:31]
.LBB6_4144:                             ;   in Loop: Header=BB6_3657 Depth=2
	s_or_b64 exec, exec, s[94:95]
	v_and_b32_e32 v15, 0xff, v59
	v_cmp_ne_u16_e32 vcc, 0, v15
	s_and_saveexec_b64 s[94:95], vcc
	s_cbranch_execz .LBB6_4150
; %bb.4145:                             ;   in Loop: Header=BB6_3657 Depth=2
	v_cmp_ne_u16_e32 vcc, s53, v15
	v_bfrev_b32_e32 v3, 1
	s_and_saveexec_b64 s[30:31], vcc
	s_cbranch_execz .LBB6_4149
; %bb.4146:                             ;   in Loop: Header=BB6_3657 Depth=2
	v_and_b32_e32 v16, 0x7f, v59
	v_cmp_ne_u32_e32 vcc, s54, v16
	v_mov_b32_e32 v3, 0x7f800001
	s_and_saveexec_b64 s[34:35], vcc
	s_cbranch_execz .LBB6_4148
; %bb.4147:                             ;   in Loop: Header=BB6_3657 Depth=2
	v_and_b32_e32 v3, 7, v15
	v_lshrrev_b32_e32 v28, 3, v16
	v_cmp_gt_u32_e32 vcc, 8, v16
	v_ffbh_u32_e32 v16, v3
	v_min_u32_e32 v30, 32, v16
	v_subrev_u32_e32 v16, 28, v30
	v_lshlrev_b64 v[15:16], v16, v[15:16]
	v_sub_u32_e32 v16, 29, v30
	v_and_b32_e32 v15, 7, v15
	v_cndmask_b32_e32 v16, v28, v16, vcc
	v_cndmask_b32_e32 v3, v3, v15, vcc
	v_lshlrev_b32_e32 v15, 24, v59
	v_lshlrev_b32_e32 v3, 20, v3
	v_and_b32_e32 v15, 0x80000000, v15
	v_lshl_add_u32 v16, v16, 23, v62
	v_or3_b32 v3, v15, v16, v3
.LBB6_4148:                             ;   in Loop: Header=BB6_3657 Depth=2
	s_or_b64 exec, exec, s[34:35]
.LBB6_4149:                             ;   in Loop: Header=BB6_3657 Depth=2
	s_or_b64 exec, exec, s[30:31]
.LBB6_4150:                             ;   in Loop: Header=BB6_3657 Depth=2
	s_or_b64 exec, exec, s[94:95]
	v_max_f32_e32 v3, v3, v3
	v_max_f32_e32 v2, v2, v2
	;; [unrolled: 1-line block ×3, first 2 shown]
	s_mov_b64 s[94:95], 0
.LBB6_4151:                             ;   in Loop: Header=BB6_3657 Depth=2
	s_and_b64 vcc, exec, s[94:95]
	s_cbranch_vccz .LBB6_4165
; %bb.4152:                             ;   in Loop: Header=BB6_3657 Depth=2
	v_mov_b32_e32 v3, 0
	v_mov_b32_e32 v2, 0
	s_and_saveexec_b64 s[94:95], s[22:23]
	s_cbranch_execz .LBB6_4158
; %bb.4153:                             ;   in Loop: Header=BB6_3657 Depth=2
	v_cmp_ne_u16_e32 vcc, s53, v14
	v_bfrev_b32_e32 v2, 1
	s_and_saveexec_b64 s[22:23], vcc
	s_cbranch_execz .LBB6_4157
; %bb.4154:                             ;   in Loop: Header=BB6_3657 Depth=2
	v_and_b32_e32 v15, 0x7f, v27
	v_cmp_ne_u32_e32 vcc, s54, v15
	v_mov_b32_e32 v2, 0x7f800001
	s_and_saveexec_b64 s[30:31], vcc
	s_cbranch_execz .LBB6_4156
; %bb.4155:                             ;   in Loop: Header=BB6_3657 Depth=2
	v_and_b32_e32 v2, 7, v14
	v_lshrrev_b32_e32 v16, 3, v15
	v_cmp_gt_u32_e32 vcc, 8, v15
	v_ffbh_u32_e32 v15, v2
	v_min_u32_e32 v28, 32, v15
	v_subrev_u32_e32 v15, 28, v28
	v_lshlrev_b64 v[14:15], v15, v[14:15]
	v_sub_u32_e32 v15, 29, v28
	v_and_b32_e32 v14, 7, v14
	v_cndmask_b32_e32 v15, v16, v15, vcc
	v_cndmask_b32_e32 v2, v2, v14, vcc
	v_lshlrev_b32_e32 v14, 24, v27
	v_lshlrev_b32_e32 v2, 20, v2
	v_and_b32_e32 v14, 0x80000000, v14
	v_lshl_add_u32 v15, v15, 23, v62
	v_or3_b32 v2, v14, v15, v2
.LBB6_4156:                             ;   in Loop: Header=BB6_3657 Depth=2
	s_or_b64 exec, exec, s[30:31]
.LBB6_4157:                             ;   in Loop: Header=BB6_3657 Depth=2
	s_or_b64 exec, exec, s[22:23]
.LBB6_4158:                             ;   in Loop: Header=BB6_3657 Depth=2
	s_or_b64 exec, exec, s[94:95]
	v_and_b32_e32 v14, 0xff, v59
	v_cmp_ne_u16_e32 vcc, 0, v14
	s_and_saveexec_b64 s[22:23], vcc
	s_cbranch_execz .LBB6_4164
; %bb.4159:                             ;   in Loop: Header=BB6_3657 Depth=2
	v_cmp_ne_u16_e32 vcc, s53, v14
	v_bfrev_b32_e32 v3, 1
	s_and_saveexec_b64 s[94:95], vcc
	s_cbranch_execz .LBB6_4163
; %bb.4160:                             ;   in Loop: Header=BB6_3657 Depth=2
	v_and_b32_e32 v15, 0x7f, v59
	v_cmp_ne_u32_e32 vcc, s54, v15
	v_mov_b32_e32 v3, 0x7f800001
	s_and_saveexec_b64 s[30:31], vcc
	s_cbranch_execz .LBB6_4162
; %bb.4161:                             ;   in Loop: Header=BB6_3657 Depth=2
	v_and_b32_e32 v3, 7, v14
	v_lshrrev_b32_e32 v16, 3, v15
	v_cmp_gt_u32_e32 vcc, 8, v15
	v_ffbh_u32_e32 v15, v3
	v_min_u32_e32 v27, 32, v15
	v_subrev_u32_e32 v15, 28, v27
	v_lshlrev_b64 v[14:15], v15, v[14:15]
	v_sub_u32_e32 v15, 29, v27
	v_and_b32_e32 v14, 7, v14
	v_cndmask_b32_e32 v15, v16, v15, vcc
	v_cndmask_b32_e32 v3, v3, v14, vcc
	v_lshlrev_b32_e32 v14, 24, v59
	v_lshlrev_b32_e32 v3, 20, v3
	v_and_b32_e32 v14, 0x80000000, v14
	v_lshl_add_u32 v15, v15, 23, v62
	v_or3_b32 v3, v14, v15, v3
.LBB6_4162:                             ;   in Loop: Header=BB6_3657 Depth=2
	s_or_b64 exec, exec, s[30:31]
.LBB6_4163:                             ;   in Loop: Header=BB6_3657 Depth=2
	s_or_b64 exec, exec, s[94:95]
.LBB6_4164:                             ;   in Loop: Header=BB6_3657 Depth=2
	s_or_b64 exec, exec, s[22:23]
	v_max_f32_e32 v3, v3, v3
	v_max_f32_e32 v2, v2, v2
	v_min_f32_e32 v3, v2, v3
.LBB6_4165:                             ;   in Loop: Header=BB6_3657 Depth=2
	v_and_b32_e32 v60, 0x7f800000, v3
	v_cmp_ne_u64_e32 vcc, s[72:73], v[60:61]
                                        ; implicit-def: $vgpr59
	s_and_saveexec_b64 s[22:23], vcc
	s_xor_b64 s[94:95], exec, s[22:23]
	s_cbranch_execz .LBB6_4183
; %bb.4166:                             ;   in Loop: Header=BB6_3657 Depth=2
	v_and_b32_e32 v60, 0x7fffffff, v3
	v_cmp_gt_u64_e32 vcc, s[74:75], v[60:61]
	v_and_b32_sdwa v2, v3, s53 dst_sel:DWORD dst_unused:UNUSED_PAD src0_sel:BYTE_3 src1_sel:DWORD
                                        ; implicit-def: $vgpr59
	s_and_saveexec_b64 s[22:23], vcc
	s_xor_b64 s[30:31], exec, s[22:23]
	s_cbranch_execz .LBB6_4180
; %bb.4167:                             ;   in Loop: Header=BB6_3657 Depth=2
	v_cmp_ne_u32_e32 vcc, 0, v3
	v_mov_b32_e32 v59, 0
	s_and_saveexec_b64 s[34:35], vcc
	s_cbranch_execz .LBB6_4179
; %bb.4168:                             ;   in Loop: Header=BB6_3657 Depth=2
	v_and_b32_e32 v14, 0x7fffff, v3
	v_bfe_u32 v3, v3, 23, 8
	v_cmp_gt_u32_e64 s[22:23], s64, v3
	v_sub_u32_e32 v15, 0x79, v3
	v_cmp_eq_u32_e32 vcc, 0, v3
	v_cndmask_b32_e64 v15, 0, v15, s[22:23]
	v_mov_b32_e32 v27, 0x78
	v_or_b32_e32 v16, 0x800000, v14
	v_cndmask_b32_e32 v27, v15, v27, vcc
	v_cndmask_b32_e32 v60, v16, v14, vcc
	v_add_u32_e32 v14, 20, v27
	v_lshlrev_b64 v[14:15], v14, -1
	v_add_u32_e32 v16, 19, v27
	v_lshlrev_b64 v[30:31], v16, 1
	v_bfi_b32 v15, v15, 0, 0
	v_bfi_b32 v14, v14, 0, v60
	v_cmp_eq_u64_e64 s[22:23], v[14:15], v[30:31]
	v_lshrrev_b64 v[14:15], v27, v[60:61]
	v_mov_b32_e32 v16, v15
	v_mov_b32_e32 v15, v14
	s_and_saveexec_b64 s[36:37], s[22:23]
; %bb.4169:                             ;   in Loop: Header=BB6_3657 Depth=2
	v_bfe_u32 v15, v14, 20, 1
	v_add_co_u32_e64 v15, s[22:23], v14, v15
	v_add_co_u32_e64 v15, s[22:23], -1, v15
; %bb.4170:                             ;   in Loop: Header=BB6_3657 Depth=2
	s_or_b64 exec, exec, s[36:37]
	v_add_u32_e32 v3, 0xffffff81, v3
	v_cndmask_b32_e32 v3, v3, v41, vcc
	v_lshrrev_b32_e32 v16, 23, v14
	v_add3_u32 v27, v27, v3, v16
	v_add_u32_e32 v16, 6, v27
	v_and_b32_e32 v3, 0xfffff, v15
	v_add_u32_e32 v60, v3, v14
	v_cmp_ne_u32_e32 vcc, 0, v16
                                        ; implicit-def: $vgpr14_vgpr15
                                        ; implicit-def: $vgpr3
	s_and_saveexec_b64 s[22:23], vcc
	s_xor_b64 s[22:23], exec, s[22:23]
; %bb.4171:                             ;   in Loop: Header=BB6_3657 Depth=2
	v_cmp_lt_u64_e32 vcc, s[76:77], v[60:61]
	v_add_u32_e32 v3, 7, v27
	v_cndmask_b32_e64 v14, 0, 1, vcc
	v_lshrrev_b64 v[14:15], v14, v[60:61]
	v_cndmask_b32_e32 v3, v16, v3, vcc
; %bb.4172:                             ;   in Loop: Header=BB6_3657 Depth=2
	s_andn2_saveexec_b64 s[22:23], s[22:23]
; %bb.4173:                             ;   in Loop: Header=BB6_3657 Depth=2
	v_mov_b32_e32 v14, v60
	v_bfe_u32 v3, v60, 23, 1
	v_mov_b32_e32 v15, v61
; %bb.4174:                             ;   in Loop: Header=BB6_3657 Depth=2
	s_or_b64 exec, exec, s[22:23]
	v_lshrrev_b64 v[14:15], 20, v[14:15]
	v_cmp_gt_i32_e32 vcc, 16, v3
	v_cndmask_b32_e32 v15, 0, v15, vcc
	v_cndmask_b32_e32 v14, 7, v14, vcc
	v_cmp_ne_u64_e32 vcc, 0, v[14:15]
	v_cmp_ne_u32_e64 s[22:23], 0, v3
	s_or_b64 s[22:23], s[22:23], vcc
                                        ; implicit-def: $vgpr59
	s_and_saveexec_b64 vcc, s[22:23]
	s_xor_b64 s[22:23], exec, vcc
; %bb.4175:                             ;   in Loop: Header=BB6_3657 Depth=2
	v_min_i32_e32 v3, 15, v3
	v_lshl_or_b32 v2, v3, 3, v2
	v_and_or_b32 v59, v14, 7, v2
                                        ; implicit-def: $vgpr2
; %bb.4176:                             ;   in Loop: Header=BB6_3657 Depth=2
	s_andn2_saveexec_b64 s[22:23], s[22:23]
; %bb.4177:                             ;   in Loop: Header=BB6_3657 Depth=2
	v_mov_b32_e32 v59, v2
; %bb.4178:                             ;   in Loop: Header=BB6_3657 Depth=2
	s_or_b64 exec, exec, s[22:23]
.LBB6_4179:                             ;   in Loop: Header=BB6_3657 Depth=2
	s_or_b64 exec, exec, s[34:35]
                                        ; implicit-def: $vgpr2
.LBB6_4180:                             ;   in Loop: Header=BB6_3657 Depth=2
	s_andn2_saveexec_b64 s[22:23], s[30:31]
; %bb.4181:                             ;   in Loop: Header=BB6_3657 Depth=2
	v_or_b32_e32 v59, 0x7e, v2
; %bb.4182:                             ;   in Loop: Header=BB6_3657 Depth=2
	s_or_b64 exec, exec, s[22:23]
                                        ; implicit-def: $vgpr3
.LBB6_4183:                             ;   in Loop: Header=BB6_3657 Depth=2
	s_andn2_saveexec_b64 s[22:23], s[94:95]
; %bb.4184:                             ;   in Loop: Header=BB6_3657 Depth=2
	v_or_b32_sdwa v59, v3, s54 dst_sel:DWORD dst_unused:UNUSED_PAD src0_sel:BYTE_3 src1_sel:DWORD
; %bb.4185:                             ;   in Loop: Header=BB6_3657 Depth=2
	s_or_b64 exec, exec, s[22:23]
	v_and_b32_e32 v14, 0xff, v35
	v_cmp_ne_u16_e64 s[22:23], 0, v14
	s_and_b64 vcc, exec, s[20:21]
	s_mov_b64 s[94:95], -1
                                        ; implicit-def: $vgpr3
	s_cbranch_vccnz .LBB6_4199
; %bb.4186:                             ;   in Loop: Header=BB6_3657 Depth=2
	v_mov_b32_e32 v3, 0
	v_mov_b32_e32 v2, 0
	s_and_saveexec_b64 s[94:95], s[22:23]
	s_cbranch_execz .LBB6_4192
; %bb.4187:                             ;   in Loop: Header=BB6_3657 Depth=2
	v_cmp_ne_u16_e32 vcc, s53, v14
	v_bfrev_b32_e32 v2, 1
	s_and_saveexec_b64 s[30:31], vcc
	s_cbranch_execz .LBB6_4191
; %bb.4188:                             ;   in Loop: Header=BB6_3657 Depth=2
	v_and_b32_e32 v15, 0x7f, v35
	v_cmp_ne_u32_e32 vcc, s54, v15
	v_mov_b32_e32 v2, 0x7f800001
	s_and_saveexec_b64 s[34:35], vcc
	s_cbranch_execz .LBB6_4190
; %bb.4189:                             ;   in Loop: Header=BB6_3657 Depth=2
	v_and_b32_e32 v2, 7, v14
	v_lshrrev_b32_e32 v27, 3, v15
	v_cmp_gt_u32_e32 vcc, 8, v15
	v_ffbh_u32_e32 v15, v2
	v_min_u32_e32 v28, 32, v15
	v_subrev_u32_e32 v15, 28, v28
	v_lshlrev_b64 v[15:16], v15, v[14:15]
	v_sub_u32_e32 v16, 29, v28
	v_and_b32_e32 v15, 7, v15
	v_cndmask_b32_e32 v16, v27, v16, vcc
	v_cndmask_b32_e32 v2, v2, v15, vcc
	v_lshlrev_b32_e32 v15, 24, v35
	v_lshlrev_b32_e32 v2, 20, v2
	v_and_b32_e32 v15, 0x80000000, v15
	v_lshl_add_u32 v16, v16, 23, v62
	v_or3_b32 v2, v15, v16, v2
.LBB6_4190:                             ;   in Loop: Header=BB6_3657 Depth=2
	s_or_b64 exec, exec, s[34:35]
.LBB6_4191:                             ;   in Loop: Header=BB6_3657 Depth=2
	s_or_b64 exec, exec, s[30:31]
.LBB6_4192:                             ;   in Loop: Header=BB6_3657 Depth=2
	s_or_b64 exec, exec, s[94:95]
	v_and_b32_e32 v15, 0xff, v19
	v_cmp_ne_u16_e32 vcc, 0, v15
	s_and_saveexec_b64 s[94:95], vcc
	s_cbranch_execz .LBB6_4198
; %bb.4193:                             ;   in Loop: Header=BB6_3657 Depth=2
	v_cmp_ne_u16_e32 vcc, s53, v15
	v_bfrev_b32_e32 v3, 1
	s_and_saveexec_b64 s[30:31], vcc
	s_cbranch_execz .LBB6_4197
; %bb.4194:                             ;   in Loop: Header=BB6_3657 Depth=2
	v_and_b32_e32 v16, 0x7f, v19
	v_cmp_ne_u32_e32 vcc, s54, v16
	v_mov_b32_e32 v3, 0x7f800001
	s_and_saveexec_b64 s[34:35], vcc
	s_cbranch_execz .LBB6_4196
; %bb.4195:                             ;   in Loop: Header=BB6_3657 Depth=2
	v_and_b32_e32 v3, 7, v15
	v_lshrrev_b32_e32 v27, 3, v16
	v_cmp_gt_u32_e32 vcc, 8, v16
	v_ffbh_u32_e32 v16, v3
	v_min_u32_e32 v28, 32, v16
	v_subrev_u32_e32 v16, 28, v28
	v_lshlrev_b64 v[15:16], v16, v[15:16]
	v_sub_u32_e32 v16, 29, v28
	v_and_b32_e32 v15, 7, v15
	v_cndmask_b32_e32 v16, v27, v16, vcc
	v_cndmask_b32_e32 v3, v3, v15, vcc
	v_lshlrev_b32_e32 v15, 24, v19
	v_lshlrev_b32_e32 v3, 20, v3
	v_and_b32_e32 v15, 0x80000000, v15
	v_lshl_add_u32 v16, v16, 23, v62
	v_or3_b32 v3, v15, v16, v3
.LBB6_4196:                             ;   in Loop: Header=BB6_3657 Depth=2
	s_or_b64 exec, exec, s[34:35]
.LBB6_4197:                             ;   in Loop: Header=BB6_3657 Depth=2
	s_or_b64 exec, exec, s[30:31]
.LBB6_4198:                             ;   in Loop: Header=BB6_3657 Depth=2
	s_or_b64 exec, exec, s[94:95]
	v_max_f32_e32 v3, v3, v3
	v_max_f32_e32 v2, v2, v2
	;; [unrolled: 1-line block ×3, first 2 shown]
	s_mov_b64 s[94:95], 0
.LBB6_4199:                             ;   in Loop: Header=BB6_3657 Depth=2
	s_and_b64 vcc, exec, s[94:95]
	s_cbranch_vccz .LBB6_4213
; %bb.4200:                             ;   in Loop: Header=BB6_3657 Depth=2
	v_mov_b32_e32 v3, 0
	v_mov_b32_e32 v2, 0
	s_and_saveexec_b64 s[94:95], s[22:23]
	s_cbranch_execz .LBB6_4206
; %bb.4201:                             ;   in Loop: Header=BB6_3657 Depth=2
	v_cmp_ne_u16_e32 vcc, s53, v14
	v_bfrev_b32_e32 v2, 1
	s_and_saveexec_b64 s[22:23], vcc
	s_cbranch_execz .LBB6_4205
; %bb.4202:                             ;   in Loop: Header=BB6_3657 Depth=2
	v_and_b32_e32 v15, 0x7f, v35
	v_cmp_ne_u32_e32 vcc, s54, v15
	v_mov_b32_e32 v2, 0x7f800001
	s_and_saveexec_b64 s[30:31], vcc
	s_cbranch_execz .LBB6_4204
; %bb.4203:                             ;   in Loop: Header=BB6_3657 Depth=2
	v_and_b32_e32 v2, 7, v14
	v_lshrrev_b32_e32 v16, 3, v15
	v_cmp_gt_u32_e32 vcc, 8, v15
	v_ffbh_u32_e32 v15, v2
	v_min_u32_e32 v27, 32, v15
	v_subrev_u32_e32 v15, 28, v27
	v_lshlrev_b64 v[14:15], v15, v[14:15]
	v_sub_u32_e32 v15, 29, v27
	v_and_b32_e32 v14, 7, v14
	v_cndmask_b32_e32 v15, v16, v15, vcc
	v_cndmask_b32_e32 v2, v2, v14, vcc
	v_lshlrev_b32_e32 v14, 24, v35
	v_lshlrev_b32_e32 v2, 20, v2
	v_and_b32_e32 v14, 0x80000000, v14
	v_lshl_add_u32 v15, v15, 23, v62
	v_or3_b32 v2, v14, v15, v2
.LBB6_4204:                             ;   in Loop: Header=BB6_3657 Depth=2
	s_or_b64 exec, exec, s[30:31]
.LBB6_4205:                             ;   in Loop: Header=BB6_3657 Depth=2
	s_or_b64 exec, exec, s[22:23]
.LBB6_4206:                             ;   in Loop: Header=BB6_3657 Depth=2
	s_or_b64 exec, exec, s[94:95]
	v_and_b32_e32 v14, 0xff, v19
	v_cmp_ne_u16_e32 vcc, 0, v14
	s_and_saveexec_b64 s[22:23], vcc
	s_cbranch_execz .LBB6_4212
; %bb.4207:                             ;   in Loop: Header=BB6_3657 Depth=2
	v_cmp_ne_u16_e32 vcc, s53, v14
	v_bfrev_b32_e32 v3, 1
	s_and_saveexec_b64 s[94:95], vcc
	s_cbranch_execz .LBB6_4211
; %bb.4208:                             ;   in Loop: Header=BB6_3657 Depth=2
	v_and_b32_e32 v15, 0x7f, v19
	v_cmp_ne_u32_e32 vcc, s54, v15
	v_mov_b32_e32 v3, 0x7f800001
	s_and_saveexec_b64 s[30:31], vcc
	s_cbranch_execz .LBB6_4210
; %bb.4209:                             ;   in Loop: Header=BB6_3657 Depth=2
	v_and_b32_e32 v3, 7, v14
	v_lshrrev_b32_e32 v16, 3, v15
	v_cmp_gt_u32_e32 vcc, 8, v15
	v_ffbh_u32_e32 v15, v3
	v_min_u32_e32 v27, 32, v15
	v_subrev_u32_e32 v15, 28, v27
	v_lshlrev_b64 v[14:15], v15, v[14:15]
	v_sub_u32_e32 v15, 29, v27
	v_and_b32_e32 v14, 7, v14
	v_cndmask_b32_e32 v15, v16, v15, vcc
	v_cndmask_b32_e32 v3, v3, v14, vcc
	v_lshlrev_b32_e32 v14, 24, v19
	v_lshlrev_b32_e32 v3, 20, v3
	v_and_b32_e32 v14, 0x80000000, v14
	v_lshl_add_u32 v15, v15, 23, v62
	v_or3_b32 v3, v14, v15, v3
.LBB6_4210:                             ;   in Loop: Header=BB6_3657 Depth=2
	s_or_b64 exec, exec, s[30:31]
.LBB6_4211:                             ;   in Loop: Header=BB6_3657 Depth=2
	s_or_b64 exec, exec, s[94:95]
.LBB6_4212:                             ;   in Loop: Header=BB6_3657 Depth=2
	s_or_b64 exec, exec, s[22:23]
	v_max_f32_e32 v3, v3, v3
	v_max_f32_e32 v2, v2, v2
	v_min_f32_e32 v3, v2, v3
.LBB6_4213:                             ;   in Loop: Header=BB6_3657 Depth=2
	v_and_b32_e32 v60, 0x7f800000, v3
	v_cmp_ne_u64_e32 vcc, s[72:73], v[60:61]
                                        ; implicit-def: $vgpr19
	s_mov_b64 s[22:23], exec
	s_waitcnt vmcnt(0) lgkmcnt(0)
	v_mov_b32_e32 v34, v45
	v_mov_b32_e32 v35, v58
	;; [unrolled: 1-line block ×3, first 2 shown]
	buffer_load_dword v31, off, s[0:3], s33 offset:172 ; 4-byte Folded Reload
	buffer_load_dword v33, off, s[0:3], s33 offset:168 ; 4-byte Folded Reload
	buffer_load_dword v51, off, s[0:3], s33 offset:156 ; 4-byte Folded Reload
	buffer_load_dword v45, off, s[0:3], s33 offset:152 ; 4-byte Folded Reload
	buffer_load_dword v56, off, s[0:3], s33 offset:148 ; 4-byte Folded Reload
	buffer_load_dword v58, off, s[0:3], s33 offset:140 ; 4-byte Folded Reload
	buffer_load_dword v6, off, s[0:3], s33 offset:132 ; 4-byte Folded Reload
	v_mov_b32_e32 v50, v9
	v_mov_b32_e32 v40, v29
	;; [unrolled: 1-line block ×3, first 2 shown]
	buffer_load_dword v9, off, s[0:3], s33 offset:160 ; 4-byte Folded Reload
	buffer_load_dword v29, off, s[0:3], s33 offset:164 ; 4-byte Folded Reload
	;; [unrolled: 1-line block ×3, first 2 shown]
	s_and_b64 vcc, s[22:23], vcc
	s_xor_b64 s[94:95], vcc, s[22:23]
	s_mov_b64 exec, vcc
	s_cbranch_execz .LBB6_4231
; %bb.4214:                             ;   in Loop: Header=BB6_3657 Depth=2
	v_and_b32_e32 v60, 0x7fffffff, v3
	v_cmp_gt_u64_e32 vcc, s[74:75], v[60:61]
	v_and_b32_sdwa v2, v3, s53 dst_sel:DWORD dst_unused:UNUSED_PAD src0_sel:BYTE_3 src1_sel:DWORD
                                        ; implicit-def: $vgpr19
	s_and_saveexec_b64 s[22:23], vcc
	s_xor_b64 s[30:31], exec, s[22:23]
	s_cbranch_execz .LBB6_4228
; %bb.4215:                             ;   in Loop: Header=BB6_3657 Depth=2
	v_cmp_ne_u32_e32 vcc, 0, v3
	v_mov_b32_e32 v19, 0
	s_and_saveexec_b64 s[34:35], vcc
	s_cbranch_execz .LBB6_4227
; %bb.4216:                             ;   in Loop: Header=BB6_3657 Depth=2
	v_and_b32_e32 v14, 0x7fffff, v3
	v_bfe_u32 v3, v3, 23, 8
	v_cmp_gt_u32_e64 s[22:23], s64, v3
	v_sub_u32_e32 v15, 0x79, v3
	v_cmp_eq_u32_e32 vcc, 0, v3
	v_cndmask_b32_e64 v15, 0, v15, s[22:23]
	v_mov_b32_e32 v19, 0x78
	v_or_b32_e32 v16, 0x800000, v14
	v_cndmask_b32_e32 v19, v15, v19, vcc
	v_cndmask_b32_e32 v60, v16, v14, vcc
	v_add_u32_e32 v14, 20, v19
	v_lshlrev_b64 v[14:15], v14, -1
	v_add_u32_e32 v16, 19, v19
	v_lshlrev_b64 v[27:28], v16, 1
	v_bfi_b32 v15, v15, 0, 0
	v_bfi_b32 v14, v14, 0, v60
	v_cmp_eq_u64_e64 s[22:23], v[14:15], v[27:28]
	v_lshrrev_b64 v[14:15], v19, v[60:61]
	v_mov_b32_e32 v16, v15
	v_mov_b32_e32 v15, v14
	s_and_saveexec_b64 s[36:37], s[22:23]
; %bb.4217:                             ;   in Loop: Header=BB6_3657 Depth=2
	v_bfe_u32 v15, v14, 20, 1
	v_add_co_u32_e64 v15, s[22:23], v14, v15
	v_add_co_u32_e64 v15, s[22:23], -1, v15
; %bb.4218:                             ;   in Loop: Header=BB6_3657 Depth=2
	s_or_b64 exec, exec, s[36:37]
	v_add_u32_e32 v3, 0xffffff81, v3
	v_cndmask_b32_e32 v3, v3, v41, vcc
	v_lshrrev_b32_e32 v16, 23, v14
	v_add3_u32 v19, v19, v3, v16
	v_add_u32_e32 v16, 6, v19
	v_and_b32_e32 v3, 0xfffff, v15
	v_add_u32_e32 v60, v3, v14
	v_cmp_ne_u32_e32 vcc, 0, v16
                                        ; implicit-def: $vgpr14_vgpr15
                                        ; implicit-def: $vgpr3
	s_and_saveexec_b64 s[22:23], vcc
	s_xor_b64 s[22:23], exec, s[22:23]
; %bb.4219:                             ;   in Loop: Header=BB6_3657 Depth=2
	v_cmp_lt_u64_e32 vcc, s[76:77], v[60:61]
	v_add_u32_e32 v3, 7, v19
	v_cndmask_b32_e64 v14, 0, 1, vcc
	v_lshrrev_b64 v[14:15], v14, v[60:61]
	v_cndmask_b32_e32 v3, v16, v3, vcc
; %bb.4220:                             ;   in Loop: Header=BB6_3657 Depth=2
	s_andn2_saveexec_b64 s[22:23], s[22:23]
; %bb.4221:                             ;   in Loop: Header=BB6_3657 Depth=2
	v_mov_b32_e32 v14, v60
	v_bfe_u32 v3, v60, 23, 1
	v_mov_b32_e32 v15, v61
; %bb.4222:                             ;   in Loop: Header=BB6_3657 Depth=2
	s_or_b64 exec, exec, s[22:23]
	v_lshrrev_b64 v[14:15], 20, v[14:15]
	v_cmp_gt_i32_e32 vcc, 16, v3
	v_cndmask_b32_e32 v15, 0, v15, vcc
	v_cndmask_b32_e32 v14, 7, v14, vcc
	v_cmp_ne_u64_e32 vcc, 0, v[14:15]
	v_cmp_ne_u32_e64 s[22:23], 0, v3
	s_or_b64 s[22:23], s[22:23], vcc
                                        ; implicit-def: $vgpr19
	s_and_saveexec_b64 vcc, s[22:23]
	s_xor_b64 s[22:23], exec, vcc
; %bb.4223:                             ;   in Loop: Header=BB6_3657 Depth=2
	v_min_i32_e32 v3, 15, v3
	v_lshl_or_b32 v2, v3, 3, v2
	v_and_or_b32 v19, v14, 7, v2
                                        ; implicit-def: $vgpr2
; %bb.4224:                             ;   in Loop: Header=BB6_3657 Depth=2
	s_andn2_saveexec_b64 s[22:23], s[22:23]
; %bb.4225:                             ;   in Loop: Header=BB6_3657 Depth=2
	v_mov_b32_e32 v19, v2
; %bb.4226:                             ;   in Loop: Header=BB6_3657 Depth=2
	s_or_b64 exec, exec, s[22:23]
.LBB6_4227:                             ;   in Loop: Header=BB6_3657 Depth=2
	s_or_b64 exec, exec, s[34:35]
                                        ; implicit-def: $vgpr2
.LBB6_4228:                             ;   in Loop: Header=BB6_3657 Depth=2
	s_andn2_saveexec_b64 s[22:23], s[30:31]
; %bb.4229:                             ;   in Loop: Header=BB6_3657 Depth=2
	v_or_b32_e32 v19, 0x7e, v2
; %bb.4230:                             ;   in Loop: Header=BB6_3657 Depth=2
	s_or_b64 exec, exec, s[22:23]
                                        ; implicit-def: $vgpr3
.LBB6_4231:                             ;   in Loop: Header=BB6_3657 Depth=2
	s_andn2_saveexec_b64 s[22:23], s[94:95]
; %bb.4232:                             ;   in Loop: Header=BB6_3657 Depth=2
	v_or_b32_sdwa v19, v3, s54 dst_sel:DWORD dst_unused:UNUSED_PAD src0_sel:BYTE_3 src1_sel:DWORD
; %bb.4233:                             ;   in Loop: Header=BB6_3657 Depth=2
	s_or_b64 exec, exec, s[22:23]
	v_and_b32_e32 v14, 0xff, v25
	v_cmp_ne_u16_e64 s[22:23], 0, v14
	s_and_b64 vcc, exec, s[20:21]
	s_mov_b64 s[94:95], -1
                                        ; implicit-def: $vgpr3
	s_cbranch_vccnz .LBB6_4247
; %bb.4234:                             ;   in Loop: Header=BB6_3657 Depth=2
	v_mov_b32_e32 v3, 0
	v_mov_b32_e32 v2, 0
	s_and_saveexec_b64 s[94:95], s[22:23]
	s_cbranch_execz .LBB6_4240
; %bb.4235:                             ;   in Loop: Header=BB6_3657 Depth=2
	v_cmp_ne_u16_e32 vcc, s53, v14
	v_bfrev_b32_e32 v2, 1
	s_and_saveexec_b64 s[30:31], vcc
	s_cbranch_execz .LBB6_4239
; %bb.4236:                             ;   in Loop: Header=BB6_3657 Depth=2
	v_and_b32_e32 v15, 0x7f, v25
	v_cmp_ne_u32_e32 vcc, s54, v15
	v_mov_b32_e32 v2, 0x7f800001
	s_and_saveexec_b64 s[34:35], vcc
	s_cbranch_execz .LBB6_4238
; %bb.4237:                             ;   in Loop: Header=BB6_3657 Depth=2
	v_and_b32_e32 v2, 7, v14
	v_lshrrev_b32_e32 v27, 3, v15
	v_cmp_gt_u32_e32 vcc, 8, v15
	v_ffbh_u32_e32 v15, v2
	v_min_u32_e32 v28, 32, v15
	v_subrev_u32_e32 v15, 28, v28
	v_lshlrev_b64 v[15:16], v15, v[14:15]
	v_sub_u32_e32 v16, 29, v28
	v_and_b32_e32 v15, 7, v15
	v_cndmask_b32_e32 v16, v27, v16, vcc
	v_cndmask_b32_e32 v2, v2, v15, vcc
	v_lshlrev_b32_e32 v15, 24, v25
	v_lshlrev_b32_e32 v2, 20, v2
	v_and_b32_e32 v15, 0x80000000, v15
	v_lshl_add_u32 v16, v16, 23, v62
	v_or3_b32 v2, v15, v16, v2
.LBB6_4238:                             ;   in Loop: Header=BB6_3657 Depth=2
	s_or_b64 exec, exec, s[34:35]
.LBB6_4239:                             ;   in Loop: Header=BB6_3657 Depth=2
	s_or_b64 exec, exec, s[30:31]
.LBB6_4240:                             ;   in Loop: Header=BB6_3657 Depth=2
	s_or_b64 exec, exec, s[94:95]
	v_and_b32_e32 v15, 0xff, v4
	v_cmp_ne_u16_e32 vcc, 0, v15
	s_and_saveexec_b64 s[94:95], vcc
	s_cbranch_execz .LBB6_4246
; %bb.4241:                             ;   in Loop: Header=BB6_3657 Depth=2
	v_cmp_ne_u16_e32 vcc, s53, v15
	v_bfrev_b32_e32 v3, 1
	s_and_saveexec_b64 s[30:31], vcc
	s_cbranch_execz .LBB6_4245
; %bb.4242:                             ;   in Loop: Header=BB6_3657 Depth=2
	v_and_b32_e32 v16, 0x7f, v4
	v_cmp_ne_u32_e32 vcc, s54, v16
	v_mov_b32_e32 v3, 0x7f800001
	s_and_saveexec_b64 s[34:35], vcc
	s_cbranch_execz .LBB6_4244
; %bb.4243:                             ;   in Loop: Header=BB6_3657 Depth=2
	v_and_b32_e32 v3, 7, v15
	v_lshrrev_b32_e32 v27, 3, v16
	v_cmp_gt_u32_e32 vcc, 8, v16
	v_ffbh_u32_e32 v16, v3
	v_min_u32_e32 v28, 32, v16
	v_subrev_u32_e32 v16, 28, v28
	v_lshlrev_b64 v[15:16], v16, v[15:16]
	v_sub_u32_e32 v16, 29, v28
	v_and_b32_e32 v15, 7, v15
	v_cndmask_b32_e32 v16, v27, v16, vcc
	v_cndmask_b32_e32 v3, v3, v15, vcc
	v_lshlrev_b32_e32 v15, 24, v4
	v_lshlrev_b32_e32 v3, 20, v3
	v_and_b32_e32 v15, 0x80000000, v15
	v_lshl_add_u32 v16, v16, 23, v62
	v_or3_b32 v3, v15, v16, v3
.LBB6_4244:                             ;   in Loop: Header=BB6_3657 Depth=2
	s_or_b64 exec, exec, s[34:35]
.LBB6_4245:                             ;   in Loop: Header=BB6_3657 Depth=2
	s_or_b64 exec, exec, s[30:31]
.LBB6_4246:                             ;   in Loop: Header=BB6_3657 Depth=2
	s_or_b64 exec, exec, s[94:95]
	v_max_f32_e32 v3, v3, v3
	v_max_f32_e32 v2, v2, v2
	;; [unrolled: 1-line block ×3, first 2 shown]
	s_mov_b64 s[94:95], 0
.LBB6_4247:                             ;   in Loop: Header=BB6_3657 Depth=2
	s_and_b64 vcc, exec, s[94:95]
	s_cbranch_vccz .LBB6_4261
; %bb.4248:                             ;   in Loop: Header=BB6_3657 Depth=2
	v_mov_b32_e32 v3, 0
	v_mov_b32_e32 v2, 0
	s_and_saveexec_b64 s[94:95], s[22:23]
	s_cbranch_execz .LBB6_4254
; %bb.4249:                             ;   in Loop: Header=BB6_3657 Depth=2
	v_cmp_ne_u16_e32 vcc, s53, v14
	v_bfrev_b32_e32 v2, 1
	s_and_saveexec_b64 s[22:23], vcc
	s_cbranch_execz .LBB6_4253
; %bb.4250:                             ;   in Loop: Header=BB6_3657 Depth=2
	v_and_b32_e32 v15, 0x7f, v25
	v_cmp_ne_u32_e32 vcc, s54, v15
	v_mov_b32_e32 v2, 0x7f800001
	s_and_saveexec_b64 s[30:31], vcc
	s_cbranch_execz .LBB6_4252
; %bb.4251:                             ;   in Loop: Header=BB6_3657 Depth=2
	v_and_b32_e32 v2, 7, v14
	v_lshrrev_b32_e32 v16, 3, v15
	v_cmp_gt_u32_e32 vcc, 8, v15
	v_ffbh_u32_e32 v15, v2
	v_min_u32_e32 v27, 32, v15
	v_subrev_u32_e32 v15, 28, v27
	v_lshlrev_b64 v[14:15], v15, v[14:15]
	v_sub_u32_e32 v15, 29, v27
	v_and_b32_e32 v14, 7, v14
	v_cndmask_b32_e32 v15, v16, v15, vcc
	v_cndmask_b32_e32 v2, v2, v14, vcc
	v_lshlrev_b32_e32 v14, 24, v25
	v_lshlrev_b32_e32 v2, 20, v2
	v_and_b32_e32 v14, 0x80000000, v14
	v_lshl_add_u32 v15, v15, 23, v62
	v_or3_b32 v2, v14, v15, v2
.LBB6_4252:                             ;   in Loop: Header=BB6_3657 Depth=2
	s_or_b64 exec, exec, s[30:31]
.LBB6_4253:                             ;   in Loop: Header=BB6_3657 Depth=2
	s_or_b64 exec, exec, s[22:23]
.LBB6_4254:                             ;   in Loop: Header=BB6_3657 Depth=2
	s_or_b64 exec, exec, s[94:95]
	v_and_b32_e32 v14, 0xff, v4
	v_cmp_ne_u16_e32 vcc, 0, v14
	s_and_saveexec_b64 s[22:23], vcc
	s_cbranch_execz .LBB6_4260
; %bb.4255:                             ;   in Loop: Header=BB6_3657 Depth=2
	v_cmp_ne_u16_e32 vcc, s53, v14
	v_bfrev_b32_e32 v3, 1
	s_and_saveexec_b64 s[94:95], vcc
	s_cbranch_execz .LBB6_4259
; %bb.4256:                             ;   in Loop: Header=BB6_3657 Depth=2
	v_and_b32_e32 v15, 0x7f, v4
	v_cmp_ne_u32_e32 vcc, s54, v15
	v_mov_b32_e32 v3, 0x7f800001
	s_and_saveexec_b64 s[30:31], vcc
	s_cbranch_execz .LBB6_4258
; %bb.4257:                             ;   in Loop: Header=BB6_3657 Depth=2
	v_and_b32_e32 v3, 7, v14
	v_lshrrev_b32_e32 v16, 3, v15
	v_cmp_gt_u32_e32 vcc, 8, v15
	v_ffbh_u32_e32 v15, v3
	v_min_u32_e32 v25, 32, v15
	v_subrev_u32_e32 v15, 28, v25
	v_lshlrev_b64 v[14:15], v15, v[14:15]
	v_sub_u32_e32 v15, 29, v25
	v_and_b32_e32 v14, 7, v14
	v_cndmask_b32_e32 v15, v16, v15, vcc
	v_cndmask_b32_e32 v3, v3, v14, vcc
	v_lshlrev_b32_e32 v4, 24, v4
	v_lshlrev_b32_e32 v3, 20, v3
	v_and_b32_e32 v4, 0x80000000, v4
	v_lshl_add_u32 v14, v15, 23, v62
	v_or3_b32 v3, v4, v14, v3
.LBB6_4258:                             ;   in Loop: Header=BB6_3657 Depth=2
	s_or_b64 exec, exec, s[30:31]
.LBB6_4259:                             ;   in Loop: Header=BB6_3657 Depth=2
	s_or_b64 exec, exec, s[94:95]
.LBB6_4260:                             ;   in Loop: Header=BB6_3657 Depth=2
	s_or_b64 exec, exec, s[22:23]
	v_max_f32_e32 v3, v3, v3
	v_max_f32_e32 v2, v2, v2
	v_min_f32_e32 v3, v2, v3
.LBB6_4261:                             ;   in Loop: Header=BB6_3657 Depth=2
	v_and_b32_e32 v60, 0x7f800000, v3
	v_cmp_ne_u64_e32 vcc, s[72:73], v[60:61]
                                        ; implicit-def: $vgpr4
	s_mov_b64 s[22:23], exec
	buffer_load_dword v25, off, s[0:3], s33 offset:88 ; 4-byte Folded Reload
	s_and_b64 vcc, s[22:23], vcc
	s_xor_b64 s[94:95], vcc, s[22:23]
	s_mov_b64 exec, vcc
	s_cbranch_execz .LBB6_4279
; %bb.4262:                             ;   in Loop: Header=BB6_3657 Depth=2
	v_and_b32_e32 v60, 0x7fffffff, v3
	v_cmp_gt_u64_e32 vcc, s[74:75], v[60:61]
	v_and_b32_sdwa v2, v3, s53 dst_sel:DWORD dst_unused:UNUSED_PAD src0_sel:BYTE_3 src1_sel:DWORD
                                        ; implicit-def: $vgpr4
	s_and_saveexec_b64 s[22:23], vcc
	s_xor_b64 s[30:31], exec, s[22:23]
	s_cbranch_execz .LBB6_4276
; %bb.4263:                             ;   in Loop: Header=BB6_3657 Depth=2
	v_cmp_ne_u32_e32 vcc, 0, v3
	v_mov_b32_e32 v4, 0
	s_and_saveexec_b64 s[34:35], vcc
	s_cbranch_execz .LBB6_4275
; %bb.4264:                             ;   in Loop: Header=BB6_3657 Depth=2
	v_and_b32_e32 v14, 0x7fffff, v3
	v_bfe_u32 v3, v3, 23, 8
	v_cmp_gt_u32_e64 s[22:23], s64, v3
	v_sub_u32_e32 v4, 0x79, v3
	v_cmp_eq_u32_e32 vcc, 0, v3
	v_cndmask_b32_e64 v4, 0, v4, s[22:23]
	v_mov_b32_e32 v16, 0x78
	v_or_b32_e32 v15, 0x800000, v14
	v_cndmask_b32_e32 v4, v4, v16, vcc
	v_cndmask_b32_e32 v60, v15, v14, vcc
	v_add_u32_e32 v14, 20, v4
	v_lshlrev_b64 v[14:15], v14, -1
	v_add_u32_e32 v16, 19, v4
	v_lshlrev_b64 v[27:28], v16, 1
	v_bfi_b32 v15, v15, 0, 0
	v_bfi_b32 v14, v14, 0, v60
	v_cmp_eq_u64_e64 s[22:23], v[14:15], v[27:28]
	v_lshrrev_b64 v[14:15], v4, v[60:61]
	v_mov_b32_e32 v16, v15
	v_mov_b32_e32 v15, v14
	s_and_saveexec_b64 s[36:37], s[22:23]
; %bb.4265:                             ;   in Loop: Header=BB6_3657 Depth=2
	v_bfe_u32 v15, v14, 20, 1
	v_add_co_u32_e64 v15, s[22:23], v14, v15
	v_add_co_u32_e64 v15, s[22:23], -1, v15
; %bb.4266:                             ;   in Loop: Header=BB6_3657 Depth=2
	s_or_b64 exec, exec, s[36:37]
	v_add_u32_e32 v3, 0xffffff81, v3
	v_cndmask_b32_e32 v3, v3, v41, vcc
	v_lshrrev_b32_e32 v16, 23, v14
	v_add3_u32 v16, v4, v3, v16
	v_add_u32_e32 v4, 6, v16
	v_and_b32_e32 v3, 0xfffff, v15
	v_add_u32_e32 v60, v3, v14
	v_cmp_ne_u32_e32 vcc, 0, v4
                                        ; implicit-def: $vgpr14_vgpr15
                                        ; implicit-def: $vgpr3
	s_and_saveexec_b64 s[22:23], vcc
	s_xor_b64 s[22:23], exec, s[22:23]
; %bb.4267:                             ;   in Loop: Header=BB6_3657 Depth=2
	v_cmp_lt_u64_e32 vcc, s[76:77], v[60:61]
	v_add_u32_e32 v3, 7, v16
	v_cndmask_b32_e32 v3, v4, v3, vcc
	v_cndmask_b32_e64 v4, 0, 1, vcc
	v_lshrrev_b64 v[14:15], v4, v[60:61]
; %bb.4268:                             ;   in Loop: Header=BB6_3657 Depth=2
	s_andn2_saveexec_b64 s[22:23], s[22:23]
; %bb.4269:                             ;   in Loop: Header=BB6_3657 Depth=2
	v_mov_b32_e32 v14, v60
	v_bfe_u32 v3, v60, 23, 1
	v_mov_b32_e32 v15, v61
; %bb.4270:                             ;   in Loop: Header=BB6_3657 Depth=2
	s_or_b64 exec, exec, s[22:23]
	v_lshrrev_b64 v[14:15], 20, v[14:15]
	v_cmp_gt_i32_e32 vcc, 16, v3
	v_cndmask_b32_e32 v15, 0, v15, vcc
	v_cndmask_b32_e32 v14, 7, v14, vcc
	v_cmp_ne_u64_e32 vcc, 0, v[14:15]
	v_cmp_ne_u32_e64 s[22:23], 0, v3
	s_or_b64 s[22:23], s[22:23], vcc
                                        ; implicit-def: $vgpr4
	s_and_saveexec_b64 vcc, s[22:23]
	s_xor_b64 s[22:23], exec, vcc
; %bb.4271:                             ;   in Loop: Header=BB6_3657 Depth=2
	v_min_i32_e32 v3, 15, v3
	v_lshl_or_b32 v2, v3, 3, v2
	v_and_or_b32 v4, v14, 7, v2
                                        ; implicit-def: $vgpr2
; %bb.4272:                             ;   in Loop: Header=BB6_3657 Depth=2
	s_andn2_saveexec_b64 s[22:23], s[22:23]
; %bb.4273:                             ;   in Loop: Header=BB6_3657 Depth=2
	v_mov_b32_e32 v4, v2
; %bb.4274:                             ;   in Loop: Header=BB6_3657 Depth=2
	s_or_b64 exec, exec, s[22:23]
.LBB6_4275:                             ;   in Loop: Header=BB6_3657 Depth=2
	s_or_b64 exec, exec, s[34:35]
                                        ; implicit-def: $vgpr2
.LBB6_4276:                             ;   in Loop: Header=BB6_3657 Depth=2
	s_andn2_saveexec_b64 s[22:23], s[30:31]
; %bb.4277:                             ;   in Loop: Header=BB6_3657 Depth=2
	v_or_b32_e32 v4, 0x7e, v2
; %bb.4278:                             ;   in Loop: Header=BB6_3657 Depth=2
	s_or_b64 exec, exec, s[22:23]
                                        ; implicit-def: $vgpr3
.LBB6_4279:                             ;   in Loop: Header=BB6_3657 Depth=2
	s_andn2_saveexec_b64 s[22:23], s[94:95]
; %bb.4280:                             ;   in Loop: Header=BB6_3657 Depth=2
	v_or_b32_sdwa v4, v3, s54 dst_sel:DWORD dst_unused:UNUSED_PAD src0_sel:BYTE_3 src1_sel:DWORD
; %bb.4281:                             ;   in Loop: Header=BB6_3657 Depth=2
	s_or_b64 exec, exec, s[22:23]
	v_and_b32_e32 v14, 0xff, v24
	v_cmp_ne_u16_e64 s[22:23], 0, v14
	s_and_b64 vcc, exec, s[20:21]
	s_mov_b64 s[94:95], -1
                                        ; implicit-def: $vgpr3
	s_cbranch_vccnz .LBB6_4295
; %bb.4282:                             ;   in Loop: Header=BB6_3657 Depth=2
	v_mov_b32_e32 v3, 0
	v_mov_b32_e32 v2, 0
	s_and_saveexec_b64 s[94:95], s[22:23]
	s_cbranch_execz .LBB6_4288
; %bb.4283:                             ;   in Loop: Header=BB6_3657 Depth=2
	v_cmp_ne_u16_e32 vcc, s53, v14
	v_bfrev_b32_e32 v2, 1
	s_and_saveexec_b64 s[30:31], vcc
	s_cbranch_execz .LBB6_4287
; %bb.4284:                             ;   in Loop: Header=BB6_3657 Depth=2
	v_and_b32_e32 v15, 0x7f, v24
	v_cmp_ne_u32_e32 vcc, s54, v15
	v_mov_b32_e32 v2, 0x7f800001
	s_and_saveexec_b64 s[34:35], vcc
	s_cbranch_execz .LBB6_4286
; %bb.4285:                             ;   in Loop: Header=BB6_3657 Depth=2
	v_and_b32_e32 v2, 7, v14
	s_waitcnt vmcnt(0)
	v_lshrrev_b32_e32 v25, 3, v15
	v_cmp_gt_u32_e32 vcc, 8, v15
	v_ffbh_u32_e32 v15, v2
	v_min_u32_e32 v27, 32, v15
	v_subrev_u32_e32 v15, 28, v27
	v_lshlrev_b64 v[15:16], v15, v[14:15]
	v_sub_u32_e32 v16, 29, v27
	v_cndmask_b32_e32 v16, v25, v16, vcc
	buffer_load_dword v25, off, s[0:3], s33 offset:88 ; 4-byte Folded Reload
	v_and_b32_e32 v15, 7, v15
	v_cndmask_b32_e32 v2, v2, v15, vcc
	v_lshlrev_b32_e32 v15, 24, v24
	v_lshlrev_b32_e32 v2, 20, v2
	v_and_b32_e32 v15, 0x80000000, v15
	v_lshl_add_u32 v16, v16, 23, v62
	v_or3_b32 v2, v15, v16, v2
.LBB6_4286:                             ;   in Loop: Header=BB6_3657 Depth=2
	s_or_b64 exec, exec, s[34:35]
.LBB6_4287:                             ;   in Loop: Header=BB6_3657 Depth=2
	s_or_b64 exec, exec, s[30:31]
.LBB6_4288:                             ;   in Loop: Header=BB6_3657 Depth=2
	s_or_b64 exec, exec, s[94:95]
	v_and_b32_e32 v15, 0xff, v7
	v_cmp_ne_u16_e32 vcc, 0, v15
	s_and_saveexec_b64 s[94:95], vcc
	s_cbranch_execz .LBB6_4294
; %bb.4289:                             ;   in Loop: Header=BB6_3657 Depth=2
	v_cmp_ne_u16_e32 vcc, s53, v15
	v_bfrev_b32_e32 v3, 1
	s_and_saveexec_b64 s[30:31], vcc
	s_cbranch_execz .LBB6_4293
; %bb.4290:                             ;   in Loop: Header=BB6_3657 Depth=2
	v_and_b32_e32 v16, 0x7f, v7
	v_cmp_ne_u32_e32 vcc, s54, v16
	v_mov_b32_e32 v3, 0x7f800001
	s_and_saveexec_b64 s[34:35], vcc
	s_cbranch_execz .LBB6_4292
; %bb.4291:                             ;   in Loop: Header=BB6_3657 Depth=2
	v_and_b32_e32 v3, 7, v15
	s_waitcnt vmcnt(0)
	v_lshrrev_b32_e32 v25, 3, v16
	v_cmp_gt_u32_e32 vcc, 8, v16
	v_ffbh_u32_e32 v16, v3
	v_min_u32_e32 v27, 32, v16
	v_subrev_u32_e32 v16, 28, v27
	v_lshlrev_b64 v[15:16], v16, v[15:16]
	v_sub_u32_e32 v16, 29, v27
	v_cndmask_b32_e32 v16, v25, v16, vcc
	buffer_load_dword v25, off, s[0:3], s33 offset:88 ; 4-byte Folded Reload
	v_and_b32_e32 v15, 7, v15
	v_cndmask_b32_e32 v3, v3, v15, vcc
	v_lshlrev_b32_e32 v15, 24, v7
	v_lshlrev_b32_e32 v3, 20, v3
	v_and_b32_e32 v15, 0x80000000, v15
	v_lshl_add_u32 v16, v16, 23, v62
	v_or3_b32 v3, v15, v16, v3
.LBB6_4292:                             ;   in Loop: Header=BB6_3657 Depth=2
	s_or_b64 exec, exec, s[34:35]
.LBB6_4293:                             ;   in Loop: Header=BB6_3657 Depth=2
	s_or_b64 exec, exec, s[30:31]
.LBB6_4294:                             ;   in Loop: Header=BB6_3657 Depth=2
	s_or_b64 exec, exec, s[94:95]
	v_max_f32_e32 v3, v3, v3
	v_max_f32_e32 v2, v2, v2
	;; [unrolled: 1-line block ×3, first 2 shown]
	s_mov_b64 s[94:95], 0
.LBB6_4295:                             ;   in Loop: Header=BB6_3657 Depth=2
	s_and_b64 vcc, exec, s[94:95]
	s_cbranch_vccz .LBB6_4309
; %bb.4296:                             ;   in Loop: Header=BB6_3657 Depth=2
	v_mov_b32_e32 v3, 0
	v_mov_b32_e32 v2, 0
	s_and_saveexec_b64 s[94:95], s[22:23]
	s_cbranch_execz .LBB6_4302
; %bb.4297:                             ;   in Loop: Header=BB6_3657 Depth=2
	v_cmp_ne_u16_e32 vcc, s53, v14
	v_bfrev_b32_e32 v2, 1
	s_and_saveexec_b64 s[22:23], vcc
	s_cbranch_execz .LBB6_4301
; %bb.4298:                             ;   in Loop: Header=BB6_3657 Depth=2
	v_and_b32_e32 v15, 0x7f, v24
	v_cmp_ne_u32_e32 vcc, s54, v15
	v_mov_b32_e32 v2, 0x7f800001
	s_and_saveexec_b64 s[30:31], vcc
	s_cbranch_execz .LBB6_4300
; %bb.4299:                             ;   in Loop: Header=BB6_3657 Depth=2
	v_and_b32_e32 v2, 7, v14
	v_lshrrev_b32_e32 v16, 3, v15
	v_cmp_gt_u32_e32 vcc, 8, v15
	v_ffbh_u32_e32 v15, v2
	s_waitcnt vmcnt(0)
	v_min_u32_e32 v25, 32, v15
	v_subrev_u32_e32 v15, 28, v25
	v_lshlrev_b64 v[14:15], v15, v[14:15]
	v_sub_u32_e32 v15, 29, v25
	buffer_load_dword v25, off, s[0:3], s33 offset:88 ; 4-byte Folded Reload
	v_and_b32_e32 v14, 7, v14
	v_cndmask_b32_e32 v15, v16, v15, vcc
	v_cndmask_b32_e32 v2, v2, v14, vcc
	v_lshlrev_b32_e32 v14, 24, v24
	v_lshlrev_b32_e32 v2, 20, v2
	v_and_b32_e32 v14, 0x80000000, v14
	v_lshl_add_u32 v15, v15, 23, v62
	v_or3_b32 v2, v14, v15, v2
.LBB6_4300:                             ;   in Loop: Header=BB6_3657 Depth=2
	s_or_b64 exec, exec, s[30:31]
.LBB6_4301:                             ;   in Loop: Header=BB6_3657 Depth=2
	s_or_b64 exec, exec, s[22:23]
.LBB6_4302:                             ;   in Loop: Header=BB6_3657 Depth=2
	s_or_b64 exec, exec, s[94:95]
	v_and_b32_e32 v14, 0xff, v7
	v_cmp_ne_u16_e32 vcc, 0, v14
	s_and_saveexec_b64 s[22:23], vcc
	s_cbranch_execz .LBB6_4308
; %bb.4303:                             ;   in Loop: Header=BB6_3657 Depth=2
	v_cmp_ne_u16_e32 vcc, s53, v14
	v_bfrev_b32_e32 v3, 1
	s_and_saveexec_b64 s[94:95], vcc
	s_cbranch_execz .LBB6_4307
; %bb.4304:                             ;   in Loop: Header=BB6_3657 Depth=2
	v_and_b32_e32 v15, 0x7f, v7
	v_cmp_ne_u32_e32 vcc, s54, v15
	v_mov_b32_e32 v3, 0x7f800001
	s_and_saveexec_b64 s[30:31], vcc
	s_cbranch_execz .LBB6_4306
; %bb.4305:                             ;   in Loop: Header=BB6_3657 Depth=2
	v_and_b32_e32 v3, 7, v14
	v_lshrrev_b32_e32 v16, 3, v15
	v_cmp_gt_u32_e32 vcc, 8, v15
	v_ffbh_u32_e32 v15, v3
	v_min_u32_e32 v24, 32, v15
	v_subrev_u32_e32 v15, 28, v24
	v_lshlrev_b64 v[14:15], v15, v[14:15]
	v_sub_u32_e32 v15, 29, v24
	v_and_b32_e32 v14, 7, v14
	v_cndmask_b32_e32 v15, v16, v15, vcc
	v_cndmask_b32_e32 v3, v3, v14, vcc
	v_lshlrev_b32_e32 v7, 24, v7
	v_lshlrev_b32_e32 v3, 20, v3
	v_and_b32_e32 v7, 0x80000000, v7
	v_lshl_add_u32 v14, v15, 23, v62
	v_or3_b32 v3, v7, v14, v3
.LBB6_4306:                             ;   in Loop: Header=BB6_3657 Depth=2
	s_or_b64 exec, exec, s[30:31]
.LBB6_4307:                             ;   in Loop: Header=BB6_3657 Depth=2
	s_or_b64 exec, exec, s[94:95]
.LBB6_4308:                             ;   in Loop: Header=BB6_3657 Depth=2
	s_or_b64 exec, exec, s[22:23]
	v_max_f32_e32 v3, v3, v3
	v_max_f32_e32 v2, v2, v2
	v_min_f32_e32 v3, v2, v3
.LBB6_4309:                             ;   in Loop: Header=BB6_3657 Depth=2
	v_and_b32_e32 v60, 0x7f800000, v3
	v_cmp_ne_u64_e32 vcc, s[72:73], v[60:61]
                                        ; implicit-def: $vgpr7
	s_mov_b64 s[22:23], exec
	s_and_b64 vcc, s[22:23], vcc
	s_xor_b64 s[94:95], vcc, s[22:23]
	v_mov_b32_e32 v24, v18
	s_mov_b64 exec, vcc
	s_cbranch_execz .LBB6_4327
; %bb.4310:                             ;   in Loop: Header=BB6_3657 Depth=2
	v_and_b32_e32 v60, 0x7fffffff, v3
	v_cmp_gt_u64_e32 vcc, s[74:75], v[60:61]
	v_and_b32_sdwa v2, v3, s53 dst_sel:DWORD dst_unused:UNUSED_PAD src0_sel:BYTE_3 src1_sel:DWORD
                                        ; implicit-def: $vgpr7
	s_and_saveexec_b64 s[22:23], vcc
	s_xor_b64 s[30:31], exec, s[22:23]
	s_cbranch_execz .LBB6_4324
; %bb.4311:                             ;   in Loop: Header=BB6_3657 Depth=2
	v_cmp_ne_u32_e32 vcc, 0, v3
	v_mov_b32_e32 v7, 0
	s_and_saveexec_b64 s[34:35], vcc
	s_cbranch_execz .LBB6_4323
; %bb.4312:                             ;   in Loop: Header=BB6_3657 Depth=2
	v_and_b32_e32 v14, 0x7fffff, v3
	v_bfe_u32 v3, v3, 23, 8
	v_cmp_gt_u32_e64 s[22:23], s64, v3
	v_sub_u32_e32 v7, 0x79, v3
	v_cmp_eq_u32_e32 vcc, 0, v3
	v_cndmask_b32_e64 v7, 0, v7, s[22:23]
	v_mov_b32_e32 v16, 0x78
	v_or_b32_e32 v15, 0x800000, v14
	v_cndmask_b32_e32 v7, v7, v16, vcc
	v_cndmask_b32_e32 v60, v15, v14, vcc
	v_add_u32_e32 v14, 20, v7
	v_lshlrev_b64 v[14:15], v14, -1
	v_add_u32_e32 v16, 19, v7
	s_waitcnt vmcnt(0)
	v_lshlrev_b64 v[24:25], v16, 1
	v_bfi_b32 v15, v15, 0, 0
	v_bfi_b32 v14, v14, 0, v60
	v_cmp_eq_u64_e64 s[22:23], v[14:15], v[24:25]
	v_lshrrev_b64 v[14:15], v7, v[60:61]
	v_mov_b32_e32 v16, v15
	v_mov_b32_e32 v15, v14
	s_and_saveexec_b64 s[36:37], s[22:23]
; %bb.4313:                             ;   in Loop: Header=BB6_3657 Depth=2
	v_bfe_u32 v15, v14, 20, 1
	v_add_co_u32_e64 v15, s[22:23], v14, v15
	v_add_co_u32_e64 v15, s[22:23], -1, v15
; %bb.4314:                             ;   in Loop: Header=BB6_3657 Depth=2
	s_or_b64 exec, exec, s[36:37]
	v_add_u32_e32 v3, 0xffffff81, v3
	v_cndmask_b32_e32 v3, v3, v41, vcc
	v_lshrrev_b32_e32 v16, 23, v14
	v_add3_u32 v16, v7, v3, v16
	v_add_u32_e32 v7, 6, v16
	v_and_b32_e32 v3, 0xfffff, v15
	v_add_u32_e32 v60, v3, v14
	v_cmp_ne_u32_e32 vcc, 0, v7
                                        ; implicit-def: $vgpr14_vgpr15
                                        ; implicit-def: $vgpr3
	s_and_saveexec_b64 s[22:23], vcc
	s_xor_b64 s[22:23], exec, s[22:23]
; %bb.4315:                             ;   in Loop: Header=BB6_3657 Depth=2
	v_cmp_lt_u64_e32 vcc, s[76:77], v[60:61]
	v_add_u32_e32 v3, 7, v16
	v_cndmask_b32_e32 v3, v7, v3, vcc
	v_cndmask_b32_e64 v7, 0, 1, vcc
	v_lshrrev_b64 v[14:15], v7, v[60:61]
; %bb.4316:                             ;   in Loop: Header=BB6_3657 Depth=2
	s_or_saveexec_b64 s[22:23], s[22:23]
	buffer_load_dword v25, off, s[0:3], s33 offset:88 ; 4-byte Folded Reload
	v_mov_b32_e32 v24, v18
	s_xor_b64 exec, exec, s[22:23]
; %bb.4317:                             ;   in Loop: Header=BB6_3657 Depth=2
	v_mov_b32_e32 v14, v60
	v_bfe_u32 v3, v60, 23, 1
	v_mov_b32_e32 v15, v61
; %bb.4318:                             ;   in Loop: Header=BB6_3657 Depth=2
	s_or_b64 exec, exec, s[22:23]
	v_lshrrev_b64 v[14:15], 20, v[14:15]
	v_cmp_gt_i32_e32 vcc, 16, v3
	v_cndmask_b32_e32 v15, 0, v15, vcc
	v_cndmask_b32_e32 v14, 7, v14, vcc
	v_cmp_ne_u64_e32 vcc, 0, v[14:15]
	v_cmp_ne_u32_e64 s[22:23], 0, v3
	s_or_b64 s[22:23], s[22:23], vcc
                                        ; implicit-def: $vgpr7
	s_and_saveexec_b64 vcc, s[22:23]
	s_xor_b64 s[22:23], exec, vcc
; %bb.4319:                             ;   in Loop: Header=BB6_3657 Depth=2
	v_min_i32_e32 v3, 15, v3
	v_lshl_or_b32 v2, v3, 3, v2
	v_and_or_b32 v7, v14, 7, v2
                                        ; implicit-def: $vgpr2
; %bb.4320:                             ;   in Loop: Header=BB6_3657 Depth=2
	s_andn2_saveexec_b64 s[22:23], s[22:23]
; %bb.4321:                             ;   in Loop: Header=BB6_3657 Depth=2
	v_mov_b32_e32 v7, v2
; %bb.4322:                             ;   in Loop: Header=BB6_3657 Depth=2
	s_or_b64 exec, exec, s[22:23]
.LBB6_4323:                             ;   in Loop: Header=BB6_3657 Depth=2
	s_or_b64 exec, exec, s[34:35]
                                        ; implicit-def: $vgpr2
.LBB6_4324:                             ;   in Loop: Header=BB6_3657 Depth=2
	s_andn2_saveexec_b64 s[22:23], s[30:31]
; %bb.4325:                             ;   in Loop: Header=BB6_3657 Depth=2
	v_or_b32_e32 v7, 0x7e, v2
; %bb.4326:                             ;   in Loop: Header=BB6_3657 Depth=2
	s_or_b64 exec, exec, s[22:23]
                                        ; implicit-def: $vgpr3
.LBB6_4327:                             ;   in Loop: Header=BB6_3657 Depth=2
	s_andn2_saveexec_b64 s[22:23], s[94:95]
; %bb.4328:                             ;   in Loop: Header=BB6_3657 Depth=2
	v_or_b32_sdwa v7, v3, s54 dst_sel:DWORD dst_unused:UNUSED_PAD src0_sel:BYTE_3 src1_sel:DWORD
; %bb.4329:                             ;   in Loop: Header=BB6_3657 Depth=2
	s_or_b64 exec, exec, s[22:23]
	v_and_b32_e32 v14, 0xff, v21
	v_cmp_ne_u16_e64 s[22:23], 0, v14
	s_and_b64 vcc, exec, s[20:21]
	s_mov_b64 s[94:95], -1
                                        ; implicit-def: $vgpr3
	s_cbranch_vccnz .LBB6_4343
; %bb.4330:                             ;   in Loop: Header=BB6_3657 Depth=2
	v_mov_b32_e32 v3, 0
	v_mov_b32_e32 v2, 0
	s_and_saveexec_b64 s[94:95], s[22:23]
	s_cbranch_execz .LBB6_4336
; %bb.4331:                             ;   in Loop: Header=BB6_3657 Depth=2
	v_cmp_ne_u16_e32 vcc, s53, v14
	v_bfrev_b32_e32 v2, 1
	s_and_saveexec_b64 s[30:31], vcc
	s_cbranch_execz .LBB6_4335
; %bb.4332:                             ;   in Loop: Header=BB6_3657 Depth=2
	v_and_b32_e32 v15, 0x7f, v21
	v_cmp_ne_u32_e32 vcc, s54, v15
	v_mov_b32_e32 v2, 0x7f800001
	s_and_saveexec_b64 s[34:35], vcc
	s_cbranch_execz .LBB6_4334
; %bb.4333:                             ;   in Loop: Header=BB6_3657 Depth=2
	v_and_b32_e32 v2, 7, v14
	v_lshrrev_b32_e32 v24, 3, v15
	v_cmp_gt_u32_e32 vcc, 8, v15
	v_ffbh_u32_e32 v15, v2
	s_waitcnt vmcnt(0)
	v_min_u32_e32 v25, 32, v15
	v_subrev_u32_e32 v15, 28, v25
	v_lshlrev_b64 v[15:16], v15, v[14:15]
	v_sub_u32_e32 v16, 29, v25
	buffer_load_dword v25, off, s[0:3], s33 offset:88 ; 4-byte Folded Reload
	v_and_b32_e32 v15, 7, v15
	v_cndmask_b32_e32 v16, v24, v16, vcc
	v_cndmask_b32_e32 v2, v2, v15, vcc
	v_lshlrev_b32_e32 v15, 24, v21
	v_lshlrev_b32_e32 v2, 20, v2
	v_and_b32_e32 v15, 0x80000000, v15
	v_lshl_add_u32 v16, v16, 23, v62
	v_mov_b32_e32 v24, v18
	v_or3_b32 v2, v15, v16, v2
.LBB6_4334:                             ;   in Loop: Header=BB6_3657 Depth=2
	s_or_b64 exec, exec, s[34:35]
.LBB6_4335:                             ;   in Loop: Header=BB6_3657 Depth=2
	s_or_b64 exec, exec, s[30:31]
.LBB6_4336:                             ;   in Loop: Header=BB6_3657 Depth=2
	s_or_b64 exec, exec, s[94:95]
	v_and_b32_e32 v15, 0xff, v23
	v_cmp_ne_u16_e32 vcc, 0, v15
	s_and_saveexec_b64 s[94:95], vcc
	s_cbranch_execz .LBB6_4342
; %bb.4337:                             ;   in Loop: Header=BB6_3657 Depth=2
	v_cmp_ne_u16_e32 vcc, s53, v15
	v_bfrev_b32_e32 v3, 1
	s_and_saveexec_b64 s[30:31], vcc
	s_cbranch_execz .LBB6_4341
; %bb.4338:                             ;   in Loop: Header=BB6_3657 Depth=2
	v_and_b32_e32 v16, 0x7f, v23
	v_cmp_ne_u32_e32 vcc, s54, v16
	v_mov_b32_e32 v3, 0x7f800001
	s_and_saveexec_b64 s[34:35], vcc
	s_cbranch_execz .LBB6_4340
; %bb.4339:                             ;   in Loop: Header=BB6_3657 Depth=2
	v_and_b32_e32 v3, 7, v15
	v_lshrrev_b32_e32 v24, 3, v16
	v_cmp_gt_u32_e32 vcc, 8, v16
	v_ffbh_u32_e32 v16, v3
	s_waitcnt vmcnt(0)
	v_min_u32_e32 v25, 32, v16
	v_subrev_u32_e32 v16, 28, v25
	v_lshlrev_b64 v[15:16], v16, v[15:16]
	v_sub_u32_e32 v16, 29, v25
	buffer_load_dword v25, off, s[0:3], s33 offset:88 ; 4-byte Folded Reload
	v_and_b32_e32 v15, 7, v15
	v_cndmask_b32_e32 v16, v24, v16, vcc
	v_cndmask_b32_e32 v3, v3, v15, vcc
	v_lshlrev_b32_e32 v15, 24, v23
	v_lshlrev_b32_e32 v3, 20, v3
	v_and_b32_e32 v15, 0x80000000, v15
	v_lshl_add_u32 v16, v16, 23, v62
	v_mov_b32_e32 v24, v18
	v_or3_b32 v3, v15, v16, v3
.LBB6_4340:                             ;   in Loop: Header=BB6_3657 Depth=2
	s_or_b64 exec, exec, s[34:35]
.LBB6_4341:                             ;   in Loop: Header=BB6_3657 Depth=2
	s_or_b64 exec, exec, s[30:31]
.LBB6_4342:                             ;   in Loop: Header=BB6_3657 Depth=2
	s_or_b64 exec, exec, s[94:95]
	v_max_f32_e32 v3, v3, v3
	v_max_f32_e32 v2, v2, v2
	;; [unrolled: 1-line block ×3, first 2 shown]
	s_mov_b64 s[94:95], 0
.LBB6_4343:                             ;   in Loop: Header=BB6_3657 Depth=2
	s_and_b64 vcc, exec, s[94:95]
	s_cbranch_vccz .LBB6_4357
; %bb.4344:                             ;   in Loop: Header=BB6_3657 Depth=2
	v_mov_b32_e32 v3, 0
	v_mov_b32_e32 v2, 0
	s_and_saveexec_b64 s[94:95], s[22:23]
	s_cbranch_execz .LBB6_4350
; %bb.4345:                             ;   in Loop: Header=BB6_3657 Depth=2
	v_cmp_ne_u16_e32 vcc, s53, v14
	v_bfrev_b32_e32 v2, 1
	s_and_saveexec_b64 s[22:23], vcc
	s_cbranch_execz .LBB6_4349
; %bb.4346:                             ;   in Loop: Header=BB6_3657 Depth=2
	v_and_b32_e32 v15, 0x7f, v21
	v_cmp_ne_u32_e32 vcc, s54, v15
	v_mov_b32_e32 v2, 0x7f800001
	s_and_saveexec_b64 s[30:31], vcc
	s_cbranch_execz .LBB6_4348
; %bb.4347:                             ;   in Loop: Header=BB6_3657 Depth=2
	v_and_b32_e32 v2, 7, v14
	v_lshrrev_b32_e32 v16, 3, v15
	v_cmp_gt_u32_e32 vcc, 8, v15
	v_ffbh_u32_e32 v15, v2
	v_min_u32_e32 v24, 32, v15
	v_subrev_u32_e32 v15, 28, v24
	v_lshlrev_b64 v[14:15], v15, v[14:15]
	v_sub_u32_e32 v15, 29, v24
	v_and_b32_e32 v14, 7, v14
	v_cndmask_b32_e32 v15, v16, v15, vcc
	v_cndmask_b32_e32 v2, v2, v14, vcc
	v_lshlrev_b32_e32 v14, 24, v21
	v_lshlrev_b32_e32 v2, 20, v2
	v_and_b32_e32 v14, 0x80000000, v14
	v_lshl_add_u32 v15, v15, 23, v62
	v_mov_b32_e32 v24, v18
	v_or3_b32 v2, v14, v15, v2
.LBB6_4348:                             ;   in Loop: Header=BB6_3657 Depth=2
	s_or_b64 exec, exec, s[30:31]
.LBB6_4349:                             ;   in Loop: Header=BB6_3657 Depth=2
	s_or_b64 exec, exec, s[22:23]
.LBB6_4350:                             ;   in Loop: Header=BB6_3657 Depth=2
	s_or_b64 exec, exec, s[94:95]
	v_and_b32_e32 v14, 0xff, v23
	v_cmp_ne_u16_e32 vcc, 0, v14
	s_and_saveexec_b64 s[22:23], vcc
	s_cbranch_execz .LBB6_4356
; %bb.4351:                             ;   in Loop: Header=BB6_3657 Depth=2
	v_cmp_ne_u16_e32 vcc, s53, v14
	v_bfrev_b32_e32 v3, 1
	s_and_saveexec_b64 s[94:95], vcc
	s_cbranch_execz .LBB6_4355
; %bb.4352:                             ;   in Loop: Header=BB6_3657 Depth=2
	v_and_b32_e32 v15, 0x7f, v23
	v_cmp_ne_u32_e32 vcc, s54, v15
	v_mov_b32_e32 v3, 0x7f800001
	s_and_saveexec_b64 s[30:31], vcc
	s_cbranch_execz .LBB6_4354
; %bb.4353:                             ;   in Loop: Header=BB6_3657 Depth=2
	v_and_b32_e32 v3, 7, v14
	v_lshrrev_b32_e32 v16, 3, v15
	v_cmp_gt_u32_e32 vcc, 8, v15
	v_ffbh_u32_e32 v15, v3
	v_min_u32_e32 v24, 32, v15
	v_subrev_u32_e32 v15, 28, v24
	v_lshlrev_b64 v[14:15], v15, v[14:15]
	v_sub_u32_e32 v15, 29, v24
	v_and_b32_e32 v14, 7, v14
	v_cndmask_b32_e32 v15, v16, v15, vcc
	v_cndmask_b32_e32 v3, v3, v14, vcc
	v_lshlrev_b32_e32 v14, 24, v23
	v_lshlrev_b32_e32 v3, 20, v3
	v_and_b32_e32 v14, 0x80000000, v14
	v_lshl_add_u32 v15, v15, 23, v62
	v_mov_b32_e32 v24, v18
	v_or3_b32 v3, v14, v15, v3
.LBB6_4354:                             ;   in Loop: Header=BB6_3657 Depth=2
	s_or_b64 exec, exec, s[30:31]
.LBB6_4355:                             ;   in Loop: Header=BB6_3657 Depth=2
	s_or_b64 exec, exec, s[94:95]
.LBB6_4356:                             ;   in Loop: Header=BB6_3657 Depth=2
	s_or_b64 exec, exec, s[22:23]
	v_max_f32_e32 v3, v3, v3
	v_max_f32_e32 v2, v2, v2
	v_min_f32_e32 v3, v2, v3
.LBB6_4357:                             ;   in Loop: Header=BB6_3657 Depth=2
	v_and_b32_e32 v60, 0x7f800000, v3
	v_cmp_ne_u64_e32 vcc, s[72:73], v[60:61]
                                        ; implicit-def: $vgpr23
	s_mov_b64 s[22:23], exec
	buffer_load_dword v32, off, s[0:3], s33 offset:144 ; 4-byte Folded Reload
	s_and_b64 vcc, s[22:23], vcc
	s_xor_b64 s[94:95], vcc, s[22:23]
	s_mov_b64 exec, vcc
	s_cbranch_execz .LBB6_4375
; %bb.4358:                             ;   in Loop: Header=BB6_3657 Depth=2
	v_and_b32_e32 v60, 0x7fffffff, v3
	v_cmp_gt_u64_e32 vcc, s[74:75], v[60:61]
	v_and_b32_sdwa v2, v3, s53 dst_sel:DWORD dst_unused:UNUSED_PAD src0_sel:BYTE_3 src1_sel:DWORD
                                        ; implicit-def: $vgpr23
	s_and_saveexec_b64 s[22:23], vcc
	s_xor_b64 s[30:31], exec, s[22:23]
	s_cbranch_execz .LBB6_4372
; %bb.4359:                             ;   in Loop: Header=BB6_3657 Depth=2
	v_cmp_ne_u32_e32 vcc, 0, v3
	v_mov_b32_e32 v23, 0
	s_and_saveexec_b64 s[34:35], vcc
	s_cbranch_execz .LBB6_4371
; %bb.4360:                             ;   in Loop: Header=BB6_3657 Depth=2
	v_and_b32_e32 v14, 0x7fffff, v3
	v_bfe_u32 v3, v3, 23, 8
	v_cmp_gt_u32_e64 s[22:23], s64, v3
	v_sub_u32_e32 v15, 0x79, v3
	v_cmp_eq_u32_e32 vcc, 0, v3
	v_cndmask_b32_e64 v15, 0, v15, s[22:23]
	v_mov_b32_e32 v23, 0x78
	v_or_b32_e32 v16, 0x800000, v14
	v_cndmask_b32_e32 v23, v15, v23, vcc
	v_cndmask_b32_e32 v60, v16, v14, vcc
	v_add_u32_e32 v14, 20, v23
	v_lshlrev_b64 v[14:15], v14, -1
	v_add_u32_e32 v16, 19, v23
	s_waitcnt vmcnt(1)
	v_lshlrev_b64 v[24:25], v16, 1
	v_bfi_b32 v15, v15, 0, 0
	v_bfi_b32 v14, v14, 0, v60
	v_cmp_eq_u64_e64 s[22:23], v[14:15], v[24:25]
	v_lshrrev_b64 v[14:15], v23, v[60:61]
	v_mov_b32_e32 v16, v15
	v_mov_b32_e32 v15, v14
	s_and_saveexec_b64 s[36:37], s[22:23]
; %bb.4361:                             ;   in Loop: Header=BB6_3657 Depth=2
	v_bfe_u32 v15, v14, 20, 1
	v_add_co_u32_e64 v15, s[22:23], v14, v15
	v_add_co_u32_e64 v15, s[22:23], -1, v15
; %bb.4362:                             ;   in Loop: Header=BB6_3657 Depth=2
	s_or_b64 exec, exec, s[36:37]
	v_add_u32_e32 v3, 0xffffff81, v3
	v_cndmask_b32_e32 v3, v3, v41, vcc
	v_lshrrev_b32_e32 v16, 23, v14
	v_add3_u32 v23, v23, v3, v16
	v_add_u32_e32 v16, 6, v23
	v_and_b32_e32 v3, 0xfffff, v15
	v_add_u32_e32 v60, v3, v14
	v_cmp_ne_u32_e32 vcc, 0, v16
                                        ; implicit-def: $vgpr14_vgpr15
                                        ; implicit-def: $vgpr3
	s_and_saveexec_b64 s[22:23], vcc
	s_xor_b64 s[22:23], exec, s[22:23]
; %bb.4363:                             ;   in Loop: Header=BB6_3657 Depth=2
	v_cmp_lt_u64_e32 vcc, s[76:77], v[60:61]
	v_add_u32_e32 v3, 7, v23
	v_cndmask_b32_e64 v14, 0, 1, vcc
	v_lshrrev_b64 v[14:15], v14, v[60:61]
	v_cndmask_b32_e32 v3, v16, v3, vcc
; %bb.4364:                             ;   in Loop: Header=BB6_3657 Depth=2
	s_or_saveexec_b64 s[22:23], s[22:23]
	buffer_load_dword v25, off, s[0:3], s33 offset:88 ; 4-byte Folded Reload
	v_mov_b32_e32 v24, v18
	s_xor_b64 exec, exec, s[22:23]
; %bb.4365:                             ;   in Loop: Header=BB6_3657 Depth=2
	v_mov_b32_e32 v14, v60
	v_bfe_u32 v3, v60, 23, 1
	v_mov_b32_e32 v15, v61
; %bb.4366:                             ;   in Loop: Header=BB6_3657 Depth=2
	s_or_b64 exec, exec, s[22:23]
	v_lshrrev_b64 v[14:15], 20, v[14:15]
	v_cmp_gt_i32_e32 vcc, 16, v3
	v_cndmask_b32_e32 v15, 0, v15, vcc
	v_cndmask_b32_e32 v14, 7, v14, vcc
	v_cmp_ne_u64_e32 vcc, 0, v[14:15]
	v_cmp_ne_u32_e64 s[22:23], 0, v3
	s_or_b64 s[22:23], s[22:23], vcc
                                        ; implicit-def: $vgpr23
	s_and_saveexec_b64 vcc, s[22:23]
	s_xor_b64 s[22:23], exec, vcc
; %bb.4367:                             ;   in Loop: Header=BB6_3657 Depth=2
	v_min_i32_e32 v3, 15, v3
	v_lshl_or_b32 v2, v3, 3, v2
	v_and_or_b32 v23, v14, 7, v2
                                        ; implicit-def: $vgpr2
; %bb.4368:                             ;   in Loop: Header=BB6_3657 Depth=2
	s_andn2_saveexec_b64 s[22:23], s[22:23]
; %bb.4369:                             ;   in Loop: Header=BB6_3657 Depth=2
	v_mov_b32_e32 v23, v2
; %bb.4370:                             ;   in Loop: Header=BB6_3657 Depth=2
	s_or_b64 exec, exec, s[22:23]
.LBB6_4371:                             ;   in Loop: Header=BB6_3657 Depth=2
	s_or_b64 exec, exec, s[34:35]
                                        ; implicit-def: $vgpr2
.LBB6_4372:                             ;   in Loop: Header=BB6_3657 Depth=2
	s_andn2_saveexec_b64 s[22:23], s[30:31]
; %bb.4373:                             ;   in Loop: Header=BB6_3657 Depth=2
	v_or_b32_e32 v23, 0x7e, v2
; %bb.4374:                             ;   in Loop: Header=BB6_3657 Depth=2
	s_or_b64 exec, exec, s[22:23]
                                        ; implicit-def: $vgpr3
.LBB6_4375:                             ;   in Loop: Header=BB6_3657 Depth=2
	s_andn2_saveexec_b64 s[22:23], s[94:95]
; %bb.4376:                             ;   in Loop: Header=BB6_3657 Depth=2
	v_or_b32_sdwa v23, v3, s54 dst_sel:DWORD dst_unused:UNUSED_PAD src0_sel:BYTE_3 src1_sel:DWORD
; %bb.4377:                             ;   in Loop: Header=BB6_3657 Depth=2
	s_or_b64 exec, exec, s[22:23]
	buffer_load_dword v2, off, s[0:3], s33 offset:124 ; 4-byte Folded Reload
	s_and_b64 vcc, exec, s[20:21]
	s_mov_b64 s[94:95], -1
                                        ; implicit-def: $vgpr3
	s_waitcnt vmcnt(0)
	v_and_b32_e32 v14, 0xff, v2
	v_cmp_ne_u16_e64 s[22:23], 0, v14
	s_cbranch_vccnz .LBB6_4391
; %bb.4378:                             ;   in Loop: Header=BB6_3657 Depth=2
	v_mov_b32_e32 v3, 0
	v_mov_b32_e32 v2, 0
	s_and_saveexec_b64 s[94:95], s[22:23]
	s_cbranch_execz .LBB6_4384
; %bb.4379:                             ;   in Loop: Header=BB6_3657 Depth=2
	v_cmp_ne_u16_e32 vcc, s53, v14
	v_bfrev_b32_e32 v2, 1
	s_and_saveexec_b64 s[30:31], vcc
	s_cbranch_execz .LBB6_4383
; %bb.4380:                             ;   in Loop: Header=BB6_3657 Depth=2
	buffer_load_dword v2, off, s[0:3], s33 offset:124 ; 4-byte Folded Reload
	s_waitcnt vmcnt(0)
	v_and_b32_e32 v15, 0x7f, v2
	v_cmp_ne_u32_e32 vcc, s54, v15
	v_mov_b32_e32 v2, 0x7f800001
	s_and_saveexec_b64 s[34:35], vcc
	s_cbranch_execz .LBB6_4382
; %bb.4381:                             ;   in Loop: Header=BB6_3657 Depth=2
	v_and_b32_e32 v2, 7, v14
	v_lshrrev_b32_e32 v24, 3, v15
	v_cmp_gt_u32_e32 vcc, 8, v15
	v_ffbh_u32_e32 v15, v2
	v_min_u32_e32 v25, 32, v15
	v_subrev_u32_e32 v15, 28, v25
	v_lshlrev_b64 v[15:16], v15, v[14:15]
	v_sub_u32_e32 v16, 29, v25
	v_and_b32_e32 v15, 7, v15
	buffer_load_dword v25, off, s[0:3], s33 offset:88 ; 4-byte Folded Reload
	v_cndmask_b32_e32 v2, v2, v15, vcc
	buffer_load_dword v15, off, s[0:3], s33 offset:124 ; 4-byte Folded Reload
	v_cndmask_b32_e32 v16, v24, v16, vcc
	v_lshlrev_b32_e32 v2, 20, v2
	v_lshl_add_u32 v16, v16, 23, v62
	v_mov_b32_e32 v24, v18
	s_waitcnt vmcnt(0)
	v_lshlrev_b32_e32 v15, 24, v15
	v_and_b32_e32 v15, 0x80000000, v15
	v_or3_b32 v2, v15, v16, v2
.LBB6_4382:                             ;   in Loop: Header=BB6_3657 Depth=2
	s_or_b64 exec, exec, s[34:35]
.LBB6_4383:                             ;   in Loop: Header=BB6_3657 Depth=2
	s_or_b64 exec, exec, s[30:31]
.LBB6_4384:                             ;   in Loop: Header=BB6_3657 Depth=2
	s_or_b64 exec, exec, s[94:95]
	buffer_load_dword v15, off, s[0:3], s33 offset:120 ; 4-byte Folded Reload
	s_waitcnt vmcnt(0)
	v_and_b32_e32 v15, 0xff, v15
	v_cmp_ne_u16_e32 vcc, 0, v15
	s_and_saveexec_b64 s[94:95], vcc
	s_cbranch_execz .LBB6_4390
; %bb.4385:                             ;   in Loop: Header=BB6_3657 Depth=2
	v_cmp_ne_u16_e32 vcc, s53, v15
	v_bfrev_b32_e32 v3, 1
	s_and_saveexec_b64 s[30:31], vcc
	s_cbranch_execz .LBB6_4389
; %bb.4386:                             ;   in Loop: Header=BB6_3657 Depth=2
	buffer_load_dword v3, off, s[0:3], s33 offset:120 ; 4-byte Folded Reload
	s_waitcnt vmcnt(0)
	v_and_b32_e32 v16, 0x7f, v3
	v_cmp_ne_u32_e32 vcc, s54, v16
	v_mov_b32_e32 v3, 0x7f800001
	s_and_saveexec_b64 s[34:35], vcc
	s_cbranch_execz .LBB6_4388
; %bb.4387:                             ;   in Loop: Header=BB6_3657 Depth=2
	v_and_b32_e32 v3, 7, v15
	v_lshrrev_b32_e32 v24, 3, v16
	v_cmp_gt_u32_e32 vcc, 8, v16
	v_ffbh_u32_e32 v16, v3
	v_min_u32_e32 v25, 32, v16
	v_subrev_u32_e32 v16, 28, v25
	v_lshlrev_b64 v[15:16], v16, v[15:16]
	v_sub_u32_e32 v16, 29, v25
	v_and_b32_e32 v15, 7, v15
	buffer_load_dword v25, off, s[0:3], s33 offset:88 ; 4-byte Folded Reload
	v_cndmask_b32_e32 v3, v3, v15, vcc
	buffer_load_dword v15, off, s[0:3], s33 offset:120 ; 4-byte Folded Reload
	v_cndmask_b32_e32 v16, v24, v16, vcc
	v_lshlrev_b32_e32 v3, 20, v3
	v_lshl_add_u32 v16, v16, 23, v62
	v_mov_b32_e32 v24, v18
	s_waitcnt vmcnt(0)
	v_lshlrev_b32_e32 v15, 24, v15
	v_and_b32_e32 v15, 0x80000000, v15
	v_or3_b32 v3, v15, v16, v3
.LBB6_4388:                             ;   in Loop: Header=BB6_3657 Depth=2
	s_or_b64 exec, exec, s[34:35]
.LBB6_4389:                             ;   in Loop: Header=BB6_3657 Depth=2
	s_or_b64 exec, exec, s[30:31]
.LBB6_4390:                             ;   in Loop: Header=BB6_3657 Depth=2
	s_or_b64 exec, exec, s[94:95]
	v_max_f32_e32 v3, v3, v3
	v_max_f32_e32 v2, v2, v2
	;; [unrolled: 1-line block ×3, first 2 shown]
	s_mov_b64 s[94:95], 0
.LBB6_4391:                             ;   in Loop: Header=BB6_3657 Depth=2
	s_and_b64 vcc, exec, s[94:95]
	s_cbranch_vccz .LBB6_4405
; %bb.4392:                             ;   in Loop: Header=BB6_3657 Depth=2
	v_mov_b32_e32 v3, 0
	v_mov_b32_e32 v2, 0
	s_and_saveexec_b64 s[94:95], s[22:23]
	s_cbranch_execz .LBB6_4398
; %bb.4393:                             ;   in Loop: Header=BB6_3657 Depth=2
	v_cmp_ne_u16_e32 vcc, s53, v14
	v_bfrev_b32_e32 v2, 1
	s_and_saveexec_b64 s[22:23], vcc
	s_cbranch_execz .LBB6_4397
; %bb.4394:                             ;   in Loop: Header=BB6_3657 Depth=2
	buffer_load_dword v21, off, s[0:3], s33 offset:124 ; 4-byte Folded Reload
	v_mov_b32_e32 v2, 0x7f800001
	s_waitcnt vmcnt(0)
	v_and_b32_e32 v15, 0x7f, v21
	v_cmp_ne_u32_e32 vcc, s54, v15
	s_and_saveexec_b64 s[30:31], vcc
	s_cbranch_execz .LBB6_4396
; %bb.4395:                             ;   in Loop: Header=BB6_3657 Depth=2
	v_and_b32_e32 v2, 7, v14
	v_lshrrev_b32_e32 v16, 3, v15
	v_cmp_gt_u32_e32 vcc, 8, v15
	v_ffbh_u32_e32 v15, v2
	v_min_u32_e32 v24, 32, v15
	v_subrev_u32_e32 v15, 28, v24
	v_lshlrev_b64 v[14:15], v15, v[14:15]
	v_sub_u32_e32 v15, 29, v24
	v_and_b32_e32 v14, 7, v14
	v_cndmask_b32_e32 v15, v16, v15, vcc
	v_cndmask_b32_e32 v2, v2, v14, vcc
	v_lshlrev_b32_e32 v14, 24, v21
	v_lshlrev_b32_e32 v2, 20, v2
	v_and_b32_e32 v14, 0x80000000, v14
	v_lshl_add_u32 v15, v15, 23, v62
	v_mov_b32_e32 v24, v18
	v_or3_b32 v2, v14, v15, v2
.LBB6_4396:                             ;   in Loop: Header=BB6_3657 Depth=2
	s_or_b64 exec, exec, s[30:31]
.LBB6_4397:                             ;   in Loop: Header=BB6_3657 Depth=2
	s_or_b64 exec, exec, s[22:23]
.LBB6_4398:                             ;   in Loop: Header=BB6_3657 Depth=2
	s_or_b64 exec, exec, s[94:95]
	buffer_load_dword v14, off, s[0:3], s33 offset:120 ; 4-byte Folded Reload
	s_waitcnt vmcnt(0)
	v_and_b32_e32 v14, 0xff, v14
	v_cmp_ne_u16_e32 vcc, 0, v14
	s_and_saveexec_b64 s[22:23], vcc
	s_cbranch_execz .LBB6_4404
; %bb.4399:                             ;   in Loop: Header=BB6_3657 Depth=2
	v_cmp_ne_u16_e32 vcc, s53, v14
	v_bfrev_b32_e32 v3, 1
	s_and_saveexec_b64 s[94:95], vcc
	s_cbranch_execz .LBB6_4403
; %bb.4400:                             ;   in Loop: Header=BB6_3657 Depth=2
	buffer_load_dword v21, off, s[0:3], s33 offset:120 ; 4-byte Folded Reload
	v_mov_b32_e32 v3, 0x7f800001
	s_waitcnt vmcnt(0)
	v_and_b32_e32 v15, 0x7f, v21
	v_cmp_ne_u32_e32 vcc, s54, v15
	s_and_saveexec_b64 s[30:31], vcc
	s_cbranch_execz .LBB6_4402
; %bb.4401:                             ;   in Loop: Header=BB6_3657 Depth=2
	v_and_b32_e32 v3, 7, v14
	v_lshrrev_b32_e32 v16, 3, v15
	v_cmp_gt_u32_e32 vcc, 8, v15
	v_ffbh_u32_e32 v15, v3
	v_min_u32_e32 v22, 32, v15
	v_subrev_u32_e32 v15, 28, v22
	v_lshlrev_b64 v[14:15], v15, v[14:15]
	v_sub_u32_e32 v15, 29, v22
	buffer_load_dword v22, off, s[0:3], s33 offset:128 ; 4-byte Folded Reload
	v_and_b32_e32 v14, 7, v14
	v_cndmask_b32_e32 v15, v16, v15, vcc
	v_cndmask_b32_e32 v3, v3, v14, vcc
	v_lshlrev_b32_e32 v14, 24, v21
	v_lshlrev_b32_e32 v3, 20, v3
	v_and_b32_e32 v14, 0x80000000, v14
	v_lshl_add_u32 v15, v15, 23, v62
	v_or3_b32 v3, v14, v15, v3
.LBB6_4402:                             ;   in Loop: Header=BB6_3657 Depth=2
	s_or_b64 exec, exec, s[30:31]
.LBB6_4403:                             ;   in Loop: Header=BB6_3657 Depth=2
	s_or_b64 exec, exec, s[94:95]
.LBB6_4404:                             ;   in Loop: Header=BB6_3657 Depth=2
	s_or_b64 exec, exec, s[22:23]
	v_max_f32_e32 v3, v3, v3
	v_max_f32_e32 v2, v2, v2
	v_min_f32_e32 v3, v2, v3
.LBB6_4405:                             ;   in Loop: Header=BB6_3657 Depth=2
	v_and_b32_e32 v60, 0x7f800000, v3
	v_cmp_ne_u64_e32 vcc, s[72:73], v[60:61]
                                        ; implicit-def: $vgpr21
	s_and_saveexec_b64 s[22:23], vcc
	s_xor_b64 s[94:95], exec, s[22:23]
	s_cbranch_execz .LBB6_4423
; %bb.4406:                             ;   in Loop: Header=BB6_3657 Depth=2
	v_and_b32_e32 v60, 0x7fffffff, v3
	v_cmp_gt_u64_e32 vcc, s[74:75], v[60:61]
	v_and_b32_sdwa v2, v3, s53 dst_sel:DWORD dst_unused:UNUSED_PAD src0_sel:BYTE_3 src1_sel:DWORD
                                        ; implicit-def: $vgpr21
	s_and_saveexec_b64 s[22:23], vcc
	s_xor_b64 s[30:31], exec, s[22:23]
	s_cbranch_execz .LBB6_4420
; %bb.4407:                             ;   in Loop: Header=BB6_3657 Depth=2
	v_cmp_ne_u32_e32 vcc, 0, v3
	v_mov_b32_e32 v21, 0
	s_and_saveexec_b64 s[34:35], vcc
	s_cbranch_execz .LBB6_4419
; %bb.4408:                             ;   in Loop: Header=BB6_3657 Depth=2
	v_and_b32_e32 v14, 0x7fffff, v3
	v_bfe_u32 v3, v3, 23, 8
	v_cmp_gt_u32_e64 s[22:23], s64, v3
	v_sub_u32_e32 v15, 0x79, v3
	v_cmp_eq_u32_e32 vcc, 0, v3
	v_cndmask_b32_e64 v15, 0, v15, s[22:23]
	v_mov_b32_e32 v21, 0x78
	v_or_b32_e32 v16, 0x800000, v14
	v_cndmask_b32_e32 v21, v15, v21, vcc
	v_cndmask_b32_e32 v60, v16, v14, vcc
	v_add_u32_e32 v14, 20, v21
	v_lshlrev_b64 v[14:15], v14, -1
	v_add_u32_e32 v16, 19, v21
	v_lshlrev_b64 v[24:25], v16, 1
	v_bfi_b32 v15, v15, 0, 0
	v_bfi_b32 v14, v14, 0, v60
	v_cmp_eq_u64_e64 s[22:23], v[14:15], v[24:25]
	v_lshrrev_b64 v[14:15], v21, v[60:61]
	v_mov_b32_e32 v16, v15
	v_mov_b32_e32 v15, v14
	s_and_saveexec_b64 s[36:37], s[22:23]
; %bb.4409:                             ;   in Loop: Header=BB6_3657 Depth=2
	v_bfe_u32 v15, v14, 20, 1
	v_add_co_u32_e64 v15, s[22:23], v14, v15
	v_add_co_u32_e64 v15, s[22:23], -1, v15
; %bb.4410:                             ;   in Loop: Header=BB6_3657 Depth=2
	s_or_b64 exec, exec, s[36:37]
	v_add_u32_e32 v3, 0xffffff81, v3
	v_cndmask_b32_e32 v3, v3, v41, vcc
	v_lshrrev_b32_e32 v16, 23, v14
	v_add3_u32 v21, v21, v3, v16
	v_add_u32_e32 v16, 6, v21
	v_and_b32_e32 v3, 0xfffff, v15
	v_add_u32_e32 v60, v3, v14
	v_cmp_ne_u32_e32 vcc, 0, v16
                                        ; implicit-def: $vgpr14_vgpr15
                                        ; implicit-def: $vgpr3
	s_and_saveexec_b64 s[22:23], vcc
	s_xor_b64 s[22:23], exec, s[22:23]
; %bb.4411:                             ;   in Loop: Header=BB6_3657 Depth=2
	v_cmp_lt_u64_e32 vcc, s[76:77], v[60:61]
	v_add_u32_e32 v3, 7, v21
	v_cndmask_b32_e64 v14, 0, 1, vcc
	v_lshrrev_b64 v[14:15], v14, v[60:61]
	v_cndmask_b32_e32 v3, v16, v3, vcc
; %bb.4412:                             ;   in Loop: Header=BB6_3657 Depth=2
	s_or_saveexec_b64 s[22:23], s[22:23]
	buffer_load_dword v25, off, s[0:3], s33 offset:88 ; 4-byte Folded Reload
	v_mov_b32_e32 v24, v18
	s_xor_b64 exec, exec, s[22:23]
; %bb.4413:                             ;   in Loop: Header=BB6_3657 Depth=2
	v_mov_b32_e32 v14, v60
	v_bfe_u32 v3, v60, 23, 1
	v_mov_b32_e32 v15, v61
; %bb.4414:                             ;   in Loop: Header=BB6_3657 Depth=2
	s_or_b64 exec, exec, s[22:23]
	v_lshrrev_b64 v[14:15], 20, v[14:15]
	v_cmp_gt_i32_e32 vcc, 16, v3
	v_cndmask_b32_e32 v15, 0, v15, vcc
	v_cndmask_b32_e32 v14, 7, v14, vcc
	v_cmp_ne_u64_e32 vcc, 0, v[14:15]
	v_cmp_ne_u32_e64 s[22:23], 0, v3
	s_or_b64 s[22:23], s[22:23], vcc
                                        ; implicit-def: $vgpr21
	s_and_saveexec_b64 vcc, s[22:23]
	s_xor_b64 s[22:23], exec, vcc
; %bb.4415:                             ;   in Loop: Header=BB6_3657 Depth=2
	v_min_i32_e32 v3, 15, v3
	v_lshl_or_b32 v2, v3, 3, v2
	v_and_or_b32 v21, v14, 7, v2
                                        ; implicit-def: $vgpr2
; %bb.4416:                             ;   in Loop: Header=BB6_3657 Depth=2
	s_andn2_saveexec_b64 s[22:23], s[22:23]
; %bb.4417:                             ;   in Loop: Header=BB6_3657 Depth=2
	v_mov_b32_e32 v21, v2
; %bb.4418:                             ;   in Loop: Header=BB6_3657 Depth=2
	s_or_b64 exec, exec, s[22:23]
.LBB6_4419:                             ;   in Loop: Header=BB6_3657 Depth=2
	s_or_b64 exec, exec, s[34:35]
                                        ; implicit-def: $vgpr2
.LBB6_4420:                             ;   in Loop: Header=BB6_3657 Depth=2
	s_andn2_saveexec_b64 s[22:23], s[30:31]
; %bb.4421:                             ;   in Loop: Header=BB6_3657 Depth=2
	v_or_b32_e32 v21, 0x7e, v2
; %bb.4422:                             ;   in Loop: Header=BB6_3657 Depth=2
	s_or_b64 exec, exec, s[22:23]
                                        ; implicit-def: $vgpr3
.LBB6_4423:                             ;   in Loop: Header=BB6_3657 Depth=2
	s_andn2_saveexec_b64 s[22:23], s[94:95]
; %bb.4424:                             ;   in Loop: Header=BB6_3657 Depth=2
	v_or_b32_sdwa v21, v3, s54 dst_sel:DWORD dst_unused:UNUSED_PAD src0_sel:BYTE_3 src1_sel:DWORD
; %bb.4425:                             ;   in Loop: Header=BB6_3657 Depth=2
	s_or_b64 exec, exec, s[22:23]
	s_waitcnt vmcnt(0)
	v_and_b32_e32 v14, 0xff, v22
	v_cmp_ne_u16_e64 s[22:23], 0, v14
	s_and_b64 vcc, exec, s[20:21]
	s_mov_b64 s[94:95], -1
                                        ; implicit-def: $vgpr3
	s_cbranch_vccnz .LBB6_4439
; %bb.4426:                             ;   in Loop: Header=BB6_3657 Depth=2
	v_mov_b32_e32 v3, 0
	v_mov_b32_e32 v2, 0
	s_and_saveexec_b64 s[94:95], s[22:23]
	s_cbranch_execz .LBB6_4432
; %bb.4427:                             ;   in Loop: Header=BB6_3657 Depth=2
	v_cmp_ne_u16_e32 vcc, s53, v14
	v_bfrev_b32_e32 v2, 1
	s_and_saveexec_b64 s[30:31], vcc
	s_cbranch_execz .LBB6_4431
; %bb.4428:                             ;   in Loop: Header=BB6_3657 Depth=2
	v_and_b32_e32 v15, 0x7f, v22
	v_cmp_ne_u32_e32 vcc, s54, v15
	v_mov_b32_e32 v2, 0x7f800001
	s_and_saveexec_b64 s[34:35], vcc
	s_cbranch_execz .LBB6_4430
; %bb.4429:                             ;   in Loop: Header=BB6_3657 Depth=2
	v_and_b32_e32 v2, 7, v14
	v_lshrrev_b32_e32 v22, 3, v15
	v_cmp_gt_u32_e32 vcc, 8, v15
	v_ffbh_u32_e32 v15, v2
	v_min_u32_e32 v24, 32, v15
	v_subrev_u32_e32 v15, 28, v24
	v_lshlrev_b64 v[15:16], v15, v[14:15]
	v_sub_u32_e32 v16, 29, v24
	v_cndmask_b32_e32 v16, v22, v16, vcc
	buffer_load_dword v22, off, s[0:3], s33 offset:128 ; 4-byte Folded Reload
	v_and_b32_e32 v15, 7, v15
	v_cndmask_b32_e32 v2, v2, v15, vcc
	v_lshlrev_b32_e32 v2, 20, v2
	v_lshl_add_u32 v16, v16, 23, v62
	v_mov_b32_e32 v24, v18
	s_waitcnt vmcnt(0)
	v_lshlrev_b32_e32 v15, 24, v22
	v_and_b32_e32 v15, 0x80000000, v15
	v_or3_b32 v2, v15, v16, v2
.LBB6_4430:                             ;   in Loop: Header=BB6_3657 Depth=2
	s_or_b64 exec, exec, s[34:35]
.LBB6_4431:                             ;   in Loop: Header=BB6_3657 Depth=2
	s_or_b64 exec, exec, s[30:31]
.LBB6_4432:                             ;   in Loop: Header=BB6_3657 Depth=2
	s_or_b64 exec, exec, s[94:95]
	v_and_b32_e32 v15, 0xff, v29
	v_cmp_ne_u16_e32 vcc, 0, v15
	s_and_saveexec_b64 s[94:95], vcc
	s_cbranch_execz .LBB6_4438
; %bb.4433:                             ;   in Loop: Header=BB6_3657 Depth=2
	v_cmp_ne_u16_e32 vcc, s53, v15
	v_bfrev_b32_e32 v3, 1
	s_and_saveexec_b64 s[30:31], vcc
	s_cbranch_execz .LBB6_4437
; %bb.4434:                             ;   in Loop: Header=BB6_3657 Depth=2
	v_and_b32_e32 v16, 0x7f, v29
	v_cmp_ne_u32_e32 vcc, s54, v16
	v_mov_b32_e32 v3, 0x7f800001
	s_and_saveexec_b64 s[34:35], vcc
	s_cbranch_execz .LBB6_4436
; %bb.4435:                             ;   in Loop: Header=BB6_3657 Depth=2
	v_and_b32_e32 v3, 7, v15
	v_lshrrev_b32_e32 v22, 3, v16
	v_cmp_gt_u32_e32 vcc, 8, v16
	v_ffbh_u32_e32 v16, v3
	v_min_u32_e32 v24, 32, v16
	v_subrev_u32_e32 v16, 28, v24
	v_lshlrev_b64 v[15:16], v16, v[15:16]
	v_sub_u32_e32 v16, 29, v24
	v_cndmask_b32_e32 v16, v22, v16, vcc
	buffer_load_dword v22, off, s[0:3], s33 offset:128 ; 4-byte Folded Reload
	v_and_b32_e32 v15, 7, v15
	v_cndmask_b32_e32 v3, v3, v15, vcc
	v_lshlrev_b32_e32 v15, 24, v29
	v_lshlrev_b32_e32 v3, 20, v3
	v_and_b32_e32 v15, 0x80000000, v15
	v_lshl_add_u32 v16, v16, 23, v62
	v_mov_b32_e32 v24, v18
	v_or3_b32 v3, v15, v16, v3
.LBB6_4436:                             ;   in Loop: Header=BB6_3657 Depth=2
	s_or_b64 exec, exec, s[34:35]
.LBB6_4437:                             ;   in Loop: Header=BB6_3657 Depth=2
	s_or_b64 exec, exec, s[30:31]
.LBB6_4438:                             ;   in Loop: Header=BB6_3657 Depth=2
	s_or_b64 exec, exec, s[94:95]
	v_max_f32_e32 v3, v3, v3
	v_max_f32_e32 v2, v2, v2
	;; [unrolled: 1-line block ×3, first 2 shown]
	s_mov_b64 s[94:95], 0
.LBB6_4439:                             ;   in Loop: Header=BB6_3657 Depth=2
	s_and_b64 vcc, exec, s[94:95]
	s_cbranch_vccz .LBB6_4453
; %bb.4440:                             ;   in Loop: Header=BB6_3657 Depth=2
	v_mov_b32_e32 v3, 0
	v_mov_b32_e32 v2, 0
	s_and_saveexec_b64 s[94:95], s[22:23]
	s_cbranch_execz .LBB6_4446
; %bb.4441:                             ;   in Loop: Header=BB6_3657 Depth=2
	v_cmp_ne_u16_e32 vcc, s53, v14
	v_bfrev_b32_e32 v2, 1
	s_and_saveexec_b64 s[22:23], vcc
	s_cbranch_execz .LBB6_4445
; %bb.4442:                             ;   in Loop: Header=BB6_3657 Depth=2
	s_waitcnt vmcnt(0)
	v_and_b32_e32 v15, 0x7f, v22
	v_cmp_ne_u32_e32 vcc, s54, v15
	v_mov_b32_e32 v2, 0x7f800001
	s_and_saveexec_b64 s[30:31], vcc
	s_cbranch_execz .LBB6_4444
; %bb.4443:                             ;   in Loop: Header=BB6_3657 Depth=2
	v_and_b32_e32 v2, 7, v14
	v_lshrrev_b32_e32 v16, 3, v15
	v_cmp_gt_u32_e32 vcc, 8, v15
	v_ffbh_u32_e32 v15, v2
	v_mov_b32_e32 v27, v22
	v_min_u32_e32 v22, 32, v15
	v_subrev_u32_e32 v15, 28, v22
	v_lshlrev_b64 v[14:15], v15, v[14:15]
	v_sub_u32_e32 v15, 29, v22
	v_and_b32_e32 v14, 7, v14
	v_cndmask_b32_e32 v15, v16, v15, vcc
	v_cndmask_b32_e32 v2, v2, v14, vcc
	v_lshlrev_b32_e32 v14, 24, v27
	v_lshlrev_b32_e32 v2, 20, v2
	v_and_b32_e32 v14, 0x80000000, v14
	v_lshl_add_u32 v15, v15, 23, v62
	v_or3_b32 v2, v14, v15, v2
.LBB6_4444:                             ;   in Loop: Header=BB6_3657 Depth=2
	s_or_b64 exec, exec, s[30:31]
.LBB6_4445:                             ;   in Loop: Header=BB6_3657 Depth=2
	s_or_b64 exec, exec, s[22:23]
.LBB6_4446:                             ;   in Loop: Header=BB6_3657 Depth=2
	s_or_b64 exec, exec, s[94:95]
	v_and_b32_e32 v14, 0xff, v29
	v_cmp_ne_u16_e32 vcc, 0, v14
	s_and_saveexec_b64 s[22:23], vcc
	s_cbranch_execz .LBB6_4452
; %bb.4447:                             ;   in Loop: Header=BB6_3657 Depth=2
	v_cmp_ne_u16_e32 vcc, s53, v14
	v_bfrev_b32_e32 v3, 1
	s_and_saveexec_b64 s[94:95], vcc
	s_cbranch_execz .LBB6_4451
; %bb.4448:                             ;   in Loop: Header=BB6_3657 Depth=2
	v_and_b32_e32 v15, 0x7f, v29
	v_cmp_ne_u32_e32 vcc, s54, v15
	v_mov_b32_e32 v3, 0x7f800001
	s_and_saveexec_b64 s[30:31], vcc
	s_cbranch_execz .LBB6_4450
; %bb.4449:                             ;   in Loop: Header=BB6_3657 Depth=2
	v_and_b32_e32 v3, 7, v14
	v_lshrrev_b32_e32 v16, 3, v15
	v_cmp_gt_u32_e32 vcc, 8, v15
	v_ffbh_u32_e32 v15, v3
	s_waitcnt vmcnt(0)
	v_min_u32_e32 v22, 32, v15
	v_subrev_u32_e32 v15, 28, v22
	v_lshlrev_b64 v[14:15], v15, v[14:15]
	v_sub_u32_e32 v15, 29, v22
	v_and_b32_e32 v14, 7, v14
	v_cndmask_b32_e32 v15, v16, v15, vcc
	v_cndmask_b32_e32 v3, v3, v14, vcc
	v_lshlrev_b32_e32 v14, 24, v29
	v_lshlrev_b32_e32 v3, 20, v3
	v_and_b32_e32 v14, 0x80000000, v14
	v_lshl_add_u32 v15, v15, 23, v62
	v_or3_b32 v3, v14, v15, v3
.LBB6_4450:                             ;   in Loop: Header=BB6_3657 Depth=2
	s_or_b64 exec, exec, s[30:31]
.LBB6_4451:                             ;   in Loop: Header=BB6_3657 Depth=2
	s_or_b64 exec, exec, s[94:95]
.LBB6_4452:                             ;   in Loop: Header=BB6_3657 Depth=2
	s_or_b64 exec, exec, s[22:23]
	v_max_f32_e32 v3, v3, v3
	v_max_f32_e32 v2, v2, v2
	v_min_f32_e32 v3, v2, v3
.LBB6_4453:                             ;   in Loop: Header=BB6_3657 Depth=2
	v_and_b32_e32 v60, 0x7f800000, v3
	v_cmp_ne_u64_e32 vcc, s[72:73], v[60:61]
                                        ; implicit-def: $vgpr22
	s_mov_b64 s[22:23], exec
	buffer_load_dword v29, off, s[0:3], s33 offset:136 ; 4-byte Folded Reload
	s_and_b64 vcc, s[22:23], vcc
	s_xor_b64 s[94:95], vcc, s[22:23]
	s_mov_b64 exec, vcc
	s_cbranch_execz .LBB6_4471
; %bb.4454:                             ;   in Loop: Header=BB6_3657 Depth=2
	v_and_b32_e32 v60, 0x7fffffff, v3
	v_cmp_gt_u64_e32 vcc, s[74:75], v[60:61]
	v_and_b32_sdwa v2, v3, s53 dst_sel:DWORD dst_unused:UNUSED_PAD src0_sel:BYTE_3 src1_sel:DWORD
                                        ; implicit-def: $vgpr22
	s_and_saveexec_b64 s[22:23], vcc
	s_xor_b64 s[30:31], exec, s[22:23]
	s_cbranch_execz .LBB6_4468
; %bb.4455:                             ;   in Loop: Header=BB6_3657 Depth=2
	v_cmp_ne_u32_e32 vcc, 0, v3
	s_waitcnt vmcnt(1)
	v_mov_b32_e32 v22, 0
	s_and_saveexec_b64 s[34:35], vcc
	s_cbranch_execz .LBB6_4467
; %bb.4456:                             ;   in Loop: Header=BB6_3657 Depth=2
	v_and_b32_e32 v14, 0x7fffff, v3
	v_bfe_u32 v3, v3, 23, 8
	v_cmp_gt_u32_e64 s[22:23], s64, v3
	v_sub_u32_e32 v15, 0x79, v3
	v_cmp_eq_u32_e32 vcc, 0, v3
	v_cndmask_b32_e64 v15, 0, v15, s[22:23]
	v_mov_b32_e32 v22, 0x78
	v_or_b32_e32 v16, 0x800000, v14
	v_cndmask_b32_e32 v22, v15, v22, vcc
	v_cndmask_b32_e32 v60, v16, v14, vcc
	v_add_u32_e32 v14, 20, v22
	v_lshlrev_b64 v[14:15], v14, -1
	v_add_u32_e32 v16, 19, v22
	v_lshlrev_b64 v[24:25], v16, 1
	v_bfi_b32 v15, v15, 0, 0
	v_bfi_b32 v14, v14, 0, v60
	v_cmp_eq_u64_e64 s[22:23], v[14:15], v[24:25]
	v_lshrrev_b64 v[14:15], v22, v[60:61]
	v_mov_b32_e32 v16, v15
	v_mov_b32_e32 v15, v14
	s_and_saveexec_b64 s[36:37], s[22:23]
; %bb.4457:                             ;   in Loop: Header=BB6_3657 Depth=2
	v_bfe_u32 v15, v14, 20, 1
	v_add_co_u32_e64 v15, s[22:23], v14, v15
	v_add_co_u32_e64 v15, s[22:23], -1, v15
; %bb.4458:                             ;   in Loop: Header=BB6_3657 Depth=2
	s_or_b64 exec, exec, s[36:37]
	v_add_u32_e32 v3, 0xffffff81, v3
	v_cndmask_b32_e32 v3, v3, v41, vcc
	v_lshrrev_b32_e32 v16, 23, v14
	v_add3_u32 v22, v22, v3, v16
	v_add_u32_e32 v16, 6, v22
	v_and_b32_e32 v3, 0xfffff, v15
	v_add_u32_e32 v60, v3, v14
	v_cmp_ne_u32_e32 vcc, 0, v16
                                        ; implicit-def: $vgpr14_vgpr15
                                        ; implicit-def: $vgpr3
	s_and_saveexec_b64 s[22:23], vcc
	s_xor_b64 s[22:23], exec, s[22:23]
; %bb.4459:                             ;   in Loop: Header=BB6_3657 Depth=2
	v_cmp_lt_u64_e32 vcc, s[76:77], v[60:61]
	v_add_u32_e32 v3, 7, v22
	v_cndmask_b32_e64 v14, 0, 1, vcc
	v_lshrrev_b64 v[14:15], v14, v[60:61]
	v_cndmask_b32_e32 v3, v16, v3, vcc
; %bb.4460:                             ;   in Loop: Header=BB6_3657 Depth=2
	s_or_saveexec_b64 s[22:23], s[22:23]
	buffer_load_dword v25, off, s[0:3], s33 offset:88 ; 4-byte Folded Reload
	v_mov_b32_e32 v24, v18
	s_xor_b64 exec, exec, s[22:23]
; %bb.4461:                             ;   in Loop: Header=BB6_3657 Depth=2
	v_mov_b32_e32 v14, v60
	v_bfe_u32 v3, v60, 23, 1
	v_mov_b32_e32 v15, v61
; %bb.4462:                             ;   in Loop: Header=BB6_3657 Depth=2
	s_or_b64 exec, exec, s[22:23]
	v_lshrrev_b64 v[14:15], 20, v[14:15]
	v_cmp_gt_i32_e32 vcc, 16, v3
	v_cndmask_b32_e32 v15, 0, v15, vcc
	v_cndmask_b32_e32 v14, 7, v14, vcc
	v_cmp_ne_u64_e32 vcc, 0, v[14:15]
	v_cmp_ne_u32_e64 s[22:23], 0, v3
	s_or_b64 s[22:23], s[22:23], vcc
                                        ; implicit-def: $vgpr22
	s_and_saveexec_b64 vcc, s[22:23]
	s_xor_b64 s[22:23], exec, vcc
; %bb.4463:                             ;   in Loop: Header=BB6_3657 Depth=2
	v_min_i32_e32 v3, 15, v3
	v_lshl_or_b32 v2, v3, 3, v2
	v_and_or_b32 v22, v14, 7, v2
                                        ; implicit-def: $vgpr2
; %bb.4464:                             ;   in Loop: Header=BB6_3657 Depth=2
	s_andn2_saveexec_b64 s[22:23], s[22:23]
; %bb.4465:                             ;   in Loop: Header=BB6_3657 Depth=2
	v_mov_b32_e32 v22, v2
; %bb.4466:                             ;   in Loop: Header=BB6_3657 Depth=2
	s_or_b64 exec, exec, s[22:23]
.LBB6_4467:                             ;   in Loop: Header=BB6_3657 Depth=2
	s_or_b64 exec, exec, s[34:35]
                                        ; implicit-def: $vgpr2
.LBB6_4468:                             ;   in Loop: Header=BB6_3657 Depth=2
	s_andn2_saveexec_b64 s[22:23], s[30:31]
	s_cbranch_execz .LBB6_4470
; %bb.4469:                             ;   in Loop: Header=BB6_3657 Depth=2
	s_waitcnt vmcnt(1)
	v_or_b32_e32 v22, 0x7e, v2
.LBB6_4470:                             ;   in Loop: Header=BB6_3657 Depth=2
	s_or_b64 exec, exec, s[22:23]
                                        ; implicit-def: $vgpr3
.LBB6_4471:                             ;   in Loop: Header=BB6_3657 Depth=2
	s_andn2_saveexec_b64 s[22:23], s[94:95]
	s_cbranch_execz .LBB6_4473
; %bb.4472:                             ;   in Loop: Header=BB6_3657 Depth=2
	s_waitcnt vmcnt(1)
	v_or_b32_sdwa v22, v3, s54 dst_sel:DWORD dst_unused:UNUSED_PAD src0_sel:BYTE_3 src1_sel:DWORD
.LBB6_4473:                             ;   in Loop: Header=BB6_3657 Depth=2
	s_or_b64 exec, exec, s[22:23]
	v_and_b32_e32 v14, 0xff, v9
	v_cmp_ne_u16_e64 s[22:23], 0, v14
	s_and_b64 vcc, exec, s[20:21]
	s_mov_b64 s[94:95], -1
                                        ; implicit-def: $vgpr3
	s_cbranch_vccnz .LBB6_4487
; %bb.4474:                             ;   in Loop: Header=BB6_3657 Depth=2
	v_mov_b32_e32 v3, 0
	v_mov_b32_e32 v2, 0
	s_and_saveexec_b64 s[94:95], s[22:23]
	s_cbranch_execz .LBB6_4480
; %bb.4475:                             ;   in Loop: Header=BB6_3657 Depth=2
	v_cmp_ne_u16_e32 vcc, s53, v14
	v_bfrev_b32_e32 v2, 1
	s_and_saveexec_b64 s[30:31], vcc
	s_cbranch_execz .LBB6_4479
; %bb.4476:                             ;   in Loop: Header=BB6_3657 Depth=2
	v_and_b32_e32 v15, 0x7f, v9
	v_cmp_ne_u32_e32 vcc, s54, v15
	v_mov_b32_e32 v2, 0x7f800001
	s_and_saveexec_b64 s[34:35], vcc
	s_cbranch_execz .LBB6_4478
; %bb.4477:                             ;   in Loop: Header=BB6_3657 Depth=2
	v_and_b32_e32 v2, 7, v14
	v_lshrrev_b32_e32 v24, 3, v15
	v_cmp_gt_u32_e32 vcc, 8, v15
	v_ffbh_u32_e32 v15, v2
	s_waitcnt vmcnt(0)
	v_min_u32_e32 v25, 32, v15
	v_subrev_u32_e32 v15, 28, v25
	v_lshlrev_b64 v[15:16], v15, v[14:15]
	v_sub_u32_e32 v16, 29, v25
	buffer_load_dword v25, off, s[0:3], s33 offset:88 ; 4-byte Folded Reload
	v_and_b32_e32 v15, 7, v15
	v_cndmask_b32_e32 v16, v24, v16, vcc
	v_cndmask_b32_e32 v2, v2, v15, vcc
	v_lshlrev_b32_e32 v15, 24, v9
	v_lshlrev_b32_e32 v2, 20, v2
	v_and_b32_e32 v15, 0x80000000, v15
	v_lshl_add_u32 v16, v16, 23, v62
	v_mov_b32_e32 v24, v18
	v_or3_b32 v2, v15, v16, v2
.LBB6_4478:                             ;   in Loop: Header=BB6_3657 Depth=2
	s_or_b64 exec, exec, s[34:35]
.LBB6_4479:                             ;   in Loop: Header=BB6_3657 Depth=2
	s_or_b64 exec, exec, s[30:31]
.LBB6_4480:                             ;   in Loop: Header=BB6_3657 Depth=2
	s_or_b64 exec, exec, s[94:95]
	v_and_b32_e32 v15, 0xff, v8
	v_cmp_ne_u16_e32 vcc, 0, v15
	s_and_saveexec_b64 s[94:95], vcc
	s_cbranch_execz .LBB6_4486
; %bb.4481:                             ;   in Loop: Header=BB6_3657 Depth=2
	v_cmp_ne_u16_e32 vcc, s53, v15
	v_bfrev_b32_e32 v3, 1
	s_and_saveexec_b64 s[30:31], vcc
	s_cbranch_execz .LBB6_4485
; %bb.4482:                             ;   in Loop: Header=BB6_3657 Depth=2
	v_and_b32_e32 v16, 0x7f, v8
	v_cmp_ne_u32_e32 vcc, s54, v16
	v_mov_b32_e32 v3, 0x7f800001
	s_and_saveexec_b64 s[34:35], vcc
	s_cbranch_execz .LBB6_4484
; %bb.4483:                             ;   in Loop: Header=BB6_3657 Depth=2
	v_and_b32_e32 v3, 7, v15
	v_lshrrev_b32_e32 v24, 3, v16
	v_cmp_gt_u32_e32 vcc, 8, v16
	v_ffbh_u32_e32 v16, v3
	s_waitcnt vmcnt(0)
	v_min_u32_e32 v25, 32, v16
	v_subrev_u32_e32 v16, 28, v25
	v_lshlrev_b64 v[15:16], v16, v[15:16]
	v_sub_u32_e32 v16, 29, v25
	buffer_load_dword v25, off, s[0:3], s33 offset:88 ; 4-byte Folded Reload
	v_and_b32_e32 v15, 7, v15
	v_cndmask_b32_e32 v16, v24, v16, vcc
	v_cndmask_b32_e32 v3, v3, v15, vcc
	v_lshlrev_b32_e32 v15, 24, v8
	v_lshlrev_b32_e32 v3, 20, v3
	v_and_b32_e32 v15, 0x80000000, v15
	v_lshl_add_u32 v16, v16, 23, v62
	v_mov_b32_e32 v24, v18
	v_or3_b32 v3, v15, v16, v3
.LBB6_4484:                             ;   in Loop: Header=BB6_3657 Depth=2
	s_or_b64 exec, exec, s[34:35]
.LBB6_4485:                             ;   in Loop: Header=BB6_3657 Depth=2
	s_or_b64 exec, exec, s[30:31]
.LBB6_4486:                             ;   in Loop: Header=BB6_3657 Depth=2
	s_or_b64 exec, exec, s[94:95]
	v_max_f32_e32 v3, v3, v3
	v_max_f32_e32 v2, v2, v2
	;; [unrolled: 1-line block ×3, first 2 shown]
	s_mov_b64 s[94:95], 0
.LBB6_4487:                             ;   in Loop: Header=BB6_3657 Depth=2
	s_and_b64 vcc, exec, s[94:95]
	s_cbranch_vccz .LBB6_4501
; %bb.4488:                             ;   in Loop: Header=BB6_3657 Depth=2
	v_mov_b32_e32 v3, 0
	v_mov_b32_e32 v2, 0
	s_and_saveexec_b64 s[94:95], s[22:23]
	s_cbranch_execz .LBB6_4494
; %bb.4489:                             ;   in Loop: Header=BB6_3657 Depth=2
	v_cmp_ne_u16_e32 vcc, s53, v14
	v_bfrev_b32_e32 v2, 1
	s_and_saveexec_b64 s[22:23], vcc
	s_cbranch_execz .LBB6_4493
; %bb.4490:                             ;   in Loop: Header=BB6_3657 Depth=2
	v_and_b32_e32 v15, 0x7f, v9
	v_cmp_ne_u32_e32 vcc, s54, v15
	v_mov_b32_e32 v2, 0x7f800001
	s_and_saveexec_b64 s[30:31], vcc
	s_cbranch_execz .LBB6_4492
; %bb.4491:                             ;   in Loop: Header=BB6_3657 Depth=2
	v_and_b32_e32 v2, 7, v14
	v_lshrrev_b32_e32 v16, 3, v15
	v_cmp_gt_u32_e32 vcc, 8, v15
	v_ffbh_u32_e32 v15, v2
	v_min_u32_e32 v24, 32, v15
	v_subrev_u32_e32 v15, 28, v24
	v_lshlrev_b64 v[14:15], v15, v[14:15]
	v_sub_u32_e32 v15, 29, v24
	v_and_b32_e32 v14, 7, v14
	v_cndmask_b32_e32 v15, v16, v15, vcc
	v_cndmask_b32_e32 v2, v2, v14, vcc
	v_lshlrev_b32_e32 v9, 24, v9
	v_lshlrev_b32_e32 v2, 20, v2
	v_and_b32_e32 v9, 0x80000000, v9
	v_lshl_add_u32 v14, v15, 23, v62
	v_mov_b32_e32 v24, v18
	v_or3_b32 v2, v9, v14, v2
.LBB6_4492:                             ;   in Loop: Header=BB6_3657 Depth=2
	s_or_b64 exec, exec, s[30:31]
.LBB6_4493:                             ;   in Loop: Header=BB6_3657 Depth=2
	s_or_b64 exec, exec, s[22:23]
.LBB6_4494:                             ;   in Loop: Header=BB6_3657 Depth=2
	s_or_b64 exec, exec, s[94:95]
	v_and_b32_e32 v14, 0xff, v8
	v_cmp_ne_u16_e32 vcc, 0, v14
	s_and_saveexec_b64 s[22:23], vcc
	s_cbranch_execz .LBB6_4500
; %bb.4495:                             ;   in Loop: Header=BB6_3657 Depth=2
	v_cmp_ne_u16_e32 vcc, s53, v14
	v_bfrev_b32_e32 v3, 1
	s_and_saveexec_b64 s[94:95], vcc
	s_cbranch_execz .LBB6_4499
; %bb.4496:                             ;   in Loop: Header=BB6_3657 Depth=2
	v_and_b32_e32 v9, 0x7f, v8
	v_cmp_ne_u32_e32 vcc, s54, v9
	v_mov_b32_e32 v3, 0x7f800001
	s_and_saveexec_b64 s[30:31], vcc
	s_cbranch_execz .LBB6_4498
; %bb.4497:                             ;   in Loop: Header=BB6_3657 Depth=2
	v_and_b32_e32 v3, 7, v14
	v_lshrrev_b32_e32 v16, 3, v9
	v_cmp_gt_u32_e32 vcc, 8, v9
	v_ffbh_u32_e32 v9, v3
	v_min_u32_e32 v9, 32, v9
	v_subrev_u32_e32 v15, 28, v9
	v_lshlrev_b64 v[14:15], v15, v[14:15]
	v_sub_u32_e32 v9, 29, v9
	v_and_b32_e32 v14, 7, v14
	v_cndmask_b32_e32 v9, v16, v9, vcc
	v_cndmask_b32_e32 v3, v3, v14, vcc
	v_lshlrev_b32_e32 v8, 24, v8
	v_lshlrev_b32_e32 v3, 20, v3
	v_and_b32_e32 v8, 0x80000000, v8
	v_lshl_add_u32 v9, v9, 23, v62
	v_or3_b32 v3, v8, v9, v3
.LBB6_4498:                             ;   in Loop: Header=BB6_3657 Depth=2
	s_or_b64 exec, exec, s[30:31]
.LBB6_4499:                             ;   in Loop: Header=BB6_3657 Depth=2
	s_or_b64 exec, exec, s[94:95]
.LBB6_4500:                             ;   in Loop: Header=BB6_3657 Depth=2
	s_or_b64 exec, exec, s[22:23]
	v_max_f32_e32 v3, v3, v3
	v_max_f32_e32 v2, v2, v2
	v_min_f32_e32 v3, v2, v3
.LBB6_4501:                             ;   in Loop: Header=BB6_3657 Depth=2
	v_and_b32_e32 v60, 0x7f800000, v3
	v_cmp_ne_u64_e32 vcc, s[72:73], v[60:61]
                                        ; implicit-def: $vgpr8
	s_and_saveexec_b64 s[22:23], vcc
	s_xor_b64 s[94:95], exec, s[22:23]
	s_cbranch_execz .LBB6_4519
; %bb.4502:                             ;   in Loop: Header=BB6_3657 Depth=2
	v_and_b32_e32 v60, 0x7fffffff, v3
	v_cmp_gt_u64_e32 vcc, s[74:75], v[60:61]
	v_and_b32_sdwa v2, v3, s53 dst_sel:DWORD dst_unused:UNUSED_PAD src0_sel:BYTE_3 src1_sel:DWORD
                                        ; implicit-def: $vgpr8
	s_and_saveexec_b64 s[22:23], vcc
	s_xor_b64 s[30:31], exec, s[22:23]
	s_cbranch_execz .LBB6_4516
; %bb.4503:                             ;   in Loop: Header=BB6_3657 Depth=2
	v_cmp_ne_u32_e32 vcc, 0, v3
	v_mov_b32_e32 v8, 0
	s_and_saveexec_b64 s[34:35], vcc
	s_cbranch_execz .LBB6_4515
; %bb.4504:                             ;   in Loop: Header=BB6_3657 Depth=2
	v_and_b32_e32 v9, 0x7fffff, v3
	v_bfe_u32 v3, v3, 23, 8
	v_cmp_gt_u32_e64 s[22:23], s64, v3
	v_sub_u32_e32 v8, 0x79, v3
	v_cmp_eq_u32_e32 vcc, 0, v3
	v_cndmask_b32_e64 v8, 0, v8, s[22:23]
	v_mov_b32_e32 v15, 0x78
	v_or_b32_e32 v14, 0x800000, v9
	v_cndmask_b32_e32 v8, v8, v15, vcc
	v_cndmask_b32_e32 v60, v14, v9, vcc
	v_add_u32_e32 v9, 20, v8
	v_lshlrev_b64 v[14:15], v9, -1
	v_add_u32_e32 v9, 19, v8
	s_waitcnt vmcnt(0)
	v_lshlrev_b64 v[24:25], v9, 1
	v_bfi_b32 v15, v15, 0, 0
	v_bfi_b32 v14, v14, 0, v60
	v_cmp_eq_u64_e64 s[22:23], v[14:15], v[24:25]
	v_lshrrev_b64 v[14:15], v8, v[60:61]
	v_mov_b32_e32 v16, v15
	v_mov_b32_e32 v15, v14
	s_and_saveexec_b64 s[36:37], s[22:23]
; %bb.4505:                             ;   in Loop: Header=BB6_3657 Depth=2
	v_bfe_u32 v9, v14, 20, 1
	v_add_co_u32_e64 v9, s[22:23], v14, v9
	v_add_co_u32_e64 v15, s[22:23], -1, v9
; %bb.4506:                             ;   in Loop: Header=BB6_3657 Depth=2
	s_or_b64 exec, exec, s[36:37]
	v_add_u32_e32 v3, 0xffffff81, v3
	v_cndmask_b32_e32 v3, v3, v41, vcc
	v_lshrrev_b32_e32 v9, 23, v14
	v_add3_u32 v9, v8, v3, v9
	v_add_u32_e32 v8, 6, v9
	v_and_b32_e32 v3, 0xfffff, v15
	v_add_u32_e32 v60, v3, v14
	v_cmp_ne_u32_e32 vcc, 0, v8
                                        ; implicit-def: $vgpr14_vgpr15
                                        ; implicit-def: $vgpr3
	s_and_saveexec_b64 s[22:23], vcc
	s_xor_b64 s[22:23], exec, s[22:23]
; %bb.4507:                             ;   in Loop: Header=BB6_3657 Depth=2
	v_cmp_lt_u64_e32 vcc, s[76:77], v[60:61]
	v_add_u32_e32 v3, 7, v9
	v_cndmask_b32_e32 v3, v8, v3, vcc
	v_cndmask_b32_e64 v8, 0, 1, vcc
	v_lshrrev_b64 v[14:15], v8, v[60:61]
; %bb.4508:                             ;   in Loop: Header=BB6_3657 Depth=2
	s_or_saveexec_b64 s[22:23], s[22:23]
	buffer_load_dword v25, off, s[0:3], s33 offset:88 ; 4-byte Folded Reload
	v_mov_b32_e32 v24, v18
	s_xor_b64 exec, exec, s[22:23]
; %bb.4509:                             ;   in Loop: Header=BB6_3657 Depth=2
	v_mov_b32_e32 v14, v60
	v_bfe_u32 v3, v60, 23, 1
	v_mov_b32_e32 v15, v61
; %bb.4510:                             ;   in Loop: Header=BB6_3657 Depth=2
	s_or_b64 exec, exec, s[22:23]
	v_lshrrev_b64 v[8:9], 20, v[14:15]
	v_cmp_gt_i32_e32 vcc, 16, v3
	v_cndmask_b32_e32 v15, 0, v9, vcc
	v_cndmask_b32_e32 v14, 7, v8, vcc
	v_cmp_ne_u64_e32 vcc, 0, v[14:15]
	v_cmp_ne_u32_e64 s[22:23], 0, v3
	s_or_b64 s[22:23], s[22:23], vcc
                                        ; implicit-def: $vgpr8
	s_and_saveexec_b64 vcc, s[22:23]
	s_xor_b64 s[22:23], exec, vcc
; %bb.4511:                             ;   in Loop: Header=BB6_3657 Depth=2
	v_min_i32_e32 v3, 15, v3
	v_lshl_or_b32 v2, v3, 3, v2
	v_and_or_b32 v8, v14, 7, v2
                                        ; implicit-def: $vgpr2
; %bb.4512:                             ;   in Loop: Header=BB6_3657 Depth=2
	s_andn2_saveexec_b64 s[22:23], s[22:23]
; %bb.4513:                             ;   in Loop: Header=BB6_3657 Depth=2
	v_mov_b32_e32 v8, v2
; %bb.4514:                             ;   in Loop: Header=BB6_3657 Depth=2
	s_or_b64 exec, exec, s[22:23]
.LBB6_4515:                             ;   in Loop: Header=BB6_3657 Depth=2
	s_or_b64 exec, exec, s[34:35]
                                        ; implicit-def: $vgpr2
.LBB6_4516:                             ;   in Loop: Header=BB6_3657 Depth=2
	s_andn2_saveexec_b64 s[22:23], s[30:31]
; %bb.4517:                             ;   in Loop: Header=BB6_3657 Depth=2
	v_or_b32_e32 v8, 0x7e, v2
; %bb.4518:                             ;   in Loop: Header=BB6_3657 Depth=2
	s_or_b64 exec, exec, s[22:23]
                                        ; implicit-def: $vgpr3
.LBB6_4519:                             ;   in Loop: Header=BB6_3657 Depth=2
	s_andn2_saveexec_b64 s[22:23], s[94:95]
; %bb.4520:                             ;   in Loop: Header=BB6_3657 Depth=2
	v_or_b32_sdwa v8, v3, s54 dst_sel:DWORD dst_unused:UNUSED_PAD src0_sel:BYTE_3 src1_sel:DWORD
; %bb.4521:                             ;   in Loop: Header=BB6_3657 Depth=2
	s_or_b64 exec, exec, s[22:23]
	buffer_load_dword v2, off, s[0:3], s33 offset:116 ; 4-byte Folded Reload
	s_and_b64 vcc, exec, s[20:21]
	s_mov_b64 s[94:95], -1
                                        ; implicit-def: $vgpr3
	s_waitcnt vmcnt(0)
	v_and_b32_e32 v14, 0xff, v2
	v_cmp_ne_u16_e64 s[22:23], 0, v14
	s_cbranch_vccnz .LBB6_4535
; %bb.4522:                             ;   in Loop: Header=BB6_3657 Depth=2
	v_mov_b32_e32 v3, 0
	v_mov_b32_e32 v2, 0
	s_and_saveexec_b64 s[94:95], s[22:23]
	s_cbranch_execz .LBB6_4528
; %bb.4523:                             ;   in Loop: Header=BB6_3657 Depth=2
	v_cmp_ne_u16_e32 vcc, s53, v14
	v_bfrev_b32_e32 v2, 1
	s_and_saveexec_b64 s[30:31], vcc
	s_cbranch_execz .LBB6_4527
; %bb.4524:                             ;   in Loop: Header=BB6_3657 Depth=2
	buffer_load_dword v2, off, s[0:3], s33 offset:116 ; 4-byte Folded Reload
	s_waitcnt vmcnt(0)
	v_and_b32_e32 v9, 0x7f, v2
	v_cmp_ne_u32_e32 vcc, s54, v9
	v_mov_b32_e32 v2, 0x7f800001
	s_and_saveexec_b64 s[34:35], vcc
	s_cbranch_execz .LBB6_4526
; %bb.4525:                             ;   in Loop: Header=BB6_3657 Depth=2
	v_and_b32_e32 v2, 7, v14
	v_lshrrev_b32_e32 v24, 3, v9
	v_cmp_gt_u32_e32 vcc, 8, v9
	v_ffbh_u32_e32 v9, v2
	v_min_u32_e32 v9, 32, v9
	v_subrev_u32_e32 v15, 28, v9
	v_lshlrev_b64 v[15:16], v15, v[14:15]
	v_sub_u32_e32 v9, 29, v9
	v_and_b32_e32 v15, 7, v15
	v_cndmask_b32_e32 v2, v2, v15, vcc
	buffer_load_dword v15, off, s[0:3], s33 offset:116 ; 4-byte Folded Reload
	v_cndmask_b32_e32 v9, v24, v9, vcc
	v_lshlrev_b32_e32 v2, 20, v2
	v_lshl_add_u32 v9, v9, 23, v62
	v_mov_b32_e32 v24, v18
	s_waitcnt vmcnt(0)
	v_lshlrev_b32_e32 v15, 24, v15
	v_and_b32_e32 v15, 0x80000000, v15
	v_or3_b32 v2, v15, v9, v2
.LBB6_4526:                             ;   in Loop: Header=BB6_3657 Depth=2
	s_or_b64 exec, exec, s[34:35]
.LBB6_4527:                             ;   in Loop: Header=BB6_3657 Depth=2
	s_or_b64 exec, exec, s[30:31]
.LBB6_4528:                             ;   in Loop: Header=BB6_3657 Depth=2
	s_or_b64 exec, exec, s[94:95]
	v_and_b32_e32 v15, 0xff, v6
	v_cmp_ne_u16_e32 vcc, 0, v15
	s_and_saveexec_b64 s[94:95], vcc
	s_cbranch_execz .LBB6_4534
; %bb.4529:                             ;   in Loop: Header=BB6_3657 Depth=2
	v_cmp_ne_u16_e32 vcc, s53, v15
	v_bfrev_b32_e32 v3, 1
	s_and_saveexec_b64 s[30:31], vcc
	s_cbranch_execz .LBB6_4533
; %bb.4530:                             ;   in Loop: Header=BB6_3657 Depth=2
	v_and_b32_e32 v9, 0x7f, v6
	v_cmp_ne_u32_e32 vcc, s54, v9
	v_mov_b32_e32 v3, 0x7f800001
	s_and_saveexec_b64 s[34:35], vcc
	s_cbranch_execz .LBB6_4532
; %bb.4531:                             ;   in Loop: Header=BB6_3657 Depth=2
	v_and_b32_e32 v3, 7, v15
	v_lshrrev_b32_e32 v24, 3, v9
	v_cmp_gt_u32_e32 vcc, 8, v9
	v_ffbh_u32_e32 v9, v3
	v_min_u32_e32 v9, 32, v9
	v_subrev_u32_e32 v16, 28, v9
	v_lshlrev_b64 v[15:16], v16, v[15:16]
	v_sub_u32_e32 v9, 29, v9
	v_and_b32_e32 v15, 7, v15
	v_cndmask_b32_e32 v9, v24, v9, vcc
	v_cndmask_b32_e32 v3, v3, v15, vcc
	v_lshlrev_b32_e32 v15, 24, v6
	v_lshlrev_b32_e32 v3, 20, v3
	v_and_b32_e32 v15, 0x80000000, v15
	v_lshl_add_u32 v9, v9, 23, v62
	v_mov_b32_e32 v24, v18
	v_or3_b32 v3, v15, v9, v3
.LBB6_4532:                             ;   in Loop: Header=BB6_3657 Depth=2
	s_or_b64 exec, exec, s[34:35]
.LBB6_4533:                             ;   in Loop: Header=BB6_3657 Depth=2
	s_or_b64 exec, exec, s[30:31]
.LBB6_4534:                             ;   in Loop: Header=BB6_3657 Depth=2
	s_or_b64 exec, exec, s[94:95]
	v_max_f32_e32 v3, v3, v3
	v_max_f32_e32 v2, v2, v2
	;; [unrolled: 1-line block ×3, first 2 shown]
	s_mov_b64 s[94:95], 0
.LBB6_4535:                             ;   in Loop: Header=BB6_3657 Depth=2
	s_and_b64 vcc, exec, s[94:95]
	s_cbranch_vccz .LBB6_4549
; %bb.4536:                             ;   in Loop: Header=BB6_3657 Depth=2
	v_mov_b32_e32 v3, 0
	v_mov_b32_e32 v2, 0
	s_and_saveexec_b64 s[94:95], s[22:23]
	s_cbranch_execz .LBB6_4542
; %bb.4537:                             ;   in Loop: Header=BB6_3657 Depth=2
	v_cmp_ne_u16_e32 vcc, s53, v14
	v_bfrev_b32_e32 v2, 1
	s_and_saveexec_b64 s[22:23], vcc
	s_cbranch_execz .LBB6_4541
; %bb.4538:                             ;   in Loop: Header=BB6_3657 Depth=2
	buffer_load_dword v27, off, s[0:3], s33 offset:116 ; 4-byte Folded Reload
	v_mov_b32_e32 v2, 0x7f800001
	s_waitcnt vmcnt(0)
	v_and_b32_e32 v9, 0x7f, v27
	v_cmp_ne_u32_e32 vcc, s54, v9
	s_and_saveexec_b64 s[30:31], vcc
	s_cbranch_execz .LBB6_4540
; %bb.4539:                             ;   in Loop: Header=BB6_3657 Depth=2
	v_and_b32_e32 v2, 7, v14
	v_lshrrev_b32_e32 v16, 3, v9
	v_cmp_gt_u32_e32 vcc, 8, v9
	v_ffbh_u32_e32 v9, v2
	v_min_u32_e32 v9, 32, v9
	v_subrev_u32_e32 v15, 28, v9
	v_lshlrev_b64 v[14:15], v15, v[14:15]
	v_sub_u32_e32 v9, 29, v9
	v_and_b32_e32 v14, 7, v14
	v_cndmask_b32_e32 v9, v16, v9, vcc
	v_cndmask_b32_e32 v2, v2, v14, vcc
	v_lshlrev_b32_e32 v6, 24, v27
	v_lshlrev_b32_e32 v2, 20, v2
	v_and_b32_e32 v6, 0x80000000, v6
	v_lshl_add_u32 v9, v9, 23, v62
	v_or3_b32 v2, v6, v9, v2
	buffer_load_dword v6, off, s[0:3], s33 offset:132 ; 4-byte Folded Reload
.LBB6_4540:                             ;   in Loop: Header=BB6_3657 Depth=2
	s_or_b64 exec, exec, s[30:31]
.LBB6_4541:                             ;   in Loop: Header=BB6_3657 Depth=2
	s_or_b64 exec, exec, s[22:23]
.LBB6_4542:                             ;   in Loop: Header=BB6_3657 Depth=2
	s_or_b64 exec, exec, s[94:95]
	s_waitcnt vmcnt(0)
	v_and_b32_e32 v14, 0xff, v6
	v_cmp_ne_u16_e32 vcc, 0, v14
	s_and_saveexec_b64 s[22:23], vcc
	s_cbranch_execz .LBB6_4548
; %bb.4543:                             ;   in Loop: Header=BB6_3657 Depth=2
	v_cmp_ne_u16_e32 vcc, s53, v14
	v_bfrev_b32_e32 v3, 1
	s_and_saveexec_b64 s[94:95], vcc
	s_cbranch_execz .LBB6_4547
; %bb.4544:                             ;   in Loop: Header=BB6_3657 Depth=2
	v_mov_b32_e32 v16, v6
	v_and_b32_e32 v6, 0x7f, v16
	v_cmp_ne_u32_e32 vcc, s54, v6
	v_mov_b32_e32 v3, 0x7f800001
	s_and_saveexec_b64 s[30:31], vcc
	s_cbranch_execz .LBB6_4546
; %bb.4545:                             ;   in Loop: Header=BB6_3657 Depth=2
	v_and_b32_e32 v3, 7, v14
	v_lshrrev_b32_e32 v9, 3, v6
	v_cmp_gt_u32_e32 vcc, 8, v6
	v_ffbh_u32_e32 v6, v3
	v_min_u32_e32 v6, 32, v6
	v_subrev_u32_e32 v15, 28, v6
	v_lshlrev_b64 v[14:15], v15, v[14:15]
	v_sub_u32_e32 v6, 29, v6
	v_and_b32_e32 v14, 7, v14
	v_cndmask_b32_e32 v6, v9, v6, vcc
	v_cndmask_b32_e32 v3, v3, v14, vcc
	v_lshlrev_b32_e32 v9, 24, v16
	v_lshlrev_b32_e32 v3, 20, v3
	v_and_b32_e32 v9, 0x80000000, v9
	v_lshl_add_u32 v6, v6, 23, v62
	v_or3_b32 v3, v9, v6, v3
.LBB6_4546:                             ;   in Loop: Header=BB6_3657 Depth=2
	s_or_b64 exec, exec, s[30:31]
.LBB6_4547:                             ;   in Loop: Header=BB6_3657 Depth=2
	s_or_b64 exec, exec, s[94:95]
.LBB6_4548:                             ;   in Loop: Header=BB6_3657 Depth=2
	s_or_b64 exec, exec, s[22:23]
	v_max_f32_e32 v3, v3, v3
	v_max_f32_e32 v2, v2, v2
	v_min_f32_e32 v3, v2, v3
.LBB6_4549:                             ;   in Loop: Header=BB6_3657 Depth=2
	v_and_b32_e32 v60, 0x7f800000, v3
	v_cmp_ne_u64_e32 vcc, s[72:73], v[60:61]
                                        ; implicit-def: $vgpr6
	s_and_saveexec_b64 s[22:23], vcc
	s_xor_b64 s[94:95], exec, s[22:23]
	s_cbranch_execz .LBB6_4567
; %bb.4550:                             ;   in Loop: Header=BB6_3657 Depth=2
	v_and_b32_e32 v60, 0x7fffffff, v3
	v_cmp_gt_u64_e32 vcc, s[74:75], v[60:61]
	v_and_b32_sdwa v2, v3, s53 dst_sel:DWORD dst_unused:UNUSED_PAD src0_sel:BYTE_3 src1_sel:DWORD
                                        ; implicit-def: $vgpr6
	s_and_saveexec_b64 s[22:23], vcc
	s_xor_b64 s[30:31], exec, s[22:23]
	s_cbranch_execz .LBB6_4564
; %bb.4551:                             ;   in Loop: Header=BB6_3657 Depth=2
	v_cmp_ne_u32_e32 vcc, 0, v3
	v_mov_b32_e32 v6, 0
	s_and_saveexec_b64 s[34:35], vcc
	s_cbranch_execz .LBB6_4563
; %bb.4552:                             ;   in Loop: Header=BB6_3657 Depth=2
	v_and_b32_e32 v9, 0x7fffff, v3
	v_bfe_u32 v3, v3, 23, 8
	v_cmp_gt_u32_e64 s[22:23], s64, v3
	v_sub_u32_e32 v6, 0x79, v3
	v_cmp_eq_u32_e32 vcc, 0, v3
	v_cndmask_b32_e64 v6, 0, v6, s[22:23]
	v_mov_b32_e32 v15, 0x78
	v_or_b32_e32 v14, 0x800000, v9
	v_cndmask_b32_e32 v6, v6, v15, vcc
	v_cndmask_b32_e32 v60, v14, v9, vcc
	v_add_u32_e32 v9, 20, v6
	v_lshlrev_b64 v[14:15], v9, -1
	v_add_u32_e32 v9, 19, v6
	v_lshlrev_b64 v[24:25], v9, 1
	v_bfi_b32 v15, v15, 0, 0
	v_bfi_b32 v14, v14, 0, v60
	v_cmp_eq_u64_e64 s[22:23], v[14:15], v[24:25]
	v_lshrrev_b64 v[14:15], v6, v[60:61]
	v_mov_b32_e32 v16, v15
	v_mov_b32_e32 v15, v14
	s_and_saveexec_b64 s[36:37], s[22:23]
; %bb.4553:                             ;   in Loop: Header=BB6_3657 Depth=2
	v_bfe_u32 v9, v14, 20, 1
	v_add_co_u32_e64 v9, s[22:23], v14, v9
	v_add_co_u32_e64 v15, s[22:23], -1, v9
; %bb.4554:                             ;   in Loop: Header=BB6_3657 Depth=2
	s_or_b64 exec, exec, s[36:37]
	v_add_u32_e32 v3, 0xffffff81, v3
	v_cndmask_b32_e32 v3, v3, v41, vcc
	v_lshrrev_b32_e32 v9, 23, v14
	v_add3_u32 v9, v6, v3, v9
	v_add_u32_e32 v6, 6, v9
	v_and_b32_e32 v3, 0xfffff, v15
	v_add_u32_e32 v60, v3, v14
	v_cmp_ne_u32_e32 vcc, 0, v6
                                        ; implicit-def: $vgpr14_vgpr15
                                        ; implicit-def: $vgpr3
	s_and_saveexec_b64 s[22:23], vcc
	s_xor_b64 s[22:23], exec, s[22:23]
; %bb.4555:                             ;   in Loop: Header=BB6_3657 Depth=2
	v_cmp_lt_u64_e32 vcc, s[76:77], v[60:61]
	v_add_u32_e32 v3, 7, v9
	v_cndmask_b32_e32 v3, v6, v3, vcc
	v_cndmask_b32_e64 v6, 0, 1, vcc
	v_lshrrev_b64 v[14:15], v6, v[60:61]
; %bb.4556:                             ;   in Loop: Header=BB6_3657 Depth=2
	s_or_saveexec_b64 s[22:23], s[22:23]
	buffer_load_dword v25, off, s[0:3], s33 offset:88 ; 4-byte Folded Reload
	v_mov_b32_e32 v24, v18
	s_xor_b64 exec, exec, s[22:23]
; %bb.4557:                             ;   in Loop: Header=BB6_3657 Depth=2
	v_mov_b32_e32 v14, v60
	v_bfe_u32 v3, v60, 23, 1
	v_mov_b32_e32 v15, v61
; %bb.4558:                             ;   in Loop: Header=BB6_3657 Depth=2
	s_or_b64 exec, exec, s[22:23]
	v_lshrrev_b64 v[14:15], 20, v[14:15]
	v_cmp_gt_i32_e32 vcc, 16, v3
	v_cndmask_b32_e32 v15, 0, v15, vcc
	v_cndmask_b32_e32 v14, 7, v14, vcc
	v_cmp_ne_u64_e32 vcc, 0, v[14:15]
	v_cmp_ne_u32_e64 s[22:23], 0, v3
	s_or_b64 s[22:23], s[22:23], vcc
                                        ; implicit-def: $vgpr6
	s_and_saveexec_b64 vcc, s[22:23]
	s_xor_b64 s[22:23], exec, vcc
; %bb.4559:                             ;   in Loop: Header=BB6_3657 Depth=2
	v_min_i32_e32 v3, 15, v3
	v_lshl_or_b32 v2, v3, 3, v2
	v_and_or_b32 v6, v14, 7, v2
                                        ; implicit-def: $vgpr2
; %bb.4560:                             ;   in Loop: Header=BB6_3657 Depth=2
	s_andn2_saveexec_b64 s[22:23], s[22:23]
; %bb.4561:                             ;   in Loop: Header=BB6_3657 Depth=2
	v_mov_b32_e32 v6, v2
; %bb.4562:                             ;   in Loop: Header=BB6_3657 Depth=2
	s_or_b64 exec, exec, s[22:23]
.LBB6_4563:                             ;   in Loop: Header=BB6_3657 Depth=2
	s_or_b64 exec, exec, s[34:35]
                                        ; implicit-def: $vgpr2
.LBB6_4564:                             ;   in Loop: Header=BB6_3657 Depth=2
	s_andn2_saveexec_b64 s[22:23], s[30:31]
; %bb.4565:                             ;   in Loop: Header=BB6_3657 Depth=2
	v_or_b32_e32 v6, 0x7e, v2
; %bb.4566:                             ;   in Loop: Header=BB6_3657 Depth=2
	s_or_b64 exec, exec, s[22:23]
                                        ; implicit-def: $vgpr3
.LBB6_4567:                             ;   in Loop: Header=BB6_3657 Depth=2
	s_andn2_saveexec_b64 s[22:23], s[94:95]
; %bb.4568:                             ;   in Loop: Header=BB6_3657 Depth=2
	v_or_b32_sdwa v6, v3, s54 dst_sel:DWORD dst_unused:UNUSED_PAD src0_sel:BYTE_3 src1_sel:DWORD
; %bb.4569:                             ;   in Loop: Header=BB6_3657 Depth=2
	s_or_b64 exec, exec, s[22:23]
	buffer_load_dword v2, off, s[0:3], s33 offset:112 ; 4-byte Folded Reload
	s_and_b64 vcc, exec, s[20:21]
	s_mov_b64 s[94:95], -1
                                        ; implicit-def: $vgpr3
	s_waitcnt vmcnt(0)
	v_and_b32_e32 v14, 0xff, v2
	v_cmp_ne_u16_e64 s[22:23], 0, v14
	s_cbranch_vccnz .LBB6_4583
; %bb.4570:                             ;   in Loop: Header=BB6_3657 Depth=2
	v_mov_b32_e32 v3, 0
	v_mov_b32_e32 v2, 0
	s_and_saveexec_b64 s[94:95], s[22:23]
	s_cbranch_execz .LBB6_4576
; %bb.4571:                             ;   in Loop: Header=BB6_3657 Depth=2
	v_cmp_ne_u16_e32 vcc, s53, v14
	v_bfrev_b32_e32 v2, 1
	s_and_saveexec_b64 s[30:31], vcc
	s_cbranch_execz .LBB6_4575
; %bb.4572:                             ;   in Loop: Header=BB6_3657 Depth=2
	buffer_load_dword v2, off, s[0:3], s33 offset:112 ; 4-byte Folded Reload
	s_waitcnt vmcnt(0)
	v_and_b32_e32 v9, 0x7f, v2
	v_cmp_ne_u32_e32 vcc, s54, v9
	v_mov_b32_e32 v2, 0x7f800001
	s_and_saveexec_b64 s[34:35], vcc
	s_cbranch_execz .LBB6_4574
; %bb.4573:                             ;   in Loop: Header=BB6_3657 Depth=2
	v_and_b32_e32 v2, 7, v14
	v_lshrrev_b32_e32 v24, 3, v9
	v_cmp_gt_u32_e32 vcc, 8, v9
	v_ffbh_u32_e32 v9, v2
	v_min_u32_e32 v9, 32, v9
	v_subrev_u32_e32 v15, 28, v9
	v_lshlrev_b64 v[15:16], v15, v[14:15]
	v_sub_u32_e32 v9, 29, v9
	v_and_b32_e32 v15, 7, v15
	v_cndmask_b32_e32 v2, v2, v15, vcc
	buffer_load_dword v15, off, s[0:3], s33 offset:112 ; 4-byte Folded Reload
	v_cndmask_b32_e32 v9, v24, v9, vcc
	v_lshlrev_b32_e32 v2, 20, v2
	v_lshl_add_u32 v9, v9, 23, v62
	v_mov_b32_e32 v24, v18
	s_waitcnt vmcnt(0)
	v_lshlrev_b32_e32 v15, 24, v15
	v_and_b32_e32 v15, 0x80000000, v15
	v_or3_b32 v2, v15, v9, v2
.LBB6_4574:                             ;   in Loop: Header=BB6_3657 Depth=2
	s_or_b64 exec, exec, s[34:35]
.LBB6_4575:                             ;   in Loop: Header=BB6_3657 Depth=2
	s_or_b64 exec, exec, s[30:31]
.LBB6_4576:                             ;   in Loop: Header=BB6_3657 Depth=2
	s_or_b64 exec, exec, s[94:95]
	v_and_b32_e32 v15, 0xff, v24
	v_cmp_ne_u16_e32 vcc, 0, v15
	s_and_saveexec_b64 s[94:95], vcc
	s_cbranch_execz .LBB6_4582
; %bb.4577:                             ;   in Loop: Header=BB6_3657 Depth=2
	v_cmp_ne_u16_e32 vcc, s53, v15
	v_bfrev_b32_e32 v3, 1
	s_and_saveexec_b64 s[30:31], vcc
	s_cbranch_execz .LBB6_4581
; %bb.4578:                             ;   in Loop: Header=BB6_3657 Depth=2
	v_and_b32_e32 v9, 0x7f, v24
	v_cmp_ne_u32_e32 vcc, s54, v9
	v_mov_b32_e32 v3, 0x7f800001
	s_and_saveexec_b64 s[34:35], vcc
	s_cbranch_execz .LBB6_4580
; %bb.4579:                             ;   in Loop: Header=BB6_3657 Depth=2
	v_and_b32_e32 v3, 7, v15
	v_lshrrev_b32_e32 v24, 3, v9
	v_cmp_gt_u32_e32 vcc, 8, v9
	v_ffbh_u32_e32 v9, v3
	v_min_u32_e32 v9, 32, v9
	v_subrev_u32_e32 v16, 28, v9
	v_lshlrev_b64 v[15:16], v16, v[15:16]
	v_sub_u32_e32 v9, 29, v9
	v_and_b32_e32 v15, 7, v15
	v_cndmask_b32_e32 v9, v24, v9, vcc
	v_mov_b32_e32 v24, v18
	v_cndmask_b32_e32 v3, v3, v15, vcc
	v_lshlrev_b32_e32 v15, 24, v24
	v_lshlrev_b32_e32 v3, 20, v3
	v_and_b32_e32 v15, 0x80000000, v15
	v_lshl_add_u32 v9, v9, 23, v62
	v_or3_b32 v3, v15, v9, v3
.LBB6_4580:                             ;   in Loop: Header=BB6_3657 Depth=2
	s_or_b64 exec, exec, s[34:35]
.LBB6_4581:                             ;   in Loop: Header=BB6_3657 Depth=2
	s_or_b64 exec, exec, s[30:31]
.LBB6_4582:                             ;   in Loop: Header=BB6_3657 Depth=2
	s_or_b64 exec, exec, s[94:95]
	v_max_f32_e32 v3, v3, v3
	v_max_f32_e32 v2, v2, v2
	;; [unrolled: 1-line block ×3, first 2 shown]
	s_mov_b64 s[94:95], 0
.LBB6_4583:                             ;   in Loop: Header=BB6_3657 Depth=2
	s_and_b64 vcc, exec, s[94:95]
	s_cbranch_vccz .LBB6_4597
; %bb.4584:                             ;   in Loop: Header=BB6_3657 Depth=2
	v_mov_b32_e32 v3, 0
	v_mov_b32_e32 v2, 0
	s_and_saveexec_b64 s[94:95], s[22:23]
	s_cbranch_execz .LBB6_4590
; %bb.4585:                             ;   in Loop: Header=BB6_3657 Depth=2
	v_cmp_ne_u16_e32 vcc, s53, v14
	v_bfrev_b32_e32 v2, 1
	s_and_saveexec_b64 s[22:23], vcc
	s_cbranch_execz .LBB6_4589
; %bb.4586:                             ;   in Loop: Header=BB6_3657 Depth=2
	buffer_load_dword v18, off, s[0:3], s33 offset:112 ; 4-byte Folded Reload
	v_mov_b32_e32 v2, 0x7f800001
	s_waitcnt vmcnt(0)
	v_and_b32_e32 v9, 0x7f, v18
	v_cmp_ne_u32_e32 vcc, s54, v9
	s_and_saveexec_b64 s[30:31], vcc
	s_cbranch_execz .LBB6_4588
; %bb.4587:                             ;   in Loop: Header=BB6_3657 Depth=2
	v_and_b32_e32 v2, 7, v14
	v_lshrrev_b32_e32 v16, 3, v9
	v_cmp_gt_u32_e32 vcc, 8, v9
	v_ffbh_u32_e32 v9, v2
	v_min_u32_e32 v9, 32, v9
	v_subrev_u32_e32 v15, 28, v9
	v_lshlrev_b64 v[14:15], v15, v[14:15]
	v_sub_u32_e32 v9, 29, v9
	v_and_b32_e32 v14, 7, v14
	v_cndmask_b32_e32 v9, v16, v9, vcc
	v_cndmask_b32_e32 v2, v2, v14, vcc
	v_lshlrev_b32_e32 v14, 24, v18
	v_lshlrev_b32_e32 v2, 20, v2
	v_and_b32_e32 v14, 0x80000000, v14
	v_lshl_add_u32 v9, v9, 23, v62
	v_or3_b32 v2, v14, v9, v2
.LBB6_4588:                             ;   in Loop: Header=BB6_3657 Depth=2
	s_or_b64 exec, exec, s[30:31]
.LBB6_4589:                             ;   in Loop: Header=BB6_3657 Depth=2
	s_or_b64 exec, exec, s[22:23]
.LBB6_4590:                             ;   in Loop: Header=BB6_3657 Depth=2
	s_or_b64 exec, exec, s[94:95]
	v_and_b32_e32 v14, 0xff, v24
	v_cmp_ne_u16_e32 vcc, 0, v14
	s_and_saveexec_b64 s[22:23], vcc
	s_cbranch_execz .LBB6_4596
; %bb.4591:                             ;   in Loop: Header=BB6_3657 Depth=2
	v_cmp_ne_u16_e32 vcc, s53, v14
	v_bfrev_b32_e32 v3, 1
	s_and_saveexec_b64 s[94:95], vcc
	s_cbranch_execz .LBB6_4595
; %bb.4592:                             ;   in Loop: Header=BB6_3657 Depth=2
	v_and_b32_e32 v9, 0x7f, v24
	v_cmp_ne_u32_e32 vcc, s54, v9
	v_mov_b32_e32 v3, 0x7f800001
	s_and_saveexec_b64 s[30:31], vcc
	s_cbranch_execz .LBB6_4594
; %bb.4593:                             ;   in Loop: Header=BB6_3657 Depth=2
	v_and_b32_e32 v3, 7, v14
	v_lshrrev_b32_e32 v16, 3, v9
	v_cmp_gt_u32_e32 vcc, 8, v9
	v_ffbh_u32_e32 v9, v3
	v_min_u32_e32 v9, 32, v9
	v_subrev_u32_e32 v15, 28, v9
	v_lshlrev_b64 v[14:15], v15, v[14:15]
	v_sub_u32_e32 v9, 29, v9
	v_and_b32_e32 v14, 7, v14
	v_cndmask_b32_e32 v9, v16, v9, vcc
	v_cndmask_b32_e32 v3, v3, v14, vcc
	v_lshlrev_b32_e32 v14, 24, v24
	v_lshlrev_b32_e32 v3, 20, v3
	v_and_b32_e32 v14, 0x80000000, v14
	v_lshl_add_u32 v9, v9, 23, v62
	v_or3_b32 v3, v14, v9, v3
.LBB6_4594:                             ;   in Loop: Header=BB6_3657 Depth=2
	s_or_b64 exec, exec, s[30:31]
.LBB6_4595:                             ;   in Loop: Header=BB6_3657 Depth=2
	s_or_b64 exec, exec, s[94:95]
.LBB6_4596:                             ;   in Loop: Header=BB6_3657 Depth=2
	s_or_b64 exec, exec, s[22:23]
	v_max_f32_e32 v3, v3, v3
	v_max_f32_e32 v2, v2, v2
	v_min_f32_e32 v3, v2, v3
.LBB6_4597:                             ;   in Loop: Header=BB6_3657 Depth=2
	v_and_b32_e32 v60, 0x7f800000, v3
	v_cmp_ne_u64_e32 vcc, s[72:73], v[60:61]
                                        ; implicit-def: $vgpr9
	s_and_saveexec_b64 s[22:23], vcc
	s_xor_b64 s[94:95], exec, s[22:23]
	s_cbranch_execz .LBB6_4615
; %bb.4598:                             ;   in Loop: Header=BB6_3657 Depth=2
	v_and_b32_e32 v60, 0x7fffffff, v3
	v_cmp_gt_u64_e32 vcc, s[74:75], v[60:61]
	v_and_b32_sdwa v2, v3, s53 dst_sel:DWORD dst_unused:UNUSED_PAD src0_sel:BYTE_3 src1_sel:DWORD
                                        ; implicit-def: $vgpr9
	s_and_saveexec_b64 s[22:23], vcc
	s_xor_b64 s[30:31], exec, s[22:23]
	s_cbranch_execz .LBB6_4612
; %bb.4599:                             ;   in Loop: Header=BB6_3657 Depth=2
	v_cmp_ne_u32_e32 vcc, 0, v3
	v_mov_b32_e32 v9, 0
	s_and_saveexec_b64 s[34:35], vcc
	s_cbranch_execz .LBB6_4611
; %bb.4600:                             ;   in Loop: Header=BB6_3657 Depth=2
	v_and_b32_e32 v14, 0x7fffff, v3
	v_bfe_u32 v3, v3, 23, 8
	v_cmp_gt_u32_e64 s[22:23], s64, v3
	v_sub_u32_e32 v9, 0x79, v3
	v_cmp_eq_u32_e32 vcc, 0, v3
	v_cndmask_b32_e64 v9, 0, v9, s[22:23]
	v_mov_b32_e32 v16, 0x78
	v_or_b32_e32 v15, 0x800000, v14
	v_cndmask_b32_e32 v9, v9, v16, vcc
	v_cndmask_b32_e32 v60, v15, v14, vcc
	v_add_u32_e32 v14, 20, v9
	v_lshlrev_b64 v[14:15], v14, -1
	v_add_u32_e32 v16, 19, v9
	v_lshlrev_b64 v[24:25], v16, 1
	v_bfi_b32 v15, v15, 0, 0
	v_bfi_b32 v14, v14, 0, v60
	v_cmp_eq_u64_e64 s[22:23], v[14:15], v[24:25]
	v_lshrrev_b64 v[14:15], v9, v[60:61]
	v_mov_b32_e32 v16, v15
	v_mov_b32_e32 v15, v14
	s_and_saveexec_b64 s[36:37], s[22:23]
; %bb.4601:                             ;   in Loop: Header=BB6_3657 Depth=2
	v_bfe_u32 v15, v14, 20, 1
	v_add_co_u32_e64 v15, s[22:23], v14, v15
	v_add_co_u32_e64 v15, s[22:23], -1, v15
; %bb.4602:                             ;   in Loop: Header=BB6_3657 Depth=2
	s_or_b64 exec, exec, s[36:37]
	v_add_u32_e32 v3, 0xffffff81, v3
	v_cndmask_b32_e32 v3, v3, v41, vcc
	v_lshrrev_b32_e32 v16, 23, v14
	v_add3_u32 v16, v9, v3, v16
	v_add_u32_e32 v9, 6, v16
	v_and_b32_e32 v3, 0xfffff, v15
	v_add_u32_e32 v60, v3, v14
	v_cmp_ne_u32_e32 vcc, 0, v9
                                        ; implicit-def: $vgpr14_vgpr15
                                        ; implicit-def: $vgpr3
	s_and_saveexec_b64 s[22:23], vcc
	s_xor_b64 s[22:23], exec, s[22:23]
; %bb.4603:                             ;   in Loop: Header=BB6_3657 Depth=2
	v_cmp_lt_u64_e32 vcc, s[76:77], v[60:61]
	v_add_u32_e32 v3, 7, v16
	v_cndmask_b32_e32 v3, v9, v3, vcc
	v_cndmask_b32_e64 v9, 0, 1, vcc
	v_lshrrev_b64 v[14:15], v9, v[60:61]
; %bb.4604:                             ;   in Loop: Header=BB6_3657 Depth=2
	s_or_saveexec_b64 s[22:23], s[22:23]
	buffer_load_dword v25, off, s[0:3], s33 offset:88 ; 4-byte Folded Reload
	s_xor_b64 exec, exec, s[22:23]
; %bb.4605:                             ;   in Loop: Header=BB6_3657 Depth=2
	v_mov_b32_e32 v14, v60
	v_bfe_u32 v3, v60, 23, 1
	v_mov_b32_e32 v15, v61
; %bb.4606:                             ;   in Loop: Header=BB6_3657 Depth=2
	s_or_b64 exec, exec, s[22:23]
	v_lshrrev_b64 v[14:15], 20, v[14:15]
	v_cmp_gt_i32_e32 vcc, 16, v3
	v_cndmask_b32_e32 v15, 0, v15, vcc
	v_cndmask_b32_e32 v14, 7, v14, vcc
	v_cmp_ne_u64_e32 vcc, 0, v[14:15]
	v_cmp_ne_u32_e64 s[22:23], 0, v3
	s_or_b64 s[22:23], s[22:23], vcc
                                        ; implicit-def: $vgpr9
	s_and_saveexec_b64 vcc, s[22:23]
	s_xor_b64 s[22:23], exec, vcc
; %bb.4607:                             ;   in Loop: Header=BB6_3657 Depth=2
	v_min_i32_e32 v3, 15, v3
	v_lshl_or_b32 v2, v3, 3, v2
	v_and_or_b32 v9, v14, 7, v2
                                        ; implicit-def: $vgpr2
; %bb.4608:                             ;   in Loop: Header=BB6_3657 Depth=2
	s_andn2_saveexec_b64 s[22:23], s[22:23]
; %bb.4609:                             ;   in Loop: Header=BB6_3657 Depth=2
	v_mov_b32_e32 v9, v2
; %bb.4610:                             ;   in Loop: Header=BB6_3657 Depth=2
	s_or_b64 exec, exec, s[22:23]
.LBB6_4611:                             ;   in Loop: Header=BB6_3657 Depth=2
	s_or_b64 exec, exec, s[34:35]
                                        ; implicit-def: $vgpr2
.LBB6_4612:                             ;   in Loop: Header=BB6_3657 Depth=2
	s_andn2_saveexec_b64 s[22:23], s[30:31]
; %bb.4613:                             ;   in Loop: Header=BB6_3657 Depth=2
	v_or_b32_e32 v9, 0x7e, v2
; %bb.4614:                             ;   in Loop: Header=BB6_3657 Depth=2
	s_or_b64 exec, exec, s[22:23]
                                        ; implicit-def: $vgpr3
.LBB6_4615:                             ;   in Loop: Header=BB6_3657 Depth=2
	s_andn2_saveexec_b64 s[22:23], s[94:95]
; %bb.4616:                             ;   in Loop: Header=BB6_3657 Depth=2
	v_or_b32_sdwa v9, v3, s54 dst_sel:DWORD dst_unused:UNUSED_PAD src0_sel:BYTE_3 src1_sel:DWORD
; %bb.4617:                             ;   in Loop: Header=BB6_3657 Depth=2
	s_or_b64 exec, exec, s[22:23]
	s_waitcnt vmcnt(0)
	v_and_b32_e32 v14, 0xff, v25
	v_cmp_ne_u16_e64 s[22:23], 0, v14
	s_and_b64 vcc, exec, s[20:21]
	s_mov_b64 s[94:95], -1
                                        ; implicit-def: $vgpr3
	s_cbranch_vccnz .LBB6_4631
; %bb.4618:                             ;   in Loop: Header=BB6_3657 Depth=2
	v_mov_b32_e32 v3, 0
	v_mov_b32_e32 v2, 0
	s_and_saveexec_b64 s[94:95], s[22:23]
	s_cbranch_execz .LBB6_4624
; %bb.4619:                             ;   in Loop: Header=BB6_3657 Depth=2
	v_cmp_ne_u16_e32 vcc, s53, v14
	v_bfrev_b32_e32 v2, 1
	s_and_saveexec_b64 s[30:31], vcc
	s_cbranch_execz .LBB6_4623
; %bb.4620:                             ;   in Loop: Header=BB6_3657 Depth=2
	v_and_b32_e32 v15, 0x7f, v25
	v_cmp_ne_u32_e32 vcc, s54, v15
	v_mov_b32_e32 v2, 0x7f800001
	s_and_saveexec_b64 s[34:35], vcc
	s_cbranch_execz .LBB6_4622
; %bb.4621:                             ;   in Loop: Header=BB6_3657 Depth=2
	v_and_b32_e32 v2, 7, v14
	v_lshrrev_b32_e32 v18, 3, v15
	v_cmp_gt_u32_e32 vcc, 8, v15
	v_ffbh_u32_e32 v15, v2
	v_min_u32_e32 v24, 32, v15
	v_subrev_u32_e32 v15, 28, v24
	v_lshlrev_b64 v[15:16], v15, v[14:15]
	v_sub_u32_e32 v16, 29, v24
	v_and_b32_e32 v15, 7, v15
	v_cndmask_b32_e32 v16, v18, v16, vcc
	v_cndmask_b32_e32 v2, v2, v15, vcc
	v_lshlrev_b32_e32 v15, 24, v25
	v_lshlrev_b32_e32 v2, 20, v2
	v_and_b32_e32 v15, 0x80000000, v15
	v_lshl_add_u32 v16, v16, 23, v62
	v_or3_b32 v2, v15, v16, v2
.LBB6_4622:                             ;   in Loop: Header=BB6_3657 Depth=2
	s_or_b64 exec, exec, s[34:35]
.LBB6_4623:                             ;   in Loop: Header=BB6_3657 Depth=2
	s_or_b64 exec, exec, s[30:31]
.LBB6_4624:                             ;   in Loop: Header=BB6_3657 Depth=2
	s_or_b64 exec, exec, s[94:95]
	v_and_b32_e32 v15, 0xff, v5
	v_cmp_ne_u16_e32 vcc, 0, v15
	s_and_saveexec_b64 s[94:95], vcc
	s_cbranch_execz .LBB6_4630
; %bb.4625:                             ;   in Loop: Header=BB6_3657 Depth=2
	v_cmp_ne_u16_e32 vcc, s53, v15
	v_bfrev_b32_e32 v3, 1
	s_and_saveexec_b64 s[30:31], vcc
	s_cbranch_execz .LBB6_4629
; %bb.4626:                             ;   in Loop: Header=BB6_3657 Depth=2
	v_and_b32_e32 v16, 0x7f, v5
	v_cmp_ne_u32_e32 vcc, s54, v16
	v_mov_b32_e32 v3, 0x7f800001
	s_and_saveexec_b64 s[34:35], vcc
	s_cbranch_execz .LBB6_4628
; %bb.4627:                             ;   in Loop: Header=BB6_3657 Depth=2
	v_and_b32_e32 v3, 7, v15
	v_lshrrev_b32_e32 v18, 3, v16
	v_cmp_gt_u32_e32 vcc, 8, v16
	v_ffbh_u32_e32 v16, v3
	v_min_u32_e32 v24, 32, v16
	v_subrev_u32_e32 v16, 28, v24
	v_lshlrev_b64 v[15:16], v16, v[15:16]
	v_sub_u32_e32 v16, 29, v24
	v_and_b32_e32 v15, 7, v15
	v_cndmask_b32_e32 v16, v18, v16, vcc
	v_cndmask_b32_e32 v3, v3, v15, vcc
	v_lshlrev_b32_e32 v15, 24, v5
	v_lshlrev_b32_e32 v3, 20, v3
	v_and_b32_e32 v15, 0x80000000, v15
	v_lshl_add_u32 v16, v16, 23, v62
	v_or3_b32 v3, v15, v16, v3
.LBB6_4628:                             ;   in Loop: Header=BB6_3657 Depth=2
	s_or_b64 exec, exec, s[34:35]
.LBB6_4629:                             ;   in Loop: Header=BB6_3657 Depth=2
	s_or_b64 exec, exec, s[30:31]
.LBB6_4630:                             ;   in Loop: Header=BB6_3657 Depth=2
	s_or_b64 exec, exec, s[94:95]
	v_max_f32_e32 v3, v3, v3
	v_max_f32_e32 v2, v2, v2
	;; [unrolled: 1-line block ×3, first 2 shown]
	s_mov_b64 s[94:95], 0
.LBB6_4631:                             ;   in Loop: Header=BB6_3657 Depth=2
	s_and_b64 vcc, exec, s[94:95]
	s_cbranch_vccz .LBB6_4645
; %bb.4632:                             ;   in Loop: Header=BB6_3657 Depth=2
	v_mov_b32_e32 v3, 0
	v_mov_b32_e32 v2, 0
	s_and_saveexec_b64 s[94:95], s[22:23]
	s_cbranch_execz .LBB6_4638
; %bb.4633:                             ;   in Loop: Header=BB6_3657 Depth=2
	v_cmp_ne_u16_e32 vcc, s53, v14
	v_bfrev_b32_e32 v2, 1
	s_and_saveexec_b64 s[22:23], vcc
	s_cbranch_execz .LBB6_4637
; %bb.4634:                             ;   in Loop: Header=BB6_3657 Depth=2
	v_and_b32_e32 v15, 0x7f, v25
	v_cmp_ne_u32_e32 vcc, s54, v15
	v_mov_b32_e32 v2, 0x7f800001
	s_and_saveexec_b64 s[30:31], vcc
	s_cbranch_execz .LBB6_4636
; %bb.4635:                             ;   in Loop: Header=BB6_3657 Depth=2
	v_and_b32_e32 v2, 7, v14
	v_lshrrev_b32_e32 v16, 3, v15
	v_cmp_gt_u32_e32 vcc, 8, v15
	v_ffbh_u32_e32 v15, v2
	v_min_u32_e32 v18, 32, v15
	v_subrev_u32_e32 v15, 28, v18
	v_lshlrev_b64 v[14:15], v15, v[14:15]
	v_sub_u32_e32 v15, 29, v18
	v_and_b32_e32 v14, 7, v14
	v_cndmask_b32_e32 v15, v16, v15, vcc
	v_cndmask_b32_e32 v2, v2, v14, vcc
	v_lshlrev_b32_e32 v14, 24, v25
	v_lshlrev_b32_e32 v2, 20, v2
	v_and_b32_e32 v14, 0x80000000, v14
	v_lshl_add_u32 v15, v15, 23, v62
	v_or3_b32 v2, v14, v15, v2
.LBB6_4636:                             ;   in Loop: Header=BB6_3657 Depth=2
	s_or_b64 exec, exec, s[30:31]
.LBB6_4637:                             ;   in Loop: Header=BB6_3657 Depth=2
	s_or_b64 exec, exec, s[22:23]
.LBB6_4638:                             ;   in Loop: Header=BB6_3657 Depth=2
	s_or_b64 exec, exec, s[94:95]
	v_and_b32_e32 v14, 0xff, v5
	v_cmp_ne_u16_e32 vcc, 0, v14
	s_and_saveexec_b64 s[22:23], vcc
	s_cbranch_execz .LBB6_4644
; %bb.4639:                             ;   in Loop: Header=BB6_3657 Depth=2
	v_cmp_ne_u16_e32 vcc, s53, v14
	v_bfrev_b32_e32 v3, 1
	s_and_saveexec_b64 s[94:95], vcc
	s_cbranch_execz .LBB6_4643
; %bb.4640:                             ;   in Loop: Header=BB6_3657 Depth=2
	v_and_b32_e32 v15, 0x7f, v5
	v_cmp_ne_u32_e32 vcc, s54, v15
	v_mov_b32_e32 v3, 0x7f800001
	s_and_saveexec_b64 s[30:31], vcc
	s_cbranch_execz .LBB6_4642
; %bb.4641:                             ;   in Loop: Header=BB6_3657 Depth=2
	v_and_b32_e32 v3, 7, v14
	v_lshrrev_b32_e32 v16, 3, v15
	v_cmp_gt_u32_e32 vcc, 8, v15
	v_ffbh_u32_e32 v15, v3
	v_min_u32_e32 v17, 32, v15
	v_subrev_u32_e32 v15, 28, v17
	v_lshlrev_b64 v[14:15], v15, v[14:15]
	v_sub_u32_e32 v15, 29, v17
	buffer_load_dword v17, off, s[0:3], s33 offset:104 ; 4-byte Folded Reload
	v_and_b32_e32 v14, 7, v14
	v_cndmask_b32_e32 v15, v16, v15, vcc
	v_cndmask_b32_e32 v3, v3, v14, vcc
	v_lshlrev_b32_e32 v5, 24, v5
	v_lshlrev_b32_e32 v3, 20, v3
	v_and_b32_e32 v5, 0x80000000, v5
	v_lshl_add_u32 v14, v15, 23, v62
	v_or3_b32 v3, v5, v14, v3
.LBB6_4642:                             ;   in Loop: Header=BB6_3657 Depth=2
	s_or_b64 exec, exec, s[30:31]
.LBB6_4643:                             ;   in Loop: Header=BB6_3657 Depth=2
	s_or_b64 exec, exec, s[94:95]
.LBB6_4644:                             ;   in Loop: Header=BB6_3657 Depth=2
	s_or_b64 exec, exec, s[22:23]
	v_max_f32_e32 v3, v3, v3
	v_max_f32_e32 v2, v2, v2
	v_min_f32_e32 v3, v2, v3
.LBB6_4645:                             ;   in Loop: Header=BB6_3657 Depth=2
	v_and_b32_e32 v60, 0x7f800000, v3
	v_cmp_ne_u64_e32 vcc, s[72:73], v[60:61]
                                        ; implicit-def: $vgpr5
	s_and_saveexec_b64 s[22:23], vcc
	s_xor_b64 s[94:95], exec, s[22:23]
	s_cbranch_execz .LBB6_4663
; %bb.4646:                             ;   in Loop: Header=BB6_3657 Depth=2
	v_and_b32_e32 v60, 0x7fffffff, v3
	v_cmp_gt_u64_e32 vcc, s[74:75], v[60:61]
	v_and_b32_sdwa v2, v3, s53 dst_sel:DWORD dst_unused:UNUSED_PAD src0_sel:BYTE_3 src1_sel:DWORD
                                        ; implicit-def: $vgpr5
	s_and_saveexec_b64 s[22:23], vcc
	s_xor_b64 s[30:31], exec, s[22:23]
	s_cbranch_execz .LBB6_4660
; %bb.4647:                             ;   in Loop: Header=BB6_3657 Depth=2
	v_cmp_ne_u32_e32 vcc, 0, v3
	v_mov_b32_e32 v5, 0
	s_and_saveexec_b64 s[34:35], vcc
	s_cbranch_execz .LBB6_4659
; %bb.4648:                             ;   in Loop: Header=BB6_3657 Depth=2
	v_and_b32_e32 v14, 0x7fffff, v3
	v_bfe_u32 v3, v3, 23, 8
	v_cmp_gt_u32_e64 s[22:23], s64, v3
	v_sub_u32_e32 v5, 0x79, v3
	v_cmp_eq_u32_e32 vcc, 0, v3
	v_cndmask_b32_e64 v5, 0, v5, s[22:23]
	v_mov_b32_e32 v16, 0x78
	v_or_b32_e32 v15, 0x800000, v14
	v_cndmask_b32_e32 v5, v5, v16, vcc
	v_cndmask_b32_e32 v60, v15, v14, vcc
	v_add_u32_e32 v14, 20, v5
	v_lshlrev_b64 v[14:15], v14, -1
	v_add_u32_e32 v16, 19, v5
	s_waitcnt vmcnt(0)
	v_lshlrev_b64 v[16:17], v16, 1
	v_bfi_b32 v15, v15, 0, 0
	v_bfi_b32 v14, v14, 0, v60
	v_cmp_eq_u64_e64 s[22:23], v[14:15], v[16:17]
	v_lshrrev_b64 v[14:15], v5, v[60:61]
	v_mov_b32_e32 v16, v15
	v_mov_b32_e32 v15, v14
	s_and_saveexec_b64 s[36:37], s[22:23]
; %bb.4649:                             ;   in Loop: Header=BB6_3657 Depth=2
	v_bfe_u32 v15, v14, 20, 1
	v_add_co_u32_e64 v15, s[22:23], v14, v15
	v_add_co_u32_e64 v15, s[22:23], -1, v15
; %bb.4650:                             ;   in Loop: Header=BB6_3657 Depth=2
	s_or_b64 exec, exec, s[36:37]
	v_add_u32_e32 v3, 0xffffff81, v3
	v_cndmask_b32_e32 v3, v3, v41, vcc
	v_lshrrev_b32_e32 v16, 23, v14
	v_add3_u32 v16, v5, v3, v16
	v_add_u32_e32 v5, 6, v16
	v_and_b32_e32 v3, 0xfffff, v15
	v_add_u32_e32 v60, v3, v14
	v_cmp_ne_u32_e32 vcc, 0, v5
                                        ; implicit-def: $vgpr14_vgpr15
                                        ; implicit-def: $vgpr3
	s_and_saveexec_b64 s[22:23], vcc
	s_xor_b64 s[22:23], exec, s[22:23]
; %bb.4651:                             ;   in Loop: Header=BB6_3657 Depth=2
	v_cmp_lt_u64_e32 vcc, s[76:77], v[60:61]
	v_add_u32_e32 v3, 7, v16
	v_cndmask_b32_e32 v3, v5, v3, vcc
	v_cndmask_b32_e64 v5, 0, 1, vcc
	v_lshrrev_b64 v[14:15], v5, v[60:61]
; %bb.4652:                             ;   in Loop: Header=BB6_3657 Depth=2
	s_or_saveexec_b64 s[22:23], s[22:23]
	buffer_load_dword v17, off, s[0:3], s33 offset:104 ; 4-byte Folded Reload
	s_xor_b64 exec, exec, s[22:23]
; %bb.4653:                             ;   in Loop: Header=BB6_3657 Depth=2
	v_mov_b32_e32 v14, v60
	v_bfe_u32 v3, v60, 23, 1
	v_mov_b32_e32 v15, v61
; %bb.4654:                             ;   in Loop: Header=BB6_3657 Depth=2
	s_or_b64 exec, exec, s[22:23]
	v_lshrrev_b64 v[14:15], 20, v[14:15]
	v_cmp_gt_i32_e32 vcc, 16, v3
	v_cndmask_b32_e32 v15, 0, v15, vcc
	v_cndmask_b32_e32 v14, 7, v14, vcc
	v_cmp_ne_u64_e32 vcc, 0, v[14:15]
	v_cmp_ne_u32_e64 s[22:23], 0, v3
	s_or_b64 s[22:23], s[22:23], vcc
                                        ; implicit-def: $vgpr5
	s_and_saveexec_b64 vcc, s[22:23]
	s_xor_b64 s[22:23], exec, vcc
; %bb.4655:                             ;   in Loop: Header=BB6_3657 Depth=2
	v_min_i32_e32 v3, 15, v3
	v_lshl_or_b32 v2, v3, 3, v2
	v_and_or_b32 v5, v14, 7, v2
                                        ; implicit-def: $vgpr2
; %bb.4656:                             ;   in Loop: Header=BB6_3657 Depth=2
	s_andn2_saveexec_b64 s[22:23], s[22:23]
; %bb.4657:                             ;   in Loop: Header=BB6_3657 Depth=2
	v_mov_b32_e32 v5, v2
; %bb.4658:                             ;   in Loop: Header=BB6_3657 Depth=2
	s_or_b64 exec, exec, s[22:23]
.LBB6_4659:                             ;   in Loop: Header=BB6_3657 Depth=2
	s_or_b64 exec, exec, s[34:35]
                                        ; implicit-def: $vgpr2
.LBB6_4660:                             ;   in Loop: Header=BB6_3657 Depth=2
	s_andn2_saveexec_b64 s[22:23], s[30:31]
; %bb.4661:                             ;   in Loop: Header=BB6_3657 Depth=2
	v_or_b32_e32 v5, 0x7e, v2
; %bb.4662:                             ;   in Loop: Header=BB6_3657 Depth=2
	s_or_b64 exec, exec, s[22:23]
                                        ; implicit-def: $vgpr3
.LBB6_4663:                             ;   in Loop: Header=BB6_3657 Depth=2
	s_andn2_saveexec_b64 s[22:23], s[94:95]
; %bb.4664:                             ;   in Loop: Header=BB6_3657 Depth=2
	v_or_b32_sdwa v5, v3, s54 dst_sel:DWORD dst_unused:UNUSED_PAD src0_sel:BYTE_3 src1_sel:DWORD
; %bb.4665:                             ;   in Loop: Header=BB6_3657 Depth=2
	s_or_b64 exec, exec, s[22:23]
	buffer_load_dword v2, off, s[0:3], s33 offset:108 ; 4-byte Folded Reload
	s_and_b64 vcc, exec, s[20:21]
	s_mov_b64 s[94:95], -1
                                        ; implicit-def: $vgpr3
	s_waitcnt vmcnt(0)
	v_and_b32_e32 v14, 0xff, v2
	v_cmp_ne_u16_e64 s[22:23], 0, v14
	s_cbranch_vccnz .LBB6_4679
; %bb.4666:                             ;   in Loop: Header=BB6_3657 Depth=2
	v_mov_b32_e32 v3, 0
	v_mov_b32_e32 v2, 0
	s_and_saveexec_b64 s[94:95], s[22:23]
	s_cbranch_execz .LBB6_4672
; %bb.4667:                             ;   in Loop: Header=BB6_3657 Depth=2
	v_cmp_ne_u16_e32 vcc, s53, v14
	v_bfrev_b32_e32 v2, 1
	s_and_saveexec_b64 s[30:31], vcc
	s_cbranch_execz .LBB6_4671
; %bb.4668:                             ;   in Loop: Header=BB6_3657 Depth=2
	buffer_load_dword v2, off, s[0:3], s33 offset:108 ; 4-byte Folded Reload
	s_waitcnt vmcnt(0)
	v_and_b32_e32 v15, 0x7f, v2
	v_cmp_ne_u32_e32 vcc, s54, v15
	v_mov_b32_e32 v2, 0x7f800001
	s_and_saveexec_b64 s[34:35], vcc
	s_cbranch_execz .LBB6_4670
; %bb.4669:                             ;   in Loop: Header=BB6_3657 Depth=2
	v_and_b32_e32 v2, 7, v14
	v_lshrrev_b32_e32 v17, 3, v15
	v_cmp_gt_u32_e32 vcc, 8, v15
	v_ffbh_u32_e32 v15, v2
	v_min_u32_e32 v18, 32, v15
	v_subrev_u32_e32 v15, 28, v18
	v_lshlrev_b64 v[15:16], v15, v[14:15]
	v_sub_u32_e32 v16, 29, v18
	v_and_b32_e32 v15, 7, v15
	v_cndmask_b32_e32 v16, v17, v16, vcc
	buffer_load_dword v17, off, s[0:3], s33 offset:104 ; 4-byte Folded Reload
	v_cndmask_b32_e32 v2, v2, v15, vcc
	buffer_load_dword v15, off, s[0:3], s33 offset:108 ; 4-byte Folded Reload
	v_lshlrev_b32_e32 v2, 20, v2
	v_lshl_add_u32 v16, v16, 23, v62
	s_waitcnt vmcnt(0)
	v_lshlrev_b32_e32 v15, 24, v15
	v_and_b32_e32 v15, 0x80000000, v15
	v_or3_b32 v2, v15, v16, v2
.LBB6_4670:                             ;   in Loop: Header=BB6_3657 Depth=2
	s_or_b64 exec, exec, s[34:35]
.LBB6_4671:                             ;   in Loop: Header=BB6_3657 Depth=2
	s_or_b64 exec, exec, s[30:31]
.LBB6_4672:                             ;   in Loop: Header=BB6_3657 Depth=2
	s_or_b64 exec, exec, s[94:95]
	v_and_b32_e32 v15, 0xff, v17
	v_cmp_ne_u16_e32 vcc, 0, v15
	s_and_saveexec_b64 s[94:95], vcc
	s_cbranch_execz .LBB6_4678
; %bb.4673:                             ;   in Loop: Header=BB6_3657 Depth=2
	v_cmp_ne_u16_e32 vcc, s53, v15
	v_bfrev_b32_e32 v3, 1
	s_and_saveexec_b64 s[30:31], vcc
	s_cbranch_execz .LBB6_4677
; %bb.4674:                             ;   in Loop: Header=BB6_3657 Depth=2
	v_and_b32_e32 v16, 0x7f, v17
	v_cmp_ne_u32_e32 vcc, s54, v16
	v_mov_b32_e32 v3, 0x7f800001
	s_and_saveexec_b64 s[34:35], vcc
	s_cbranch_execz .LBB6_4676
; %bb.4675:                             ;   in Loop: Header=BB6_3657 Depth=2
	v_and_b32_e32 v3, 7, v15
	v_lshrrev_b32_e32 v17, 3, v16
	v_cmp_gt_u32_e32 vcc, 8, v16
	v_ffbh_u32_e32 v16, v3
	v_min_u32_e32 v18, 32, v16
	v_subrev_u32_e32 v16, 28, v18
	v_lshlrev_b64 v[15:16], v16, v[15:16]
	v_sub_u32_e32 v16, 29, v18
	v_cndmask_b32_e32 v16, v17, v16, vcc
	buffer_load_dword v17, off, s[0:3], s33 offset:104 ; 4-byte Folded Reload
	v_and_b32_e32 v15, 7, v15
	v_cndmask_b32_e32 v3, v3, v15, vcc
	v_lshlrev_b32_e32 v3, 20, v3
	v_lshl_add_u32 v16, v16, 23, v62
	s_waitcnt vmcnt(0)
	v_lshlrev_b32_e32 v15, 24, v17
	v_and_b32_e32 v15, 0x80000000, v15
	v_or3_b32 v3, v15, v16, v3
.LBB6_4676:                             ;   in Loop: Header=BB6_3657 Depth=2
	s_or_b64 exec, exec, s[34:35]
.LBB6_4677:                             ;   in Loop: Header=BB6_3657 Depth=2
	s_or_b64 exec, exec, s[30:31]
.LBB6_4678:                             ;   in Loop: Header=BB6_3657 Depth=2
	s_or_b64 exec, exec, s[94:95]
	v_max_f32_e32 v3, v3, v3
	v_max_f32_e32 v2, v2, v2
	;; [unrolled: 1-line block ×3, first 2 shown]
	s_mov_b64 s[94:95], 0
.LBB6_4679:                             ;   in Loop: Header=BB6_3657 Depth=2
	s_and_b64 vcc, exec, s[94:95]
	s_cbranch_vccz .LBB6_4693
; %bb.4680:                             ;   in Loop: Header=BB6_3657 Depth=2
	v_mov_b32_e32 v3, 0
	v_mov_b32_e32 v2, 0
	s_and_saveexec_b64 s[94:95], s[22:23]
	s_cbranch_execz .LBB6_4686
; %bb.4681:                             ;   in Loop: Header=BB6_3657 Depth=2
	v_cmp_ne_u16_e32 vcc, s53, v14
	v_bfrev_b32_e32 v2, 1
	s_and_saveexec_b64 s[22:23], vcc
	s_cbranch_execz .LBB6_4685
; %bb.4682:                             ;   in Loop: Header=BB6_3657 Depth=2
	buffer_load_dword v18, off, s[0:3], s33 offset:108 ; 4-byte Folded Reload
	v_mov_b32_e32 v2, 0x7f800001
	s_waitcnt vmcnt(0)
	v_and_b32_e32 v15, 0x7f, v18
	v_cmp_ne_u32_e32 vcc, s54, v15
	s_and_saveexec_b64 s[30:31], vcc
	s_cbranch_execz .LBB6_4684
; %bb.4683:                             ;   in Loop: Header=BB6_3657 Depth=2
	v_and_b32_e32 v2, 7, v14
	v_lshrrev_b32_e32 v16, 3, v15
	v_cmp_gt_u32_e32 vcc, 8, v15
	v_ffbh_u32_e32 v15, v2
	v_min_u32_e32 v17, 32, v15
	v_subrev_u32_e32 v15, 28, v17
	v_lshlrev_b64 v[14:15], v15, v[14:15]
	v_sub_u32_e32 v15, 29, v17
	buffer_load_dword v17, off, s[0:3], s33 offset:104 ; 4-byte Folded Reload
	v_and_b32_e32 v14, 7, v14
	v_cndmask_b32_e32 v15, v16, v15, vcc
	v_cndmask_b32_e32 v2, v2, v14, vcc
	v_lshlrev_b32_e32 v14, 24, v18
	v_lshlrev_b32_e32 v2, 20, v2
	v_and_b32_e32 v14, 0x80000000, v14
	v_lshl_add_u32 v15, v15, 23, v62
	v_or3_b32 v2, v14, v15, v2
.LBB6_4684:                             ;   in Loop: Header=BB6_3657 Depth=2
	s_or_b64 exec, exec, s[30:31]
.LBB6_4685:                             ;   in Loop: Header=BB6_3657 Depth=2
	s_or_b64 exec, exec, s[22:23]
.LBB6_4686:                             ;   in Loop: Header=BB6_3657 Depth=2
	s_or_b64 exec, exec, s[94:95]
	s_waitcnt vmcnt(0)
	v_and_b32_e32 v14, 0xff, v17
	v_cmp_ne_u16_e32 vcc, 0, v14
	s_and_saveexec_b64 s[22:23], vcc
	s_cbranch_execz .LBB6_4692
; %bb.4687:                             ;   in Loop: Header=BB6_3657 Depth=2
	v_cmp_ne_u16_e32 vcc, s53, v14
	v_bfrev_b32_e32 v3, 1
	s_and_saveexec_b64 s[94:95], vcc
	s_cbranch_execz .LBB6_4691
; %bb.4688:                             ;   in Loop: Header=BB6_3657 Depth=2
	v_and_b32_e32 v15, 0x7f, v17
	v_cmp_ne_u32_e32 vcc, s54, v15
	v_mov_b32_e32 v3, 0x7f800001
	s_and_saveexec_b64 s[30:31], vcc
	s_cbranch_execz .LBB6_4690
; %bb.4689:                             ;   in Loop: Header=BB6_3657 Depth=2
	v_and_b32_e32 v3, 7, v14
	v_lshrrev_b32_e32 v16, 3, v15
	v_cmp_gt_u32_e32 vcc, 8, v15
	v_ffbh_u32_e32 v15, v3
	v_mov_b32_e32 v18, v17
	v_min_u32_e32 v17, 32, v15
	v_subrev_u32_e32 v15, 28, v17
	v_lshlrev_b64 v[14:15], v15, v[14:15]
	v_sub_u32_e32 v15, 29, v17
	v_and_b32_e32 v14, 7, v14
	v_cndmask_b32_e32 v15, v16, v15, vcc
	v_cndmask_b32_e32 v3, v3, v14, vcc
	v_lshlrev_b32_e32 v14, 24, v18
	v_lshlrev_b32_e32 v3, 20, v3
	v_and_b32_e32 v14, 0x80000000, v14
	v_lshl_add_u32 v15, v15, 23, v62
	v_or3_b32 v3, v14, v15, v3
.LBB6_4690:                             ;   in Loop: Header=BB6_3657 Depth=2
	s_or_b64 exec, exec, s[30:31]
.LBB6_4691:                             ;   in Loop: Header=BB6_3657 Depth=2
	s_or_b64 exec, exec, s[94:95]
.LBB6_4692:                             ;   in Loop: Header=BB6_3657 Depth=2
	s_or_b64 exec, exec, s[22:23]
	v_max_f32_e32 v3, v3, v3
	v_max_f32_e32 v2, v2, v2
	v_min_f32_e32 v3, v2, v3
.LBB6_4693:                             ;   in Loop: Header=BB6_3657 Depth=2
	v_and_b32_e32 v60, 0x7f800000, v3
	v_cmp_ne_u64_e32 vcc, s[72:73], v[60:61]
                                        ; implicit-def: $vgpr17
	s_and_saveexec_b64 s[22:23], vcc
	s_xor_b64 s[94:95], exec, s[22:23]
	s_cbranch_execz .LBB6_4711
; %bb.4694:                             ;   in Loop: Header=BB6_3657 Depth=2
	v_and_b32_e32 v60, 0x7fffffff, v3
	v_cmp_gt_u64_e32 vcc, s[74:75], v[60:61]
	v_and_b32_sdwa v2, v3, s53 dst_sel:DWORD dst_unused:UNUSED_PAD src0_sel:BYTE_3 src1_sel:DWORD
                                        ; implicit-def: $vgpr17
	s_and_saveexec_b64 s[22:23], vcc
	s_xor_b64 s[30:31], exec, s[22:23]
	s_cbranch_execz .LBB6_4708
; %bb.4695:                             ;   in Loop: Header=BB6_3657 Depth=2
	v_cmp_ne_u32_e32 vcc, 0, v3
	v_mov_b32_e32 v17, 0
	s_and_saveexec_b64 s[34:35], vcc
	s_cbranch_execz .LBB6_4707
; %bb.4696:                             ;   in Loop: Header=BB6_3657 Depth=2
	v_and_b32_e32 v14, 0x7fffff, v3
	v_bfe_u32 v3, v3, 23, 8
	v_cmp_gt_u32_e64 s[22:23], s64, v3
	v_sub_u32_e32 v15, 0x79, v3
	v_cmp_eq_u32_e32 vcc, 0, v3
	v_cndmask_b32_e64 v15, 0, v15, s[22:23]
	v_mov_b32_e32 v17, 0x78
	v_or_b32_e32 v16, 0x800000, v14
	v_cndmask_b32_e32 v17, v15, v17, vcc
	v_cndmask_b32_e32 v60, v16, v14, vcc
	v_add_u32_e32 v14, 20, v17
	v_lshlrev_b64 v[14:15], v14, -1
	v_add_u32_e32 v16, 19, v17
	v_lshlrev_b64 v[24:25], v16, 1
	v_bfi_b32 v15, v15, 0, 0
	v_bfi_b32 v14, v14, 0, v60
	v_cmp_eq_u64_e64 s[22:23], v[14:15], v[24:25]
	v_lshrrev_b64 v[14:15], v17, v[60:61]
	v_mov_b32_e32 v16, v15
	v_mov_b32_e32 v15, v14
	s_and_saveexec_b64 s[36:37], s[22:23]
; %bb.4697:                             ;   in Loop: Header=BB6_3657 Depth=2
	v_bfe_u32 v15, v14, 20, 1
	v_add_co_u32_e64 v15, s[22:23], v14, v15
	v_add_co_u32_e64 v15, s[22:23], -1, v15
; %bb.4698:                             ;   in Loop: Header=BB6_3657 Depth=2
	s_or_b64 exec, exec, s[36:37]
	v_add_u32_e32 v3, 0xffffff81, v3
	v_cndmask_b32_e32 v3, v3, v41, vcc
	v_lshrrev_b32_e32 v16, 23, v14
	v_add3_u32 v17, v17, v3, v16
	v_add_u32_e32 v16, 6, v17
	v_and_b32_e32 v3, 0xfffff, v15
	v_add_u32_e32 v60, v3, v14
	v_cmp_ne_u32_e32 vcc, 0, v16
                                        ; implicit-def: $vgpr14_vgpr15
                                        ; implicit-def: $vgpr3
	s_and_saveexec_b64 s[22:23], vcc
	s_xor_b64 s[22:23], exec, s[22:23]
; %bb.4699:                             ;   in Loop: Header=BB6_3657 Depth=2
	v_cmp_lt_u64_e32 vcc, s[76:77], v[60:61]
	v_add_u32_e32 v3, 7, v17
	v_cndmask_b32_e64 v14, 0, 1, vcc
	v_lshrrev_b64 v[14:15], v14, v[60:61]
	v_cndmask_b32_e32 v3, v16, v3, vcc
; %bb.4700:                             ;   in Loop: Header=BB6_3657 Depth=2
	s_andn2_saveexec_b64 s[22:23], s[22:23]
; %bb.4701:                             ;   in Loop: Header=BB6_3657 Depth=2
	v_mov_b32_e32 v14, v60
	v_bfe_u32 v3, v60, 23, 1
	v_mov_b32_e32 v15, v61
; %bb.4702:                             ;   in Loop: Header=BB6_3657 Depth=2
	s_or_b64 exec, exec, s[22:23]
	v_lshrrev_b64 v[14:15], 20, v[14:15]
	v_cmp_gt_i32_e32 vcc, 16, v3
	v_cndmask_b32_e32 v15, 0, v15, vcc
	v_cndmask_b32_e32 v14, 7, v14, vcc
	v_cmp_ne_u64_e32 vcc, 0, v[14:15]
	v_cmp_ne_u32_e64 s[22:23], 0, v3
	s_or_b64 s[22:23], s[22:23], vcc
                                        ; implicit-def: $vgpr17
	s_and_saveexec_b64 vcc, s[22:23]
	s_xor_b64 s[22:23], exec, vcc
; %bb.4703:                             ;   in Loop: Header=BB6_3657 Depth=2
	v_min_i32_e32 v3, 15, v3
	v_lshl_or_b32 v2, v3, 3, v2
	v_and_or_b32 v17, v14, 7, v2
                                        ; implicit-def: $vgpr2
; %bb.4704:                             ;   in Loop: Header=BB6_3657 Depth=2
	s_andn2_saveexec_b64 s[22:23], s[22:23]
; %bb.4705:                             ;   in Loop: Header=BB6_3657 Depth=2
	v_mov_b32_e32 v17, v2
; %bb.4706:                             ;   in Loop: Header=BB6_3657 Depth=2
	s_or_b64 exec, exec, s[22:23]
.LBB6_4707:                             ;   in Loop: Header=BB6_3657 Depth=2
	s_or_b64 exec, exec, s[34:35]
                                        ; implicit-def: $vgpr2
.LBB6_4708:                             ;   in Loop: Header=BB6_3657 Depth=2
	s_andn2_saveexec_b64 s[22:23], s[30:31]
; %bb.4709:                             ;   in Loop: Header=BB6_3657 Depth=2
	v_or_b32_e32 v17, 0x7e, v2
; %bb.4710:                             ;   in Loop: Header=BB6_3657 Depth=2
	s_or_b64 exec, exec, s[22:23]
                                        ; implicit-def: $vgpr3
.LBB6_4711:                             ;   in Loop: Header=BB6_3657 Depth=2
	s_andn2_saveexec_b64 s[22:23], s[94:95]
; %bb.4712:                             ;   in Loop: Header=BB6_3657 Depth=2
	v_or_b32_sdwa v17, v3, s54 dst_sel:DWORD dst_unused:UNUSED_PAD src0_sel:BYTE_3 src1_sel:DWORD
; %bb.4713:                             ;   in Loop: Header=BB6_3657 Depth=2
	s_or_b64 exec, exec, s[22:23]
	v_and_b32_e32 v14, 0xff, v58
	v_cmp_ne_u16_e64 s[22:23], 0, v14
	s_and_b64 vcc, exec, s[20:21]
	s_mov_b64 s[94:95], -1
                                        ; implicit-def: $vgpr3
	s_cbranch_vccnz .LBB6_4727
; %bb.4714:                             ;   in Loop: Header=BB6_3657 Depth=2
	v_mov_b32_e32 v3, 0
	v_mov_b32_e32 v2, 0
	s_and_saveexec_b64 s[94:95], s[22:23]
	s_cbranch_execz .LBB6_4720
; %bb.4715:                             ;   in Loop: Header=BB6_3657 Depth=2
	v_cmp_ne_u16_e32 vcc, s53, v14
	v_bfrev_b32_e32 v2, 1
	s_and_saveexec_b64 s[30:31], vcc
	s_cbranch_execz .LBB6_4719
; %bb.4716:                             ;   in Loop: Header=BB6_3657 Depth=2
	v_and_b32_e32 v15, 0x7f, v58
	v_cmp_ne_u32_e32 vcc, s54, v15
	v_mov_b32_e32 v2, 0x7f800001
	s_and_saveexec_b64 s[34:35], vcc
	s_cbranch_execz .LBB6_4718
; %bb.4717:                             ;   in Loop: Header=BB6_3657 Depth=2
	v_and_b32_e32 v2, 7, v14
	v_lshrrev_b32_e32 v18, 3, v15
	v_cmp_gt_u32_e32 vcc, 8, v15
	v_ffbh_u32_e32 v15, v2
	v_min_u32_e32 v24, 32, v15
	v_subrev_u32_e32 v15, 28, v24
	v_lshlrev_b64 v[15:16], v15, v[14:15]
	v_sub_u32_e32 v16, 29, v24
	v_and_b32_e32 v15, 7, v15
	v_cndmask_b32_e32 v16, v18, v16, vcc
	v_cndmask_b32_e32 v2, v2, v15, vcc
	v_lshlrev_b32_e32 v15, 24, v58
	v_lshlrev_b32_e32 v2, 20, v2
	v_and_b32_e32 v15, 0x80000000, v15
	v_lshl_add_u32 v16, v16, 23, v62
	v_or3_b32 v2, v15, v16, v2
.LBB6_4718:                             ;   in Loop: Header=BB6_3657 Depth=2
	s_or_b64 exec, exec, s[34:35]
.LBB6_4719:                             ;   in Loop: Header=BB6_3657 Depth=2
	s_or_b64 exec, exec, s[30:31]
.LBB6_4720:                             ;   in Loop: Header=BB6_3657 Depth=2
	s_or_b64 exec, exec, s[94:95]
	v_and_b32_e32 v15, 0xff, v57
	v_cmp_ne_u16_e32 vcc, 0, v15
	s_and_saveexec_b64 s[94:95], vcc
	s_cbranch_execz .LBB6_4726
; %bb.4721:                             ;   in Loop: Header=BB6_3657 Depth=2
	v_cmp_ne_u16_e32 vcc, s53, v15
	v_bfrev_b32_e32 v3, 1
	s_and_saveexec_b64 s[30:31], vcc
	s_cbranch_execz .LBB6_4725
; %bb.4722:                             ;   in Loop: Header=BB6_3657 Depth=2
	v_and_b32_e32 v16, 0x7f, v57
	v_cmp_ne_u32_e32 vcc, s54, v16
	v_mov_b32_e32 v3, 0x7f800001
	s_and_saveexec_b64 s[34:35], vcc
	s_cbranch_execz .LBB6_4724
; %bb.4723:                             ;   in Loop: Header=BB6_3657 Depth=2
	v_and_b32_e32 v3, 7, v15
	v_lshrrev_b32_e32 v18, 3, v16
	v_cmp_gt_u32_e32 vcc, 8, v16
	v_ffbh_u32_e32 v16, v3
	v_min_u32_e32 v24, 32, v16
	v_subrev_u32_e32 v16, 28, v24
	v_lshlrev_b64 v[15:16], v16, v[15:16]
	v_sub_u32_e32 v16, 29, v24
	v_and_b32_e32 v15, 7, v15
	v_cndmask_b32_e32 v16, v18, v16, vcc
	v_cndmask_b32_e32 v3, v3, v15, vcc
	v_lshlrev_b32_e32 v15, 24, v57
	v_lshlrev_b32_e32 v3, 20, v3
	v_and_b32_e32 v15, 0x80000000, v15
	v_lshl_add_u32 v16, v16, 23, v62
	v_or3_b32 v3, v15, v16, v3
.LBB6_4724:                             ;   in Loop: Header=BB6_3657 Depth=2
	s_or_b64 exec, exec, s[34:35]
.LBB6_4725:                             ;   in Loop: Header=BB6_3657 Depth=2
	s_or_b64 exec, exec, s[30:31]
.LBB6_4726:                             ;   in Loop: Header=BB6_3657 Depth=2
	s_or_b64 exec, exec, s[94:95]
	v_max_f32_e32 v3, v3, v3
	v_max_f32_e32 v2, v2, v2
	;; [unrolled: 1-line block ×3, first 2 shown]
	s_mov_b64 s[94:95], 0
.LBB6_4727:                             ;   in Loop: Header=BB6_3657 Depth=2
	s_and_b64 vcc, exec, s[94:95]
	s_cbranch_vccz .LBB6_4741
; %bb.4728:                             ;   in Loop: Header=BB6_3657 Depth=2
	v_mov_b32_e32 v3, 0
	v_mov_b32_e32 v2, 0
	s_and_saveexec_b64 s[94:95], s[22:23]
	s_cbranch_execz .LBB6_4734
; %bb.4729:                             ;   in Loop: Header=BB6_3657 Depth=2
	v_cmp_ne_u16_e32 vcc, s53, v14
	v_bfrev_b32_e32 v2, 1
	s_and_saveexec_b64 s[22:23], vcc
	s_cbranch_execz .LBB6_4733
; %bb.4730:                             ;   in Loop: Header=BB6_3657 Depth=2
	v_and_b32_e32 v15, 0x7f, v58
	v_cmp_ne_u32_e32 vcc, s54, v15
	v_mov_b32_e32 v2, 0x7f800001
	s_and_saveexec_b64 s[30:31], vcc
	s_cbranch_execz .LBB6_4732
; %bb.4731:                             ;   in Loop: Header=BB6_3657 Depth=2
	v_and_b32_e32 v2, 7, v14
	v_lshrrev_b32_e32 v16, 3, v15
	v_cmp_gt_u32_e32 vcc, 8, v15
	v_ffbh_u32_e32 v15, v2
	v_min_u32_e32 v18, 32, v15
	v_subrev_u32_e32 v15, 28, v18
	v_lshlrev_b64 v[14:15], v15, v[14:15]
	v_sub_u32_e32 v15, 29, v18
	v_and_b32_e32 v14, 7, v14
	v_cndmask_b32_e32 v15, v16, v15, vcc
	v_cndmask_b32_e32 v2, v2, v14, vcc
	v_lshlrev_b32_e32 v14, 24, v58
	v_lshlrev_b32_e32 v2, 20, v2
	v_and_b32_e32 v14, 0x80000000, v14
	v_lshl_add_u32 v15, v15, 23, v62
	v_or3_b32 v2, v14, v15, v2
.LBB6_4732:                             ;   in Loop: Header=BB6_3657 Depth=2
	s_or_b64 exec, exec, s[30:31]
.LBB6_4733:                             ;   in Loop: Header=BB6_3657 Depth=2
	s_or_b64 exec, exec, s[22:23]
.LBB6_4734:                             ;   in Loop: Header=BB6_3657 Depth=2
	s_or_b64 exec, exec, s[94:95]
	v_and_b32_e32 v14, 0xff, v57
	v_cmp_ne_u16_e32 vcc, 0, v14
	s_and_saveexec_b64 s[22:23], vcc
	s_cbranch_execz .LBB6_4740
; %bb.4735:                             ;   in Loop: Header=BB6_3657 Depth=2
	v_cmp_ne_u16_e32 vcc, s53, v14
	v_bfrev_b32_e32 v3, 1
	s_and_saveexec_b64 s[94:95], vcc
	s_cbranch_execz .LBB6_4739
; %bb.4736:                             ;   in Loop: Header=BB6_3657 Depth=2
	v_and_b32_e32 v15, 0x7f, v57
	v_cmp_ne_u32_e32 vcc, s54, v15
	v_mov_b32_e32 v3, 0x7f800001
	s_and_saveexec_b64 s[30:31], vcc
	s_cbranch_execz .LBB6_4738
; %bb.4737:                             ;   in Loop: Header=BB6_3657 Depth=2
	v_and_b32_e32 v3, 7, v14
	v_lshrrev_b32_e32 v16, 3, v15
	v_cmp_gt_u32_e32 vcc, 8, v15
	v_ffbh_u32_e32 v15, v3
	v_min_u32_e32 v18, 32, v15
	v_subrev_u32_e32 v15, 28, v18
	v_lshlrev_b64 v[14:15], v15, v[14:15]
	v_sub_u32_e32 v15, 29, v18
	v_and_b32_e32 v14, 7, v14
	v_cndmask_b32_e32 v15, v16, v15, vcc
	v_cndmask_b32_e32 v3, v3, v14, vcc
	v_lshlrev_b32_e32 v14, 24, v57
	v_lshlrev_b32_e32 v3, 20, v3
	v_and_b32_e32 v14, 0x80000000, v14
	v_lshl_add_u32 v15, v15, 23, v62
	v_or3_b32 v3, v14, v15, v3
.LBB6_4738:                             ;   in Loop: Header=BB6_3657 Depth=2
	s_or_b64 exec, exec, s[30:31]
.LBB6_4739:                             ;   in Loop: Header=BB6_3657 Depth=2
	s_or_b64 exec, exec, s[94:95]
.LBB6_4740:                             ;   in Loop: Header=BB6_3657 Depth=2
	s_or_b64 exec, exec, s[22:23]
	v_max_f32_e32 v3, v3, v3
	v_max_f32_e32 v2, v2, v2
	v_min_f32_e32 v3, v2, v3
.LBB6_4741:                             ;   in Loop: Header=BB6_3657 Depth=2
	v_and_b32_e32 v60, 0x7f800000, v3
	v_cmp_ne_u64_e32 vcc, s[72:73], v[60:61]
                                        ; implicit-def: $vgpr18
	s_and_saveexec_b64 s[22:23], vcc
	s_xor_b64 s[94:95], exec, s[22:23]
	s_cbranch_execz .LBB6_4759
; %bb.4742:                             ;   in Loop: Header=BB6_3657 Depth=2
	v_and_b32_e32 v60, 0x7fffffff, v3
	v_cmp_gt_u64_e32 vcc, s[74:75], v[60:61]
	v_and_b32_sdwa v2, v3, s53 dst_sel:DWORD dst_unused:UNUSED_PAD src0_sel:BYTE_3 src1_sel:DWORD
                                        ; implicit-def: $vgpr18
	s_and_saveexec_b64 s[22:23], vcc
	s_xor_b64 s[30:31], exec, s[22:23]
	s_cbranch_execz .LBB6_4756
; %bb.4743:                             ;   in Loop: Header=BB6_3657 Depth=2
	v_cmp_ne_u32_e32 vcc, 0, v3
	v_mov_b32_e32 v18, 0
	s_and_saveexec_b64 s[34:35], vcc
	s_cbranch_execz .LBB6_4755
; %bb.4744:                             ;   in Loop: Header=BB6_3657 Depth=2
	v_and_b32_e32 v14, 0x7fffff, v3
	v_bfe_u32 v3, v3, 23, 8
	v_cmp_gt_u32_e64 s[22:23], s64, v3
	v_sub_u32_e32 v15, 0x79, v3
	v_cmp_eq_u32_e32 vcc, 0, v3
	v_cndmask_b32_e64 v15, 0, v15, s[22:23]
	v_mov_b32_e32 v18, 0x78
	v_or_b32_e32 v16, 0x800000, v14
	v_cndmask_b32_e32 v18, v15, v18, vcc
	v_cndmask_b32_e32 v60, v16, v14, vcc
	v_add_u32_e32 v14, 20, v18
	v_lshlrev_b64 v[14:15], v14, -1
	v_add_u32_e32 v16, 19, v18
	v_lshlrev_b64 v[24:25], v16, 1
	v_bfi_b32 v15, v15, 0, 0
	v_bfi_b32 v14, v14, 0, v60
	v_cmp_eq_u64_e64 s[22:23], v[14:15], v[24:25]
	v_lshrrev_b64 v[14:15], v18, v[60:61]
	v_mov_b32_e32 v16, v15
	v_mov_b32_e32 v15, v14
	s_and_saveexec_b64 s[36:37], s[22:23]
; %bb.4745:                             ;   in Loop: Header=BB6_3657 Depth=2
	v_bfe_u32 v15, v14, 20, 1
	v_add_co_u32_e64 v15, s[22:23], v14, v15
	v_add_co_u32_e64 v15, s[22:23], -1, v15
; %bb.4746:                             ;   in Loop: Header=BB6_3657 Depth=2
	s_or_b64 exec, exec, s[36:37]
	v_add_u32_e32 v3, 0xffffff81, v3
	v_cndmask_b32_e32 v3, v3, v41, vcc
	v_lshrrev_b32_e32 v16, 23, v14
	v_add3_u32 v18, v18, v3, v16
	v_add_u32_e32 v16, 6, v18
	v_and_b32_e32 v3, 0xfffff, v15
	v_add_u32_e32 v60, v3, v14
	v_cmp_ne_u32_e32 vcc, 0, v16
                                        ; implicit-def: $vgpr14_vgpr15
                                        ; implicit-def: $vgpr3
	s_and_saveexec_b64 s[22:23], vcc
	s_xor_b64 s[22:23], exec, s[22:23]
; %bb.4747:                             ;   in Loop: Header=BB6_3657 Depth=2
	v_cmp_lt_u64_e32 vcc, s[76:77], v[60:61]
	v_add_u32_e32 v3, 7, v18
	v_cndmask_b32_e64 v14, 0, 1, vcc
	v_lshrrev_b64 v[14:15], v14, v[60:61]
	v_cndmask_b32_e32 v3, v16, v3, vcc
; %bb.4748:                             ;   in Loop: Header=BB6_3657 Depth=2
	s_andn2_saveexec_b64 s[22:23], s[22:23]
; %bb.4749:                             ;   in Loop: Header=BB6_3657 Depth=2
	v_mov_b32_e32 v14, v60
	v_bfe_u32 v3, v60, 23, 1
	v_mov_b32_e32 v15, v61
; %bb.4750:                             ;   in Loop: Header=BB6_3657 Depth=2
	s_or_b64 exec, exec, s[22:23]
	v_lshrrev_b64 v[14:15], 20, v[14:15]
	v_cmp_gt_i32_e32 vcc, 16, v3
	v_cndmask_b32_e32 v15, 0, v15, vcc
	v_cndmask_b32_e32 v14, 7, v14, vcc
	v_cmp_ne_u64_e32 vcc, 0, v[14:15]
	v_cmp_ne_u32_e64 s[22:23], 0, v3
	s_or_b64 s[22:23], s[22:23], vcc
                                        ; implicit-def: $vgpr18
	s_and_saveexec_b64 vcc, s[22:23]
	s_xor_b64 s[22:23], exec, vcc
; %bb.4751:                             ;   in Loop: Header=BB6_3657 Depth=2
	v_min_i32_e32 v3, 15, v3
	v_lshl_or_b32 v2, v3, 3, v2
	v_and_or_b32 v18, v14, 7, v2
                                        ; implicit-def: $vgpr2
; %bb.4752:                             ;   in Loop: Header=BB6_3657 Depth=2
	s_andn2_saveexec_b64 s[22:23], s[22:23]
; %bb.4753:                             ;   in Loop: Header=BB6_3657 Depth=2
	v_mov_b32_e32 v18, v2
; %bb.4754:                             ;   in Loop: Header=BB6_3657 Depth=2
	s_or_b64 exec, exec, s[22:23]
.LBB6_4755:                             ;   in Loop: Header=BB6_3657 Depth=2
	s_or_b64 exec, exec, s[34:35]
                                        ; implicit-def: $vgpr2
.LBB6_4756:                             ;   in Loop: Header=BB6_3657 Depth=2
	s_andn2_saveexec_b64 s[22:23], s[30:31]
; %bb.4757:                             ;   in Loop: Header=BB6_3657 Depth=2
	v_or_b32_e32 v18, 0x7e, v2
; %bb.4758:                             ;   in Loop: Header=BB6_3657 Depth=2
	s_or_b64 exec, exec, s[22:23]
                                        ; implicit-def: $vgpr3
.LBB6_4759:                             ;   in Loop: Header=BB6_3657 Depth=2
	s_andn2_saveexec_b64 s[22:23], s[94:95]
; %bb.4760:                             ;   in Loop: Header=BB6_3657 Depth=2
	v_or_b32_sdwa v18, v3, s54 dst_sel:DWORD dst_unused:UNUSED_PAD src0_sel:BYTE_3 src1_sel:DWORD
; %bb.4761:                             ;   in Loop: Header=BB6_3657 Depth=2
	s_or_b64 exec, exec, s[22:23]
	v_and_b32_e32 v14, 0xff, v56
	v_cmp_ne_u16_e64 s[22:23], 0, v14
	s_and_b64 vcc, exec, s[20:21]
	s_mov_b64 s[94:95], -1
                                        ; implicit-def: $vgpr3
	s_cbranch_vccnz .LBB6_4775
; %bb.4762:                             ;   in Loop: Header=BB6_3657 Depth=2
	v_mov_b32_e32 v3, 0
	v_mov_b32_e32 v2, 0
	s_and_saveexec_b64 s[94:95], s[22:23]
	s_cbranch_execz .LBB6_4768
; %bb.4763:                             ;   in Loop: Header=BB6_3657 Depth=2
	v_cmp_ne_u16_e32 vcc, s53, v14
	v_bfrev_b32_e32 v2, 1
	s_and_saveexec_b64 s[30:31], vcc
	s_cbranch_execz .LBB6_4767
; %bb.4764:                             ;   in Loop: Header=BB6_3657 Depth=2
	v_and_b32_e32 v15, 0x7f, v56
	v_cmp_ne_u32_e32 vcc, s54, v15
	v_mov_b32_e32 v2, 0x7f800001
	s_and_saveexec_b64 s[34:35], vcc
	s_cbranch_execz .LBB6_4766
; %bb.4765:                             ;   in Loop: Header=BB6_3657 Depth=2
	v_and_b32_e32 v2, 7, v14
	v_lshrrev_b32_e32 v24, 3, v15
	v_cmp_gt_u32_e32 vcc, 8, v15
	v_ffbh_u32_e32 v15, v2
	v_min_u32_e32 v25, 32, v15
	v_subrev_u32_e32 v15, 28, v25
	v_lshlrev_b64 v[15:16], v15, v[14:15]
	v_sub_u32_e32 v16, 29, v25
	v_and_b32_e32 v15, 7, v15
	v_cndmask_b32_e32 v16, v24, v16, vcc
	v_cndmask_b32_e32 v2, v2, v15, vcc
	v_lshlrev_b32_e32 v15, 24, v56
	v_lshlrev_b32_e32 v2, 20, v2
	v_and_b32_e32 v15, 0x80000000, v15
	v_lshl_add_u32 v16, v16, 23, v62
	v_or3_b32 v2, v15, v16, v2
.LBB6_4766:                             ;   in Loop: Header=BB6_3657 Depth=2
	s_or_b64 exec, exec, s[34:35]
.LBB6_4767:                             ;   in Loop: Header=BB6_3657 Depth=2
	s_or_b64 exec, exec, s[30:31]
.LBB6_4768:                             ;   in Loop: Header=BB6_3657 Depth=2
	s_or_b64 exec, exec, s[94:95]
	v_and_b32_e32 v15, 0xff, v26
	v_cmp_ne_u16_e32 vcc, 0, v15
	s_and_saveexec_b64 s[94:95], vcc
	s_cbranch_execz .LBB6_4774
; %bb.4769:                             ;   in Loop: Header=BB6_3657 Depth=2
	v_cmp_ne_u16_e32 vcc, s53, v15
	v_bfrev_b32_e32 v3, 1
	s_and_saveexec_b64 s[30:31], vcc
	s_cbranch_execz .LBB6_4773
; %bb.4770:                             ;   in Loop: Header=BB6_3657 Depth=2
	v_and_b32_e32 v16, 0x7f, v26
	v_cmp_ne_u32_e32 vcc, s54, v16
	v_mov_b32_e32 v3, 0x7f800001
	s_and_saveexec_b64 s[34:35], vcc
	s_cbranch_execz .LBB6_4772
; %bb.4771:                             ;   in Loop: Header=BB6_3657 Depth=2
	v_and_b32_e32 v3, 7, v15
	v_lshrrev_b32_e32 v24, 3, v16
	v_cmp_gt_u32_e32 vcc, 8, v16
	v_ffbh_u32_e32 v16, v3
	v_min_u32_e32 v25, 32, v16
	v_subrev_u32_e32 v16, 28, v25
	v_lshlrev_b64 v[15:16], v16, v[15:16]
	v_sub_u32_e32 v16, 29, v25
	v_and_b32_e32 v15, 7, v15
	v_cndmask_b32_e32 v16, v24, v16, vcc
	v_cndmask_b32_e32 v3, v3, v15, vcc
	v_lshlrev_b32_e32 v15, 24, v26
	v_lshlrev_b32_e32 v3, 20, v3
	v_and_b32_e32 v15, 0x80000000, v15
	v_lshl_add_u32 v16, v16, 23, v62
	v_or3_b32 v3, v15, v16, v3
.LBB6_4772:                             ;   in Loop: Header=BB6_3657 Depth=2
	s_or_b64 exec, exec, s[34:35]
.LBB6_4773:                             ;   in Loop: Header=BB6_3657 Depth=2
	s_or_b64 exec, exec, s[30:31]
.LBB6_4774:                             ;   in Loop: Header=BB6_3657 Depth=2
	s_or_b64 exec, exec, s[94:95]
	v_max_f32_e32 v3, v3, v3
	v_max_f32_e32 v2, v2, v2
	;; [unrolled: 1-line block ×3, first 2 shown]
	s_mov_b64 s[94:95], 0
.LBB6_4775:                             ;   in Loop: Header=BB6_3657 Depth=2
	s_and_b64 vcc, exec, s[94:95]
	s_cbranch_vccz .LBB6_4789
; %bb.4776:                             ;   in Loop: Header=BB6_3657 Depth=2
	v_mov_b32_e32 v3, 0
	v_mov_b32_e32 v2, 0
	s_and_saveexec_b64 s[94:95], s[22:23]
	s_cbranch_execz .LBB6_4782
; %bb.4777:                             ;   in Loop: Header=BB6_3657 Depth=2
	v_cmp_ne_u16_e32 vcc, s53, v14
	v_bfrev_b32_e32 v2, 1
	s_and_saveexec_b64 s[22:23], vcc
	s_cbranch_execz .LBB6_4781
; %bb.4778:                             ;   in Loop: Header=BB6_3657 Depth=2
	v_and_b32_e32 v15, 0x7f, v56
	v_cmp_ne_u32_e32 vcc, s54, v15
	v_mov_b32_e32 v2, 0x7f800001
	s_and_saveexec_b64 s[30:31], vcc
	s_cbranch_execz .LBB6_4780
; %bb.4779:                             ;   in Loop: Header=BB6_3657 Depth=2
	v_and_b32_e32 v2, 7, v14
	v_lshrrev_b32_e32 v16, 3, v15
	v_cmp_gt_u32_e32 vcc, 8, v15
	v_ffbh_u32_e32 v15, v2
	v_min_u32_e32 v24, 32, v15
	v_subrev_u32_e32 v15, 28, v24
	v_lshlrev_b64 v[14:15], v15, v[14:15]
	v_sub_u32_e32 v15, 29, v24
	v_and_b32_e32 v14, 7, v14
	v_cndmask_b32_e32 v15, v16, v15, vcc
	v_cndmask_b32_e32 v2, v2, v14, vcc
	v_lshlrev_b32_e32 v14, 24, v56
	v_lshlrev_b32_e32 v2, 20, v2
	v_and_b32_e32 v14, 0x80000000, v14
	v_lshl_add_u32 v15, v15, 23, v62
	v_or3_b32 v2, v14, v15, v2
.LBB6_4780:                             ;   in Loop: Header=BB6_3657 Depth=2
	s_or_b64 exec, exec, s[30:31]
.LBB6_4781:                             ;   in Loop: Header=BB6_3657 Depth=2
	s_or_b64 exec, exec, s[22:23]
.LBB6_4782:                             ;   in Loop: Header=BB6_3657 Depth=2
	s_or_b64 exec, exec, s[94:95]
	v_and_b32_e32 v14, 0xff, v26
	v_cmp_ne_u16_e32 vcc, 0, v14
	s_and_saveexec_b64 s[22:23], vcc
	s_cbranch_execz .LBB6_4788
; %bb.4783:                             ;   in Loop: Header=BB6_3657 Depth=2
	v_cmp_ne_u16_e32 vcc, s53, v14
	v_bfrev_b32_e32 v3, 1
	s_and_saveexec_b64 s[94:95], vcc
	s_cbranch_execz .LBB6_4787
; %bb.4784:                             ;   in Loop: Header=BB6_3657 Depth=2
	v_and_b32_e32 v15, 0x7f, v26
	v_cmp_ne_u32_e32 vcc, s54, v15
	v_mov_b32_e32 v3, 0x7f800001
	s_and_saveexec_b64 s[30:31], vcc
	s_cbranch_execz .LBB6_4786
; %bb.4785:                             ;   in Loop: Header=BB6_3657 Depth=2
	v_and_b32_e32 v3, 7, v14
	v_lshrrev_b32_e32 v16, 3, v15
	v_cmp_gt_u32_e32 vcc, 8, v15
	v_ffbh_u32_e32 v15, v3
	v_min_u32_e32 v24, 32, v15
	v_subrev_u32_e32 v15, 28, v24
	v_lshlrev_b64 v[14:15], v15, v[14:15]
	v_sub_u32_e32 v15, 29, v24
	v_and_b32_e32 v14, 7, v14
	v_cndmask_b32_e32 v15, v16, v15, vcc
	v_cndmask_b32_e32 v3, v3, v14, vcc
	v_lshlrev_b32_e32 v14, 24, v26
	v_lshlrev_b32_e32 v3, 20, v3
	v_and_b32_e32 v14, 0x80000000, v14
	v_lshl_add_u32 v15, v15, 23, v62
	v_or3_b32 v3, v14, v15, v3
.LBB6_4786:                             ;   in Loop: Header=BB6_3657 Depth=2
	s_or_b64 exec, exec, s[30:31]
.LBB6_4787:                             ;   in Loop: Header=BB6_3657 Depth=2
	s_or_b64 exec, exec, s[94:95]
.LBB6_4788:                             ;   in Loop: Header=BB6_3657 Depth=2
	s_or_b64 exec, exec, s[22:23]
	v_max_f32_e32 v3, v3, v3
	v_max_f32_e32 v2, v2, v2
	v_min_f32_e32 v3, v2, v3
.LBB6_4789:                             ;   in Loop: Header=BB6_3657 Depth=2
	v_and_b32_e32 v60, 0x7f800000, v3
	v_cmp_ne_u64_e32 vcc, s[72:73], v[60:61]
                                        ; implicit-def: $vgpr24
	s_and_saveexec_b64 s[22:23], vcc
	s_xor_b64 s[94:95], exec, s[22:23]
	s_cbranch_execz .LBB6_4807
; %bb.4790:                             ;   in Loop: Header=BB6_3657 Depth=2
	v_and_b32_e32 v60, 0x7fffffff, v3
	v_cmp_gt_u64_e32 vcc, s[74:75], v[60:61]
	v_and_b32_sdwa v2, v3, s53 dst_sel:DWORD dst_unused:UNUSED_PAD src0_sel:BYTE_3 src1_sel:DWORD
                                        ; implicit-def: $vgpr24
	s_and_saveexec_b64 s[22:23], vcc
	s_xor_b64 s[30:31], exec, s[22:23]
	s_cbranch_execz .LBB6_4804
; %bb.4791:                             ;   in Loop: Header=BB6_3657 Depth=2
	v_cmp_ne_u32_e32 vcc, 0, v3
	v_mov_b32_e32 v24, 0
	s_and_saveexec_b64 s[34:35], vcc
	s_cbranch_execz .LBB6_4803
; %bb.4792:                             ;   in Loop: Header=BB6_3657 Depth=2
	v_and_b32_e32 v14, 0x7fffff, v3
	v_bfe_u32 v3, v3, 23, 8
	v_cmp_gt_u32_e64 s[22:23], s64, v3
	v_sub_u32_e32 v15, 0x79, v3
	v_cmp_eq_u32_e32 vcc, 0, v3
	v_cndmask_b32_e64 v15, 0, v15, s[22:23]
	v_mov_b32_e32 v24, 0x78
	v_or_b32_e32 v16, 0x800000, v14
	v_cndmask_b32_e32 v24, v15, v24, vcc
	v_cndmask_b32_e32 v60, v16, v14, vcc
	v_add_u32_e32 v14, 20, v24
	v_lshlrev_b64 v[14:15], v14, -1
	v_add_u32_e32 v16, 19, v24
	v_lshlrev_b64 v[25:26], v16, 1
	v_bfi_b32 v15, v15, 0, 0
	v_bfi_b32 v14, v14, 0, v60
	v_cmp_eq_u64_e64 s[22:23], v[14:15], v[25:26]
	v_lshrrev_b64 v[14:15], v24, v[60:61]
	v_mov_b32_e32 v16, v15
	v_mov_b32_e32 v15, v14
	s_and_saveexec_b64 s[36:37], s[22:23]
; %bb.4793:                             ;   in Loop: Header=BB6_3657 Depth=2
	v_bfe_u32 v15, v14, 20, 1
	v_add_co_u32_e64 v15, s[22:23], v14, v15
	v_add_co_u32_e64 v15, s[22:23], -1, v15
; %bb.4794:                             ;   in Loop: Header=BB6_3657 Depth=2
	s_or_b64 exec, exec, s[36:37]
	v_add_u32_e32 v3, 0xffffff81, v3
	v_cndmask_b32_e32 v3, v3, v41, vcc
	v_lshrrev_b32_e32 v16, 23, v14
	v_add3_u32 v24, v24, v3, v16
	v_add_u32_e32 v16, 6, v24
	v_and_b32_e32 v3, 0xfffff, v15
	v_add_u32_e32 v60, v3, v14
	v_cmp_ne_u32_e32 vcc, 0, v16
                                        ; implicit-def: $vgpr14_vgpr15
                                        ; implicit-def: $vgpr3
	s_and_saveexec_b64 s[22:23], vcc
	s_xor_b64 s[22:23], exec, s[22:23]
; %bb.4795:                             ;   in Loop: Header=BB6_3657 Depth=2
	v_cmp_lt_u64_e32 vcc, s[76:77], v[60:61]
	v_add_u32_e32 v3, 7, v24
	v_cndmask_b32_e64 v14, 0, 1, vcc
	v_lshrrev_b64 v[14:15], v14, v[60:61]
	v_cndmask_b32_e32 v3, v16, v3, vcc
; %bb.4796:                             ;   in Loop: Header=BB6_3657 Depth=2
	s_andn2_saveexec_b64 s[22:23], s[22:23]
; %bb.4797:                             ;   in Loop: Header=BB6_3657 Depth=2
	v_mov_b32_e32 v14, v60
	v_bfe_u32 v3, v60, 23, 1
	v_mov_b32_e32 v15, v61
; %bb.4798:                             ;   in Loop: Header=BB6_3657 Depth=2
	s_or_b64 exec, exec, s[22:23]
	v_lshrrev_b64 v[14:15], 20, v[14:15]
	v_cmp_gt_i32_e32 vcc, 16, v3
	v_cndmask_b32_e32 v15, 0, v15, vcc
	v_cndmask_b32_e32 v14, 7, v14, vcc
	v_cmp_ne_u64_e32 vcc, 0, v[14:15]
	v_cmp_ne_u32_e64 s[22:23], 0, v3
	s_or_b64 s[22:23], s[22:23], vcc
                                        ; implicit-def: $vgpr24
	s_and_saveexec_b64 vcc, s[22:23]
	s_xor_b64 s[22:23], exec, vcc
; %bb.4799:                             ;   in Loop: Header=BB6_3657 Depth=2
	v_min_i32_e32 v3, 15, v3
	v_lshl_or_b32 v2, v3, 3, v2
	v_and_or_b32 v24, v14, 7, v2
                                        ; implicit-def: $vgpr2
; %bb.4800:                             ;   in Loop: Header=BB6_3657 Depth=2
	s_andn2_saveexec_b64 s[22:23], s[22:23]
; %bb.4801:                             ;   in Loop: Header=BB6_3657 Depth=2
	v_mov_b32_e32 v24, v2
; %bb.4802:                             ;   in Loop: Header=BB6_3657 Depth=2
	s_or_b64 exec, exec, s[22:23]
.LBB6_4803:                             ;   in Loop: Header=BB6_3657 Depth=2
	s_or_b64 exec, exec, s[34:35]
                                        ; implicit-def: $vgpr2
.LBB6_4804:                             ;   in Loop: Header=BB6_3657 Depth=2
	s_andn2_saveexec_b64 s[22:23], s[30:31]
; %bb.4805:                             ;   in Loop: Header=BB6_3657 Depth=2
	v_or_b32_e32 v24, 0x7e, v2
; %bb.4806:                             ;   in Loop: Header=BB6_3657 Depth=2
	s_or_b64 exec, exec, s[22:23]
                                        ; implicit-def: $vgpr3
.LBB6_4807:                             ;   in Loop: Header=BB6_3657 Depth=2
	s_andn2_saveexec_b64 s[22:23], s[94:95]
; %bb.4808:                             ;   in Loop: Header=BB6_3657 Depth=2
	v_or_b32_sdwa v24, v3, s54 dst_sel:DWORD dst_unused:UNUSED_PAD src0_sel:BYTE_3 src1_sel:DWORD
; %bb.4809:                             ;   in Loop: Header=BB6_3657 Depth=2
	s_or_b64 exec, exec, s[22:23]
	v_and_b32_e32 v14, 0xff, v45
	v_cmp_ne_u16_e64 s[22:23], 0, v14
	s_and_b64 vcc, exec, s[20:21]
	s_mov_b64 s[94:95], -1
                                        ; implicit-def: $vgpr3
	s_cbranch_vccnz .LBB6_4823
; %bb.4810:                             ;   in Loop: Header=BB6_3657 Depth=2
	v_mov_b32_e32 v3, 0
	v_mov_b32_e32 v2, 0
	s_and_saveexec_b64 s[94:95], s[22:23]
	s_cbranch_execz .LBB6_4816
; %bb.4811:                             ;   in Loop: Header=BB6_3657 Depth=2
	v_cmp_ne_u16_e32 vcc, s53, v14
	v_bfrev_b32_e32 v2, 1
	s_and_saveexec_b64 s[30:31], vcc
	s_cbranch_execz .LBB6_4815
; %bb.4812:                             ;   in Loop: Header=BB6_3657 Depth=2
	v_and_b32_e32 v15, 0x7f, v45
	v_cmp_ne_u32_e32 vcc, s54, v15
	v_mov_b32_e32 v2, 0x7f800001
	s_and_saveexec_b64 s[34:35], vcc
	s_cbranch_execz .LBB6_4814
; %bb.4813:                             ;   in Loop: Header=BB6_3657 Depth=2
	v_and_b32_e32 v2, 7, v14
	v_lshrrev_b32_e32 v25, 3, v15
	v_cmp_gt_u32_e32 vcc, 8, v15
	v_ffbh_u32_e32 v15, v2
	v_min_u32_e32 v26, 32, v15
	v_subrev_u32_e32 v15, 28, v26
	v_lshlrev_b64 v[15:16], v15, v[14:15]
	v_sub_u32_e32 v16, 29, v26
	v_and_b32_e32 v15, 7, v15
	v_cndmask_b32_e32 v16, v25, v16, vcc
	v_cndmask_b32_e32 v2, v2, v15, vcc
	v_lshlrev_b32_e32 v15, 24, v45
	v_lshlrev_b32_e32 v2, 20, v2
	v_and_b32_e32 v15, 0x80000000, v15
	v_lshl_add_u32 v16, v16, 23, v62
	v_or3_b32 v2, v15, v16, v2
.LBB6_4814:                             ;   in Loop: Header=BB6_3657 Depth=2
	s_or_b64 exec, exec, s[34:35]
.LBB6_4815:                             ;   in Loop: Header=BB6_3657 Depth=2
	s_or_b64 exec, exec, s[30:31]
.LBB6_4816:                             ;   in Loop: Header=BB6_3657 Depth=2
	s_or_b64 exec, exec, s[94:95]
	v_and_b32_e32 v15, 0xff, v40
	v_cmp_ne_u16_e32 vcc, 0, v15
	s_and_saveexec_b64 s[94:95], vcc
	s_cbranch_execz .LBB6_4822
; %bb.4817:                             ;   in Loop: Header=BB6_3657 Depth=2
	v_cmp_ne_u16_e32 vcc, s53, v15
	v_bfrev_b32_e32 v3, 1
	s_and_saveexec_b64 s[30:31], vcc
	s_cbranch_execz .LBB6_4821
; %bb.4818:                             ;   in Loop: Header=BB6_3657 Depth=2
	v_and_b32_e32 v16, 0x7f, v40
	v_cmp_ne_u32_e32 vcc, s54, v16
	v_mov_b32_e32 v3, 0x7f800001
	s_and_saveexec_b64 s[34:35], vcc
	s_cbranch_execz .LBB6_4820
; %bb.4819:                             ;   in Loop: Header=BB6_3657 Depth=2
	v_and_b32_e32 v3, 7, v15
	v_lshrrev_b32_e32 v25, 3, v16
	v_cmp_gt_u32_e32 vcc, 8, v16
	v_ffbh_u32_e32 v16, v3
	v_min_u32_e32 v26, 32, v16
	v_subrev_u32_e32 v16, 28, v26
	v_lshlrev_b64 v[15:16], v16, v[15:16]
	v_sub_u32_e32 v16, 29, v26
	v_and_b32_e32 v15, 7, v15
	v_cndmask_b32_e32 v16, v25, v16, vcc
	v_cndmask_b32_e32 v3, v3, v15, vcc
	v_lshlrev_b32_e32 v15, 24, v40
	v_lshlrev_b32_e32 v3, 20, v3
	v_and_b32_e32 v15, 0x80000000, v15
	v_lshl_add_u32 v16, v16, 23, v62
	v_or3_b32 v3, v15, v16, v3
.LBB6_4820:                             ;   in Loop: Header=BB6_3657 Depth=2
	s_or_b64 exec, exec, s[34:35]
.LBB6_4821:                             ;   in Loop: Header=BB6_3657 Depth=2
	s_or_b64 exec, exec, s[30:31]
.LBB6_4822:                             ;   in Loop: Header=BB6_3657 Depth=2
	s_or_b64 exec, exec, s[94:95]
	v_max_f32_e32 v3, v3, v3
	v_max_f32_e32 v2, v2, v2
	;; [unrolled: 1-line block ×3, first 2 shown]
	s_mov_b64 s[94:95], 0
.LBB6_4823:                             ;   in Loop: Header=BB6_3657 Depth=2
	s_and_b64 vcc, exec, s[94:95]
	s_cbranch_vccz .LBB6_4837
; %bb.4824:                             ;   in Loop: Header=BB6_3657 Depth=2
	v_mov_b32_e32 v3, 0
	v_mov_b32_e32 v2, 0
	s_and_saveexec_b64 s[94:95], s[22:23]
	s_cbranch_execz .LBB6_4830
; %bb.4825:                             ;   in Loop: Header=BB6_3657 Depth=2
	v_cmp_ne_u16_e32 vcc, s53, v14
	v_bfrev_b32_e32 v2, 1
	s_and_saveexec_b64 s[22:23], vcc
	s_cbranch_execz .LBB6_4829
; %bb.4826:                             ;   in Loop: Header=BB6_3657 Depth=2
	v_and_b32_e32 v15, 0x7f, v45
	v_cmp_ne_u32_e32 vcc, s54, v15
	v_mov_b32_e32 v2, 0x7f800001
	s_and_saveexec_b64 s[30:31], vcc
	s_cbranch_execz .LBB6_4828
; %bb.4827:                             ;   in Loop: Header=BB6_3657 Depth=2
	v_and_b32_e32 v2, 7, v14
	v_lshrrev_b32_e32 v16, 3, v15
	v_cmp_gt_u32_e32 vcc, 8, v15
	v_ffbh_u32_e32 v15, v2
	v_min_u32_e32 v25, 32, v15
	v_subrev_u32_e32 v15, 28, v25
	v_lshlrev_b64 v[14:15], v15, v[14:15]
	v_sub_u32_e32 v15, 29, v25
	v_and_b32_e32 v14, 7, v14
	v_cndmask_b32_e32 v15, v16, v15, vcc
	v_cndmask_b32_e32 v2, v2, v14, vcc
	v_lshlrev_b32_e32 v14, 24, v45
	v_lshlrev_b32_e32 v2, 20, v2
	v_and_b32_e32 v14, 0x80000000, v14
	v_lshl_add_u32 v15, v15, 23, v62
	v_or3_b32 v2, v14, v15, v2
.LBB6_4828:                             ;   in Loop: Header=BB6_3657 Depth=2
	s_or_b64 exec, exec, s[30:31]
.LBB6_4829:                             ;   in Loop: Header=BB6_3657 Depth=2
	s_or_b64 exec, exec, s[22:23]
.LBB6_4830:                             ;   in Loop: Header=BB6_3657 Depth=2
	s_or_b64 exec, exec, s[94:95]
	v_and_b32_e32 v14, 0xff, v40
	v_cmp_ne_u16_e32 vcc, 0, v14
	s_and_saveexec_b64 s[22:23], vcc
	s_cbranch_execz .LBB6_4836
; %bb.4831:                             ;   in Loop: Header=BB6_3657 Depth=2
	v_cmp_ne_u16_e32 vcc, s53, v14
	v_bfrev_b32_e32 v3, 1
	s_and_saveexec_b64 s[94:95], vcc
	s_cbranch_execz .LBB6_4835
; %bb.4832:                             ;   in Loop: Header=BB6_3657 Depth=2
	v_and_b32_e32 v15, 0x7f, v40
	v_cmp_ne_u32_e32 vcc, s54, v15
	v_mov_b32_e32 v3, 0x7f800001
	s_and_saveexec_b64 s[30:31], vcc
	s_cbranch_execz .LBB6_4834
; %bb.4833:                             ;   in Loop: Header=BB6_3657 Depth=2
	v_and_b32_e32 v3, 7, v14
	v_lshrrev_b32_e32 v16, 3, v15
	v_cmp_gt_u32_e32 vcc, 8, v15
	v_ffbh_u32_e32 v15, v3
	v_min_u32_e32 v25, 32, v15
	v_subrev_u32_e32 v15, 28, v25
	v_lshlrev_b64 v[14:15], v15, v[14:15]
	v_sub_u32_e32 v15, 29, v25
	v_and_b32_e32 v14, 7, v14
	v_cndmask_b32_e32 v15, v16, v15, vcc
	v_cndmask_b32_e32 v3, v3, v14, vcc
	v_lshlrev_b32_e32 v14, 24, v40
	v_lshlrev_b32_e32 v3, 20, v3
	v_and_b32_e32 v14, 0x80000000, v14
	v_lshl_add_u32 v15, v15, 23, v62
	v_or3_b32 v3, v14, v15, v3
.LBB6_4834:                             ;   in Loop: Header=BB6_3657 Depth=2
	s_or_b64 exec, exec, s[30:31]
.LBB6_4835:                             ;   in Loop: Header=BB6_3657 Depth=2
	s_or_b64 exec, exec, s[94:95]
.LBB6_4836:                             ;   in Loop: Header=BB6_3657 Depth=2
	s_or_b64 exec, exec, s[22:23]
	v_max_f32_e32 v3, v3, v3
	v_max_f32_e32 v2, v2, v2
	v_min_f32_e32 v3, v2, v3
.LBB6_4837:                             ;   in Loop: Header=BB6_3657 Depth=2
	v_and_b32_e32 v60, 0x7f800000, v3
	v_cmp_ne_u64_e32 vcc, s[72:73], v[60:61]
                                        ; implicit-def: $vgpr25
	s_and_saveexec_b64 s[22:23], vcc
	s_xor_b64 s[94:95], exec, s[22:23]
	s_cbranch_execz .LBB6_4855
; %bb.4838:                             ;   in Loop: Header=BB6_3657 Depth=2
	v_and_b32_e32 v60, 0x7fffffff, v3
	v_cmp_gt_u64_e32 vcc, s[74:75], v[60:61]
	v_and_b32_sdwa v2, v3, s53 dst_sel:DWORD dst_unused:UNUSED_PAD src0_sel:BYTE_3 src1_sel:DWORD
                                        ; implicit-def: $vgpr25
	s_and_saveexec_b64 s[22:23], vcc
	s_xor_b64 s[30:31], exec, s[22:23]
	s_cbranch_execz .LBB6_4852
; %bb.4839:                             ;   in Loop: Header=BB6_3657 Depth=2
	v_cmp_ne_u32_e32 vcc, 0, v3
	v_mov_b32_e32 v25, 0
	s_and_saveexec_b64 s[34:35], vcc
	s_cbranch_execz .LBB6_4851
; %bb.4840:                             ;   in Loop: Header=BB6_3657 Depth=2
	v_and_b32_e32 v14, 0x7fffff, v3
	v_bfe_u32 v3, v3, 23, 8
	v_cmp_gt_u32_e64 s[22:23], s64, v3
	v_sub_u32_e32 v15, 0x79, v3
	v_cmp_eq_u32_e32 vcc, 0, v3
	v_cndmask_b32_e64 v15, 0, v15, s[22:23]
	v_mov_b32_e32 v25, 0x78
	v_or_b32_e32 v16, 0x800000, v14
	v_cndmask_b32_e32 v25, v15, v25, vcc
	v_cndmask_b32_e32 v60, v16, v14, vcc
	v_add_u32_e32 v14, 20, v25
	v_lshlrev_b64 v[14:15], v14, -1
	v_add_u32_e32 v16, 19, v25
	v_lshlrev_b64 v[26:27], v16, 1
	v_bfi_b32 v15, v15, 0, 0
	v_bfi_b32 v14, v14, 0, v60
	v_cmp_eq_u64_e64 s[22:23], v[14:15], v[26:27]
	v_lshrrev_b64 v[14:15], v25, v[60:61]
	v_mov_b32_e32 v16, v15
	v_mov_b32_e32 v15, v14
	s_and_saveexec_b64 s[36:37], s[22:23]
; %bb.4841:                             ;   in Loop: Header=BB6_3657 Depth=2
	v_bfe_u32 v15, v14, 20, 1
	v_add_co_u32_e64 v15, s[22:23], v14, v15
	v_add_co_u32_e64 v15, s[22:23], -1, v15
; %bb.4842:                             ;   in Loop: Header=BB6_3657 Depth=2
	s_or_b64 exec, exec, s[36:37]
	v_add_u32_e32 v3, 0xffffff81, v3
	v_cndmask_b32_e32 v3, v3, v41, vcc
	v_lshrrev_b32_e32 v16, 23, v14
	v_add3_u32 v25, v25, v3, v16
	v_add_u32_e32 v16, 6, v25
	v_and_b32_e32 v3, 0xfffff, v15
	v_add_u32_e32 v60, v3, v14
	v_cmp_ne_u32_e32 vcc, 0, v16
                                        ; implicit-def: $vgpr14_vgpr15
                                        ; implicit-def: $vgpr3
	s_and_saveexec_b64 s[22:23], vcc
	s_xor_b64 s[22:23], exec, s[22:23]
; %bb.4843:                             ;   in Loop: Header=BB6_3657 Depth=2
	v_cmp_lt_u64_e32 vcc, s[76:77], v[60:61]
	v_add_u32_e32 v3, 7, v25
	v_cndmask_b32_e64 v14, 0, 1, vcc
	v_lshrrev_b64 v[14:15], v14, v[60:61]
	v_cndmask_b32_e32 v3, v16, v3, vcc
; %bb.4844:                             ;   in Loop: Header=BB6_3657 Depth=2
	s_andn2_saveexec_b64 s[22:23], s[22:23]
; %bb.4845:                             ;   in Loop: Header=BB6_3657 Depth=2
	v_mov_b32_e32 v14, v60
	v_bfe_u32 v3, v60, 23, 1
	v_mov_b32_e32 v15, v61
; %bb.4846:                             ;   in Loop: Header=BB6_3657 Depth=2
	s_or_b64 exec, exec, s[22:23]
	v_lshrrev_b64 v[14:15], 20, v[14:15]
	v_cmp_gt_i32_e32 vcc, 16, v3
	v_cndmask_b32_e32 v15, 0, v15, vcc
	v_cndmask_b32_e32 v14, 7, v14, vcc
	v_cmp_ne_u64_e32 vcc, 0, v[14:15]
	v_cmp_ne_u32_e64 s[22:23], 0, v3
	s_or_b64 s[22:23], s[22:23], vcc
                                        ; implicit-def: $vgpr25
	s_and_saveexec_b64 vcc, s[22:23]
	s_xor_b64 s[22:23], exec, vcc
; %bb.4847:                             ;   in Loop: Header=BB6_3657 Depth=2
	v_min_i32_e32 v3, 15, v3
	v_lshl_or_b32 v2, v3, 3, v2
	v_and_or_b32 v25, v14, 7, v2
                                        ; implicit-def: $vgpr2
; %bb.4848:                             ;   in Loop: Header=BB6_3657 Depth=2
	s_andn2_saveexec_b64 s[22:23], s[22:23]
; %bb.4849:                             ;   in Loop: Header=BB6_3657 Depth=2
	v_mov_b32_e32 v25, v2
; %bb.4850:                             ;   in Loop: Header=BB6_3657 Depth=2
	s_or_b64 exec, exec, s[22:23]
.LBB6_4851:                             ;   in Loop: Header=BB6_3657 Depth=2
	s_or_b64 exec, exec, s[34:35]
                                        ; implicit-def: $vgpr2
.LBB6_4852:                             ;   in Loop: Header=BB6_3657 Depth=2
	s_andn2_saveexec_b64 s[22:23], s[30:31]
; %bb.4853:                             ;   in Loop: Header=BB6_3657 Depth=2
	v_or_b32_e32 v25, 0x7e, v2
; %bb.4854:                             ;   in Loop: Header=BB6_3657 Depth=2
	s_or_b64 exec, exec, s[22:23]
                                        ; implicit-def: $vgpr3
.LBB6_4855:                             ;   in Loop: Header=BB6_3657 Depth=2
	s_andn2_saveexec_b64 s[22:23], s[94:95]
; %bb.4856:                             ;   in Loop: Header=BB6_3657 Depth=2
	v_or_b32_sdwa v25, v3, s54 dst_sel:DWORD dst_unused:UNUSED_PAD src0_sel:BYTE_3 src1_sel:DWORD
; %bb.4857:                             ;   in Loop: Header=BB6_3657 Depth=2
	s_or_b64 exec, exec, s[22:23]
	v_and_b32_e32 v14, 0xff, v51
	v_cmp_ne_u16_e64 s[22:23], 0, v14
	s_and_b64 vcc, exec, s[20:21]
	s_mov_b64 s[94:95], -1
                                        ; implicit-def: $vgpr3
	s_cbranch_vccnz .LBB6_4871
; %bb.4858:                             ;   in Loop: Header=BB6_3657 Depth=2
	v_mov_b32_e32 v3, 0
	v_mov_b32_e32 v2, 0
	s_and_saveexec_b64 s[94:95], s[22:23]
	s_cbranch_execz .LBB6_4864
; %bb.4859:                             ;   in Loop: Header=BB6_3657 Depth=2
	v_cmp_ne_u16_e32 vcc, s53, v14
	v_bfrev_b32_e32 v2, 1
	s_and_saveexec_b64 s[30:31], vcc
	s_cbranch_execz .LBB6_4863
; %bb.4860:                             ;   in Loop: Header=BB6_3657 Depth=2
	v_and_b32_e32 v15, 0x7f, v51
	v_cmp_ne_u32_e32 vcc, s54, v15
	v_mov_b32_e32 v2, 0x7f800001
	s_and_saveexec_b64 s[34:35], vcc
	s_cbranch_execz .LBB6_4862
; %bb.4861:                             ;   in Loop: Header=BB6_3657 Depth=2
	v_and_b32_e32 v2, 7, v14
	v_lshrrev_b32_e32 v26, 3, v15
	v_cmp_gt_u32_e32 vcc, 8, v15
	v_ffbh_u32_e32 v15, v2
	v_min_u32_e32 v27, 32, v15
	v_subrev_u32_e32 v15, 28, v27
	v_lshlrev_b64 v[15:16], v15, v[14:15]
	v_sub_u32_e32 v16, 29, v27
	v_and_b32_e32 v15, 7, v15
	v_cndmask_b32_e32 v16, v26, v16, vcc
	v_cndmask_b32_e32 v2, v2, v15, vcc
	v_lshlrev_b32_e32 v15, 24, v51
	v_lshlrev_b32_e32 v2, 20, v2
	v_and_b32_e32 v15, 0x80000000, v15
	v_lshl_add_u32 v16, v16, 23, v62
	v_or3_b32 v2, v15, v16, v2
.LBB6_4862:                             ;   in Loop: Header=BB6_3657 Depth=2
	s_or_b64 exec, exec, s[34:35]
.LBB6_4863:                             ;   in Loop: Header=BB6_3657 Depth=2
	s_or_b64 exec, exec, s[30:31]
.LBB6_4864:                             ;   in Loop: Header=BB6_3657 Depth=2
	s_or_b64 exec, exec, s[94:95]
	v_and_b32_e32 v15, 0xff, v50
	v_cmp_ne_u16_e32 vcc, 0, v15
	s_and_saveexec_b64 s[94:95], vcc
	s_cbranch_execz .LBB6_4870
; %bb.4865:                             ;   in Loop: Header=BB6_3657 Depth=2
	v_cmp_ne_u16_e32 vcc, s53, v15
	v_bfrev_b32_e32 v3, 1
	s_and_saveexec_b64 s[30:31], vcc
	s_cbranch_execz .LBB6_4869
; %bb.4866:                             ;   in Loop: Header=BB6_3657 Depth=2
	v_and_b32_e32 v16, 0x7f, v50
	v_cmp_ne_u32_e32 vcc, s54, v16
	v_mov_b32_e32 v3, 0x7f800001
	s_and_saveexec_b64 s[34:35], vcc
	s_cbranch_execz .LBB6_4868
; %bb.4867:                             ;   in Loop: Header=BB6_3657 Depth=2
	v_and_b32_e32 v3, 7, v15
	v_lshrrev_b32_e32 v26, 3, v16
	v_cmp_gt_u32_e32 vcc, 8, v16
	v_ffbh_u32_e32 v16, v3
	v_min_u32_e32 v27, 32, v16
	v_subrev_u32_e32 v16, 28, v27
	v_lshlrev_b64 v[15:16], v16, v[15:16]
	v_sub_u32_e32 v16, 29, v27
	v_and_b32_e32 v15, 7, v15
	v_cndmask_b32_e32 v16, v26, v16, vcc
	v_cndmask_b32_e32 v3, v3, v15, vcc
	v_lshlrev_b32_e32 v15, 24, v50
	v_lshlrev_b32_e32 v3, 20, v3
	v_and_b32_e32 v15, 0x80000000, v15
	v_lshl_add_u32 v16, v16, 23, v62
	v_or3_b32 v3, v15, v16, v3
.LBB6_4868:                             ;   in Loop: Header=BB6_3657 Depth=2
	s_or_b64 exec, exec, s[34:35]
.LBB6_4869:                             ;   in Loop: Header=BB6_3657 Depth=2
	s_or_b64 exec, exec, s[30:31]
.LBB6_4870:                             ;   in Loop: Header=BB6_3657 Depth=2
	s_or_b64 exec, exec, s[94:95]
	v_max_f32_e32 v3, v3, v3
	v_max_f32_e32 v2, v2, v2
	;; [unrolled: 1-line block ×3, first 2 shown]
	s_mov_b64 s[94:95], 0
.LBB6_4871:                             ;   in Loop: Header=BB6_3657 Depth=2
	s_and_b64 vcc, exec, s[94:95]
	s_cbranch_vccz .LBB6_4885
; %bb.4872:                             ;   in Loop: Header=BB6_3657 Depth=2
	v_mov_b32_e32 v3, 0
	v_mov_b32_e32 v2, 0
	s_and_saveexec_b64 s[94:95], s[22:23]
	s_cbranch_execz .LBB6_4878
; %bb.4873:                             ;   in Loop: Header=BB6_3657 Depth=2
	v_cmp_ne_u16_e32 vcc, s53, v14
	v_bfrev_b32_e32 v2, 1
	s_and_saveexec_b64 s[22:23], vcc
	s_cbranch_execz .LBB6_4877
; %bb.4874:                             ;   in Loop: Header=BB6_3657 Depth=2
	v_and_b32_e32 v15, 0x7f, v51
	v_cmp_ne_u32_e32 vcc, s54, v15
	v_mov_b32_e32 v2, 0x7f800001
	s_and_saveexec_b64 s[30:31], vcc
	s_cbranch_execz .LBB6_4876
; %bb.4875:                             ;   in Loop: Header=BB6_3657 Depth=2
	v_and_b32_e32 v2, 7, v14
	v_lshrrev_b32_e32 v16, 3, v15
	v_cmp_gt_u32_e32 vcc, 8, v15
	v_ffbh_u32_e32 v15, v2
	v_min_u32_e32 v26, 32, v15
	v_subrev_u32_e32 v15, 28, v26
	v_lshlrev_b64 v[14:15], v15, v[14:15]
	v_sub_u32_e32 v15, 29, v26
	v_and_b32_e32 v14, 7, v14
	v_cndmask_b32_e32 v15, v16, v15, vcc
	v_cndmask_b32_e32 v2, v2, v14, vcc
	v_lshlrev_b32_e32 v14, 24, v51
	v_lshlrev_b32_e32 v2, 20, v2
	v_and_b32_e32 v14, 0x80000000, v14
	v_lshl_add_u32 v15, v15, 23, v62
	v_or3_b32 v2, v14, v15, v2
.LBB6_4876:                             ;   in Loop: Header=BB6_3657 Depth=2
	s_or_b64 exec, exec, s[30:31]
.LBB6_4877:                             ;   in Loop: Header=BB6_3657 Depth=2
	s_or_b64 exec, exec, s[22:23]
.LBB6_4878:                             ;   in Loop: Header=BB6_3657 Depth=2
	s_or_b64 exec, exec, s[94:95]
	v_and_b32_e32 v14, 0xff, v50
	v_cmp_ne_u16_e32 vcc, 0, v14
	s_and_saveexec_b64 s[22:23], vcc
	s_cbranch_execz .LBB6_4884
; %bb.4879:                             ;   in Loop: Header=BB6_3657 Depth=2
	v_cmp_ne_u16_e32 vcc, s53, v14
	v_bfrev_b32_e32 v3, 1
	s_and_saveexec_b64 s[94:95], vcc
	s_cbranch_execz .LBB6_4883
; %bb.4880:                             ;   in Loop: Header=BB6_3657 Depth=2
	v_and_b32_e32 v15, 0x7f, v50
	v_cmp_ne_u32_e32 vcc, s54, v15
	v_mov_b32_e32 v3, 0x7f800001
	s_and_saveexec_b64 s[30:31], vcc
	s_cbranch_execz .LBB6_4882
; %bb.4881:                             ;   in Loop: Header=BB6_3657 Depth=2
	v_and_b32_e32 v3, 7, v14
	v_lshrrev_b32_e32 v16, 3, v15
	v_cmp_gt_u32_e32 vcc, 8, v15
	v_ffbh_u32_e32 v15, v3
	v_min_u32_e32 v26, 32, v15
	v_subrev_u32_e32 v15, 28, v26
	v_lshlrev_b64 v[14:15], v15, v[14:15]
	v_sub_u32_e32 v15, 29, v26
	v_and_b32_e32 v14, 7, v14
	v_cndmask_b32_e32 v15, v16, v15, vcc
	v_cndmask_b32_e32 v3, v3, v14, vcc
	v_lshlrev_b32_e32 v14, 24, v50
	v_lshlrev_b32_e32 v3, 20, v3
	v_and_b32_e32 v14, 0x80000000, v14
	v_lshl_add_u32 v15, v15, 23, v62
	v_or3_b32 v3, v14, v15, v3
.LBB6_4882:                             ;   in Loop: Header=BB6_3657 Depth=2
	s_or_b64 exec, exec, s[30:31]
.LBB6_4883:                             ;   in Loop: Header=BB6_3657 Depth=2
	s_or_b64 exec, exec, s[94:95]
.LBB6_4884:                             ;   in Loop: Header=BB6_3657 Depth=2
	s_or_b64 exec, exec, s[22:23]
	v_max_f32_e32 v3, v3, v3
	v_max_f32_e32 v2, v2, v2
	v_min_f32_e32 v3, v2, v3
.LBB6_4885:                             ;   in Loop: Header=BB6_3657 Depth=2
	v_and_b32_e32 v60, 0x7f800000, v3
	v_cmp_ne_u64_e32 vcc, s[72:73], v[60:61]
                                        ; implicit-def: $vgpr26
	s_and_saveexec_b64 s[22:23], vcc
	s_xor_b64 s[94:95], exec, s[22:23]
	s_cbranch_execz .LBB6_4903
; %bb.4886:                             ;   in Loop: Header=BB6_3657 Depth=2
	v_and_b32_e32 v60, 0x7fffffff, v3
	v_cmp_gt_u64_e32 vcc, s[74:75], v[60:61]
	v_and_b32_sdwa v2, v3, s53 dst_sel:DWORD dst_unused:UNUSED_PAD src0_sel:BYTE_3 src1_sel:DWORD
                                        ; implicit-def: $vgpr26
	s_and_saveexec_b64 s[22:23], vcc
	s_xor_b64 s[30:31], exec, s[22:23]
	s_cbranch_execz .LBB6_4900
; %bb.4887:                             ;   in Loop: Header=BB6_3657 Depth=2
	v_cmp_ne_u32_e32 vcc, 0, v3
	v_mov_b32_e32 v26, 0
	s_and_saveexec_b64 s[34:35], vcc
	s_cbranch_execz .LBB6_4899
; %bb.4888:                             ;   in Loop: Header=BB6_3657 Depth=2
	v_and_b32_e32 v14, 0x7fffff, v3
	v_bfe_u32 v3, v3, 23, 8
	v_cmp_gt_u32_e64 s[22:23], s64, v3
	v_sub_u32_e32 v15, 0x79, v3
	v_cmp_eq_u32_e32 vcc, 0, v3
	v_cndmask_b32_e64 v15, 0, v15, s[22:23]
	v_mov_b32_e32 v26, 0x78
	v_or_b32_e32 v16, 0x800000, v14
	v_cndmask_b32_e32 v26, v15, v26, vcc
	v_cndmask_b32_e32 v60, v16, v14, vcc
	v_add_u32_e32 v14, 20, v26
	v_lshlrev_b64 v[14:15], v14, -1
	v_add_u32_e32 v16, 19, v26
	v_lshlrev_b64 v[27:28], v16, 1
	v_bfi_b32 v15, v15, 0, 0
	v_bfi_b32 v14, v14, 0, v60
	v_cmp_eq_u64_e64 s[22:23], v[14:15], v[27:28]
	v_lshrrev_b64 v[14:15], v26, v[60:61]
	v_mov_b32_e32 v16, v15
	v_mov_b32_e32 v15, v14
	s_and_saveexec_b64 s[36:37], s[22:23]
; %bb.4889:                             ;   in Loop: Header=BB6_3657 Depth=2
	v_bfe_u32 v15, v14, 20, 1
	v_add_co_u32_e64 v15, s[22:23], v14, v15
	v_add_co_u32_e64 v15, s[22:23], -1, v15
; %bb.4890:                             ;   in Loop: Header=BB6_3657 Depth=2
	s_or_b64 exec, exec, s[36:37]
	v_add_u32_e32 v3, 0xffffff81, v3
	v_cndmask_b32_e32 v3, v3, v41, vcc
	v_lshrrev_b32_e32 v16, 23, v14
	v_add3_u32 v26, v26, v3, v16
	v_add_u32_e32 v16, 6, v26
	v_and_b32_e32 v3, 0xfffff, v15
	v_add_u32_e32 v60, v3, v14
	v_cmp_ne_u32_e32 vcc, 0, v16
                                        ; implicit-def: $vgpr14_vgpr15
                                        ; implicit-def: $vgpr3
	s_and_saveexec_b64 s[22:23], vcc
	s_xor_b64 s[22:23], exec, s[22:23]
; %bb.4891:                             ;   in Loop: Header=BB6_3657 Depth=2
	v_cmp_lt_u64_e32 vcc, s[76:77], v[60:61]
	v_add_u32_e32 v3, 7, v26
	v_cndmask_b32_e64 v14, 0, 1, vcc
	v_lshrrev_b64 v[14:15], v14, v[60:61]
	v_cndmask_b32_e32 v3, v16, v3, vcc
; %bb.4892:                             ;   in Loop: Header=BB6_3657 Depth=2
	s_andn2_saveexec_b64 s[22:23], s[22:23]
; %bb.4893:                             ;   in Loop: Header=BB6_3657 Depth=2
	v_mov_b32_e32 v14, v60
	v_bfe_u32 v3, v60, 23, 1
	v_mov_b32_e32 v15, v61
; %bb.4894:                             ;   in Loop: Header=BB6_3657 Depth=2
	s_or_b64 exec, exec, s[22:23]
	v_lshrrev_b64 v[14:15], 20, v[14:15]
	v_cmp_gt_i32_e32 vcc, 16, v3
	v_cndmask_b32_e32 v15, 0, v15, vcc
	v_cndmask_b32_e32 v14, 7, v14, vcc
	v_cmp_ne_u64_e32 vcc, 0, v[14:15]
	v_cmp_ne_u32_e64 s[22:23], 0, v3
	s_or_b64 s[22:23], s[22:23], vcc
                                        ; implicit-def: $vgpr26
	s_and_saveexec_b64 vcc, s[22:23]
	s_xor_b64 s[22:23], exec, vcc
; %bb.4895:                             ;   in Loop: Header=BB6_3657 Depth=2
	v_min_i32_e32 v3, 15, v3
	v_lshl_or_b32 v2, v3, 3, v2
	v_and_or_b32 v26, v14, 7, v2
                                        ; implicit-def: $vgpr2
; %bb.4896:                             ;   in Loop: Header=BB6_3657 Depth=2
	s_andn2_saveexec_b64 s[22:23], s[22:23]
; %bb.4897:                             ;   in Loop: Header=BB6_3657 Depth=2
	v_mov_b32_e32 v26, v2
; %bb.4898:                             ;   in Loop: Header=BB6_3657 Depth=2
	s_or_b64 exec, exec, s[22:23]
.LBB6_4899:                             ;   in Loop: Header=BB6_3657 Depth=2
	s_or_b64 exec, exec, s[34:35]
                                        ; implicit-def: $vgpr2
.LBB6_4900:                             ;   in Loop: Header=BB6_3657 Depth=2
	s_andn2_saveexec_b64 s[22:23], s[30:31]
; %bb.4901:                             ;   in Loop: Header=BB6_3657 Depth=2
	v_or_b32_e32 v26, 0x7e, v2
; %bb.4902:                             ;   in Loop: Header=BB6_3657 Depth=2
	s_or_b64 exec, exec, s[22:23]
                                        ; implicit-def: $vgpr3
.LBB6_4903:                             ;   in Loop: Header=BB6_3657 Depth=2
	s_andn2_saveexec_b64 s[22:23], s[94:95]
; %bb.4904:                             ;   in Loop: Header=BB6_3657 Depth=2
	v_or_b32_sdwa v26, v3, s54 dst_sel:DWORD dst_unused:UNUSED_PAD src0_sel:BYTE_3 src1_sel:DWORD
; %bb.4905:                             ;   in Loop: Header=BB6_3657 Depth=2
	s_or_b64 exec, exec, s[22:23]
	v_and_b32_e32 v14, 0xff, v33
	v_cmp_ne_u16_e64 s[22:23], 0, v14
	s_and_b64 vcc, exec, s[20:21]
	s_mov_b64 s[94:95], -1
                                        ; implicit-def: $vgpr3
	s_cbranch_vccnz .LBB6_4919
; %bb.4906:                             ;   in Loop: Header=BB6_3657 Depth=2
	v_mov_b32_e32 v3, 0
	v_mov_b32_e32 v2, 0
	s_and_saveexec_b64 s[94:95], s[22:23]
	s_cbranch_execz .LBB6_4912
; %bb.4907:                             ;   in Loop: Header=BB6_3657 Depth=2
	v_cmp_ne_u16_e32 vcc, s53, v14
	v_bfrev_b32_e32 v2, 1
	s_and_saveexec_b64 s[30:31], vcc
	s_cbranch_execz .LBB6_4911
; %bb.4908:                             ;   in Loop: Header=BB6_3657 Depth=2
	v_and_b32_e32 v15, 0x7f, v33
	v_cmp_ne_u32_e32 vcc, s54, v15
	v_mov_b32_e32 v2, 0x7f800001
	s_and_saveexec_b64 s[34:35], vcc
	s_cbranch_execz .LBB6_4910
; %bb.4909:                             ;   in Loop: Header=BB6_3657 Depth=2
	v_and_b32_e32 v2, 7, v14
	v_lshrrev_b32_e32 v27, 3, v15
	v_cmp_gt_u32_e32 vcc, 8, v15
	v_ffbh_u32_e32 v15, v2
	v_min_u32_e32 v28, 32, v15
	v_subrev_u32_e32 v15, 28, v28
	v_lshlrev_b64 v[15:16], v15, v[14:15]
	v_sub_u32_e32 v16, 29, v28
	v_and_b32_e32 v15, 7, v15
	v_cndmask_b32_e32 v16, v27, v16, vcc
	v_cndmask_b32_e32 v2, v2, v15, vcc
	v_lshlrev_b32_e32 v15, 24, v33
	v_lshlrev_b32_e32 v2, 20, v2
	v_and_b32_e32 v15, 0x80000000, v15
	v_lshl_add_u32 v16, v16, 23, v62
	v_or3_b32 v2, v15, v16, v2
.LBB6_4910:                             ;   in Loop: Header=BB6_3657 Depth=2
	s_or_b64 exec, exec, s[34:35]
.LBB6_4911:                             ;   in Loop: Header=BB6_3657 Depth=2
	s_or_b64 exec, exec, s[30:31]
.LBB6_4912:                             ;   in Loop: Header=BB6_3657 Depth=2
	s_or_b64 exec, exec, s[94:95]
	v_and_b32_e32 v15, 0xff, v29
	v_cmp_ne_u16_e32 vcc, 0, v15
	s_and_saveexec_b64 s[94:95], vcc
	s_cbranch_execz .LBB6_4918
; %bb.4913:                             ;   in Loop: Header=BB6_3657 Depth=2
	v_cmp_ne_u16_e32 vcc, s53, v15
	v_bfrev_b32_e32 v3, 1
	s_and_saveexec_b64 s[30:31], vcc
	s_cbranch_execz .LBB6_4917
; %bb.4914:                             ;   in Loop: Header=BB6_3657 Depth=2
	v_and_b32_e32 v16, 0x7f, v29
	v_cmp_ne_u32_e32 vcc, s54, v16
	v_mov_b32_e32 v3, 0x7f800001
	s_and_saveexec_b64 s[34:35], vcc
	s_cbranch_execz .LBB6_4916
; %bb.4915:                             ;   in Loop: Header=BB6_3657 Depth=2
	v_and_b32_e32 v3, 7, v15
	v_lshrrev_b32_e32 v27, 3, v16
	v_cmp_gt_u32_e32 vcc, 8, v16
	v_ffbh_u32_e32 v16, v3
	v_min_u32_e32 v28, 32, v16
	v_subrev_u32_e32 v16, 28, v28
	v_lshlrev_b64 v[15:16], v16, v[15:16]
	v_sub_u32_e32 v16, 29, v28
	v_and_b32_e32 v15, 7, v15
	v_cndmask_b32_e32 v16, v27, v16, vcc
	v_cndmask_b32_e32 v3, v3, v15, vcc
	v_lshlrev_b32_e32 v15, 24, v29
	v_lshlrev_b32_e32 v3, 20, v3
	v_and_b32_e32 v15, 0x80000000, v15
	v_lshl_add_u32 v16, v16, 23, v62
	v_or3_b32 v3, v15, v16, v3
.LBB6_4916:                             ;   in Loop: Header=BB6_3657 Depth=2
	s_or_b64 exec, exec, s[34:35]
.LBB6_4917:                             ;   in Loop: Header=BB6_3657 Depth=2
	s_or_b64 exec, exec, s[30:31]
.LBB6_4918:                             ;   in Loop: Header=BB6_3657 Depth=2
	s_or_b64 exec, exec, s[94:95]
	v_max_f32_e32 v3, v3, v3
	v_max_f32_e32 v2, v2, v2
	;; [unrolled: 1-line block ×3, first 2 shown]
	s_mov_b64 s[94:95], 0
.LBB6_4919:                             ;   in Loop: Header=BB6_3657 Depth=2
	s_and_b64 vcc, exec, s[94:95]
	s_cbranch_vccz .LBB6_4933
; %bb.4920:                             ;   in Loop: Header=BB6_3657 Depth=2
	v_mov_b32_e32 v3, 0
	v_mov_b32_e32 v2, 0
	s_and_saveexec_b64 s[94:95], s[22:23]
	s_cbranch_execz .LBB6_4926
; %bb.4921:                             ;   in Loop: Header=BB6_3657 Depth=2
	v_cmp_ne_u16_e32 vcc, s53, v14
	v_bfrev_b32_e32 v2, 1
	s_and_saveexec_b64 s[22:23], vcc
	s_cbranch_execz .LBB6_4925
; %bb.4922:                             ;   in Loop: Header=BB6_3657 Depth=2
	v_and_b32_e32 v15, 0x7f, v33
	v_cmp_ne_u32_e32 vcc, s54, v15
	v_mov_b32_e32 v2, 0x7f800001
	s_and_saveexec_b64 s[30:31], vcc
	s_cbranch_execz .LBB6_4924
; %bb.4923:                             ;   in Loop: Header=BB6_3657 Depth=2
	v_and_b32_e32 v2, 7, v14
	v_lshrrev_b32_e32 v16, 3, v15
	v_cmp_gt_u32_e32 vcc, 8, v15
	v_ffbh_u32_e32 v15, v2
	v_min_u32_e32 v27, 32, v15
	v_subrev_u32_e32 v15, 28, v27
	v_lshlrev_b64 v[14:15], v15, v[14:15]
	v_sub_u32_e32 v15, 29, v27
	v_and_b32_e32 v14, 7, v14
	v_cndmask_b32_e32 v15, v16, v15, vcc
	v_cndmask_b32_e32 v2, v2, v14, vcc
	v_lshlrev_b32_e32 v14, 24, v33
	v_lshlrev_b32_e32 v2, 20, v2
	v_and_b32_e32 v14, 0x80000000, v14
	v_lshl_add_u32 v15, v15, 23, v62
	v_or3_b32 v2, v14, v15, v2
.LBB6_4924:                             ;   in Loop: Header=BB6_3657 Depth=2
	s_or_b64 exec, exec, s[30:31]
.LBB6_4925:                             ;   in Loop: Header=BB6_3657 Depth=2
	s_or_b64 exec, exec, s[22:23]
.LBB6_4926:                             ;   in Loop: Header=BB6_3657 Depth=2
	s_or_b64 exec, exec, s[94:95]
	v_and_b32_e32 v14, 0xff, v29
	v_cmp_ne_u16_e32 vcc, 0, v14
	s_and_saveexec_b64 s[22:23], vcc
	s_cbranch_execz .LBB6_4932
; %bb.4927:                             ;   in Loop: Header=BB6_3657 Depth=2
	v_cmp_ne_u16_e32 vcc, s53, v14
	v_bfrev_b32_e32 v3, 1
	s_and_saveexec_b64 s[94:95], vcc
	s_cbranch_execz .LBB6_4931
; %bb.4928:                             ;   in Loop: Header=BB6_3657 Depth=2
	v_and_b32_e32 v15, 0x7f, v29
	v_cmp_ne_u32_e32 vcc, s54, v15
	v_mov_b32_e32 v3, 0x7f800001
	s_and_saveexec_b64 s[30:31], vcc
	s_cbranch_execz .LBB6_4930
; %bb.4929:                             ;   in Loop: Header=BB6_3657 Depth=2
	v_and_b32_e32 v3, 7, v14
	v_lshrrev_b32_e32 v16, 3, v15
	v_cmp_gt_u32_e32 vcc, 8, v15
	v_ffbh_u32_e32 v15, v3
	v_min_u32_e32 v27, 32, v15
	v_subrev_u32_e32 v15, 28, v27
	v_lshlrev_b64 v[14:15], v15, v[14:15]
	v_sub_u32_e32 v15, 29, v27
	v_and_b32_e32 v14, 7, v14
	v_cndmask_b32_e32 v15, v16, v15, vcc
	v_cndmask_b32_e32 v3, v3, v14, vcc
	v_lshlrev_b32_e32 v14, 24, v29
	v_lshlrev_b32_e32 v3, 20, v3
	v_and_b32_e32 v14, 0x80000000, v14
	v_lshl_add_u32 v15, v15, 23, v62
	v_or3_b32 v3, v14, v15, v3
.LBB6_4930:                             ;   in Loop: Header=BB6_3657 Depth=2
	s_or_b64 exec, exec, s[30:31]
.LBB6_4931:                             ;   in Loop: Header=BB6_3657 Depth=2
	s_or_b64 exec, exec, s[94:95]
.LBB6_4932:                             ;   in Loop: Header=BB6_3657 Depth=2
	s_or_b64 exec, exec, s[22:23]
	v_max_f32_e32 v3, v3, v3
	v_max_f32_e32 v2, v2, v2
	v_min_f32_e32 v3, v2, v3
.LBB6_4933:                             ;   in Loop: Header=BB6_3657 Depth=2
	v_and_b32_e32 v60, 0x7f800000, v3
	v_cmp_ne_u64_e32 vcc, s[72:73], v[60:61]
                                        ; implicit-def: $vgpr27
	s_and_saveexec_b64 s[22:23], vcc
	s_xor_b64 s[94:95], exec, s[22:23]
	s_cbranch_execz .LBB6_4951
; %bb.4934:                             ;   in Loop: Header=BB6_3657 Depth=2
	v_and_b32_e32 v60, 0x7fffffff, v3
	v_cmp_gt_u64_e32 vcc, s[74:75], v[60:61]
	v_and_b32_sdwa v2, v3, s53 dst_sel:DWORD dst_unused:UNUSED_PAD src0_sel:BYTE_3 src1_sel:DWORD
                                        ; implicit-def: $vgpr27
	s_and_saveexec_b64 s[22:23], vcc
	s_xor_b64 s[30:31], exec, s[22:23]
	s_cbranch_execz .LBB6_4948
; %bb.4935:                             ;   in Loop: Header=BB6_3657 Depth=2
	v_cmp_ne_u32_e32 vcc, 0, v3
	v_mov_b32_e32 v27, 0
	s_and_saveexec_b64 s[34:35], vcc
	s_cbranch_execz .LBB6_4947
; %bb.4936:                             ;   in Loop: Header=BB6_3657 Depth=2
	v_and_b32_e32 v14, 0x7fffff, v3
	v_bfe_u32 v3, v3, 23, 8
	v_cmp_gt_u32_e64 s[22:23], s64, v3
	v_sub_u32_e32 v15, 0x79, v3
	v_cmp_eq_u32_e32 vcc, 0, v3
	v_cndmask_b32_e64 v15, 0, v15, s[22:23]
	v_mov_b32_e32 v27, 0x78
	v_or_b32_e32 v16, 0x800000, v14
	v_cndmask_b32_e32 v27, v15, v27, vcc
	v_cndmask_b32_e32 v60, v16, v14, vcc
	v_add_u32_e32 v14, 20, v27
	v_lshlrev_b64 v[14:15], v14, -1
	v_add_u32_e32 v16, 19, v27
	v_lshlrev_b64 v[28:29], v16, 1
	v_bfi_b32 v15, v15, 0, 0
	v_bfi_b32 v14, v14, 0, v60
	v_cmp_eq_u64_e64 s[22:23], v[14:15], v[28:29]
	v_lshrrev_b64 v[14:15], v27, v[60:61]
	v_mov_b32_e32 v16, v15
	v_mov_b32_e32 v15, v14
	s_and_saveexec_b64 s[36:37], s[22:23]
; %bb.4937:                             ;   in Loop: Header=BB6_3657 Depth=2
	v_bfe_u32 v15, v14, 20, 1
	v_add_co_u32_e64 v15, s[22:23], v14, v15
	v_add_co_u32_e64 v15, s[22:23], -1, v15
; %bb.4938:                             ;   in Loop: Header=BB6_3657 Depth=2
	s_or_b64 exec, exec, s[36:37]
	v_add_u32_e32 v3, 0xffffff81, v3
	v_cndmask_b32_e32 v3, v3, v41, vcc
	v_lshrrev_b32_e32 v16, 23, v14
	v_add3_u32 v27, v27, v3, v16
	v_add_u32_e32 v16, 6, v27
	v_and_b32_e32 v3, 0xfffff, v15
	v_add_u32_e32 v60, v3, v14
	v_cmp_ne_u32_e32 vcc, 0, v16
                                        ; implicit-def: $vgpr14_vgpr15
                                        ; implicit-def: $vgpr3
	s_and_saveexec_b64 s[22:23], vcc
	s_xor_b64 s[22:23], exec, s[22:23]
; %bb.4939:                             ;   in Loop: Header=BB6_3657 Depth=2
	v_cmp_lt_u64_e32 vcc, s[76:77], v[60:61]
	v_add_u32_e32 v3, 7, v27
	v_cndmask_b32_e64 v14, 0, 1, vcc
	v_lshrrev_b64 v[14:15], v14, v[60:61]
	v_cndmask_b32_e32 v3, v16, v3, vcc
; %bb.4940:                             ;   in Loop: Header=BB6_3657 Depth=2
	s_andn2_saveexec_b64 s[22:23], s[22:23]
; %bb.4941:                             ;   in Loop: Header=BB6_3657 Depth=2
	v_mov_b32_e32 v14, v60
	v_bfe_u32 v3, v60, 23, 1
	v_mov_b32_e32 v15, v61
; %bb.4942:                             ;   in Loop: Header=BB6_3657 Depth=2
	s_or_b64 exec, exec, s[22:23]
	v_lshrrev_b64 v[14:15], 20, v[14:15]
	v_cmp_gt_i32_e32 vcc, 16, v3
	v_cndmask_b32_e32 v15, 0, v15, vcc
	v_cndmask_b32_e32 v14, 7, v14, vcc
	v_cmp_ne_u64_e32 vcc, 0, v[14:15]
	v_cmp_ne_u32_e64 s[22:23], 0, v3
	s_or_b64 s[22:23], s[22:23], vcc
                                        ; implicit-def: $vgpr27
	s_and_saveexec_b64 vcc, s[22:23]
	s_xor_b64 s[22:23], exec, vcc
; %bb.4943:                             ;   in Loop: Header=BB6_3657 Depth=2
	v_min_i32_e32 v3, 15, v3
	v_lshl_or_b32 v2, v3, 3, v2
	v_and_or_b32 v27, v14, 7, v2
                                        ; implicit-def: $vgpr2
; %bb.4944:                             ;   in Loop: Header=BB6_3657 Depth=2
	s_andn2_saveexec_b64 s[22:23], s[22:23]
; %bb.4945:                             ;   in Loop: Header=BB6_3657 Depth=2
	v_mov_b32_e32 v27, v2
; %bb.4946:                             ;   in Loop: Header=BB6_3657 Depth=2
	s_or_b64 exec, exec, s[22:23]
.LBB6_4947:                             ;   in Loop: Header=BB6_3657 Depth=2
	s_or_b64 exec, exec, s[34:35]
                                        ; implicit-def: $vgpr2
.LBB6_4948:                             ;   in Loop: Header=BB6_3657 Depth=2
	s_andn2_saveexec_b64 s[22:23], s[30:31]
; %bb.4949:                             ;   in Loop: Header=BB6_3657 Depth=2
	v_or_b32_e32 v27, 0x7e, v2
; %bb.4950:                             ;   in Loop: Header=BB6_3657 Depth=2
	s_or_b64 exec, exec, s[22:23]
                                        ; implicit-def: $vgpr3
.LBB6_4951:                             ;   in Loop: Header=BB6_3657 Depth=2
	s_andn2_saveexec_b64 s[22:23], s[94:95]
; %bb.4952:                             ;   in Loop: Header=BB6_3657 Depth=2
	v_or_b32_sdwa v27, v3, s54 dst_sel:DWORD dst_unused:UNUSED_PAD src0_sel:BYTE_3 src1_sel:DWORD
; %bb.4953:                             ;   in Loop: Header=BB6_3657 Depth=2
	s_or_b64 exec, exec, s[22:23]
	v_and_b32_e32 v14, 0xff, v31
	v_cmp_ne_u16_e64 s[22:23], 0, v14
	s_and_b64 vcc, exec, s[20:21]
	s_mov_b64 s[94:95], -1
                                        ; implicit-def: $vgpr3
	s_cbranch_vccnz .LBB6_4967
; %bb.4954:                             ;   in Loop: Header=BB6_3657 Depth=2
	v_mov_b32_e32 v3, 0
	v_mov_b32_e32 v2, 0
	s_and_saveexec_b64 s[94:95], s[22:23]
	s_cbranch_execz .LBB6_4960
; %bb.4955:                             ;   in Loop: Header=BB6_3657 Depth=2
	v_cmp_ne_u16_e32 vcc, s53, v14
	v_bfrev_b32_e32 v2, 1
	s_and_saveexec_b64 s[30:31], vcc
	s_cbranch_execz .LBB6_4959
; %bb.4956:                             ;   in Loop: Header=BB6_3657 Depth=2
	v_and_b32_e32 v15, 0x7f, v31
	v_cmp_ne_u32_e32 vcc, s54, v15
	v_mov_b32_e32 v2, 0x7f800001
	s_and_saveexec_b64 s[34:35], vcc
	s_cbranch_execz .LBB6_4958
; %bb.4957:                             ;   in Loop: Header=BB6_3657 Depth=2
	v_and_b32_e32 v2, 7, v14
	v_lshrrev_b32_e32 v28, 3, v15
	v_cmp_gt_u32_e32 vcc, 8, v15
	v_ffbh_u32_e32 v15, v2
	v_min_u32_e32 v29, 32, v15
	v_subrev_u32_e32 v15, 28, v29
	v_lshlrev_b64 v[15:16], v15, v[14:15]
	v_sub_u32_e32 v16, 29, v29
	v_and_b32_e32 v15, 7, v15
	v_cndmask_b32_e32 v16, v28, v16, vcc
	v_cndmask_b32_e32 v2, v2, v15, vcc
	v_lshlrev_b32_e32 v15, 24, v31
	v_lshlrev_b32_e32 v2, 20, v2
	v_and_b32_e32 v15, 0x80000000, v15
	v_lshl_add_u32 v16, v16, 23, v62
	v_or3_b32 v2, v15, v16, v2
.LBB6_4958:                             ;   in Loop: Header=BB6_3657 Depth=2
	s_or_b64 exec, exec, s[34:35]
.LBB6_4959:                             ;   in Loop: Header=BB6_3657 Depth=2
	s_or_b64 exec, exec, s[30:31]
.LBB6_4960:                             ;   in Loop: Header=BB6_3657 Depth=2
	s_or_b64 exec, exec, s[94:95]
	v_and_b32_e32 v15, 0xff, v30
	v_cmp_ne_u16_e32 vcc, 0, v15
	s_and_saveexec_b64 s[94:95], vcc
	s_cbranch_execz .LBB6_4966
; %bb.4961:                             ;   in Loop: Header=BB6_3657 Depth=2
	v_cmp_ne_u16_e32 vcc, s53, v15
	v_bfrev_b32_e32 v3, 1
	s_and_saveexec_b64 s[30:31], vcc
	s_cbranch_execz .LBB6_4965
; %bb.4962:                             ;   in Loop: Header=BB6_3657 Depth=2
	v_and_b32_e32 v16, 0x7f, v30
	v_cmp_ne_u32_e32 vcc, s54, v16
	v_mov_b32_e32 v3, 0x7f800001
	s_and_saveexec_b64 s[34:35], vcc
	s_cbranch_execz .LBB6_4964
; %bb.4963:                             ;   in Loop: Header=BB6_3657 Depth=2
	v_and_b32_e32 v3, 7, v15
	v_lshrrev_b32_e32 v28, 3, v16
	v_cmp_gt_u32_e32 vcc, 8, v16
	v_ffbh_u32_e32 v16, v3
	v_min_u32_e32 v29, 32, v16
	v_subrev_u32_e32 v16, 28, v29
	v_lshlrev_b64 v[15:16], v16, v[15:16]
	v_sub_u32_e32 v16, 29, v29
	v_and_b32_e32 v15, 7, v15
	v_cndmask_b32_e32 v16, v28, v16, vcc
	v_cndmask_b32_e32 v3, v3, v15, vcc
	v_lshlrev_b32_e32 v15, 24, v30
	v_lshlrev_b32_e32 v3, 20, v3
	v_and_b32_e32 v15, 0x80000000, v15
	v_lshl_add_u32 v16, v16, 23, v62
	v_or3_b32 v3, v15, v16, v3
.LBB6_4964:                             ;   in Loop: Header=BB6_3657 Depth=2
	s_or_b64 exec, exec, s[34:35]
.LBB6_4965:                             ;   in Loop: Header=BB6_3657 Depth=2
	s_or_b64 exec, exec, s[30:31]
.LBB6_4966:                             ;   in Loop: Header=BB6_3657 Depth=2
	s_or_b64 exec, exec, s[94:95]
	v_max_f32_e32 v3, v3, v3
	v_max_f32_e32 v2, v2, v2
	;; [unrolled: 1-line block ×3, first 2 shown]
	s_mov_b64 s[94:95], 0
.LBB6_4967:                             ;   in Loop: Header=BB6_3657 Depth=2
	s_and_b64 vcc, exec, s[94:95]
	s_cbranch_vccz .LBB6_4981
; %bb.4968:                             ;   in Loop: Header=BB6_3657 Depth=2
	v_mov_b32_e32 v3, 0
	v_mov_b32_e32 v2, 0
	s_and_saveexec_b64 s[94:95], s[22:23]
	s_cbranch_execz .LBB6_4974
; %bb.4969:                             ;   in Loop: Header=BB6_3657 Depth=2
	v_cmp_ne_u16_e32 vcc, s53, v14
	v_bfrev_b32_e32 v2, 1
	s_and_saveexec_b64 s[22:23], vcc
	s_cbranch_execz .LBB6_4973
; %bb.4970:                             ;   in Loop: Header=BB6_3657 Depth=2
	v_and_b32_e32 v15, 0x7f, v31
	v_cmp_ne_u32_e32 vcc, s54, v15
	v_mov_b32_e32 v2, 0x7f800001
	s_and_saveexec_b64 s[30:31], vcc
	s_cbranch_execz .LBB6_4972
; %bb.4971:                             ;   in Loop: Header=BB6_3657 Depth=2
	v_and_b32_e32 v2, 7, v14
	v_lshrrev_b32_e32 v16, 3, v15
	v_cmp_gt_u32_e32 vcc, 8, v15
	v_ffbh_u32_e32 v15, v2
	v_min_u32_e32 v28, 32, v15
	v_subrev_u32_e32 v15, 28, v28
	v_lshlrev_b64 v[14:15], v15, v[14:15]
	v_sub_u32_e32 v15, 29, v28
	v_and_b32_e32 v14, 7, v14
	v_cndmask_b32_e32 v15, v16, v15, vcc
	v_cndmask_b32_e32 v2, v2, v14, vcc
	v_lshlrev_b32_e32 v14, 24, v31
	v_lshlrev_b32_e32 v2, 20, v2
	v_and_b32_e32 v14, 0x80000000, v14
	v_lshl_add_u32 v15, v15, 23, v62
	v_or3_b32 v2, v14, v15, v2
.LBB6_4972:                             ;   in Loop: Header=BB6_3657 Depth=2
	s_or_b64 exec, exec, s[30:31]
.LBB6_4973:                             ;   in Loop: Header=BB6_3657 Depth=2
	s_or_b64 exec, exec, s[22:23]
.LBB6_4974:                             ;   in Loop: Header=BB6_3657 Depth=2
	s_or_b64 exec, exec, s[94:95]
	v_and_b32_e32 v14, 0xff, v30
	v_cmp_ne_u16_e32 vcc, 0, v14
	s_and_saveexec_b64 s[22:23], vcc
	s_cbranch_execz .LBB6_4980
; %bb.4975:                             ;   in Loop: Header=BB6_3657 Depth=2
	v_cmp_ne_u16_e32 vcc, s53, v14
	v_bfrev_b32_e32 v3, 1
	s_and_saveexec_b64 s[94:95], vcc
	s_cbranch_execz .LBB6_4979
; %bb.4976:                             ;   in Loop: Header=BB6_3657 Depth=2
	v_and_b32_e32 v15, 0x7f, v30
	v_cmp_ne_u32_e32 vcc, s54, v15
	v_mov_b32_e32 v3, 0x7f800001
	s_and_saveexec_b64 s[30:31], vcc
	s_cbranch_execz .LBB6_4978
; %bb.4977:                             ;   in Loop: Header=BB6_3657 Depth=2
	v_and_b32_e32 v3, 7, v14
	v_lshrrev_b32_e32 v16, 3, v15
	v_cmp_gt_u32_e32 vcc, 8, v15
	v_ffbh_u32_e32 v15, v3
	v_min_u32_e32 v28, 32, v15
	v_subrev_u32_e32 v15, 28, v28
	v_lshlrev_b64 v[14:15], v15, v[14:15]
	v_sub_u32_e32 v15, 29, v28
	v_and_b32_e32 v14, 7, v14
	v_cndmask_b32_e32 v15, v16, v15, vcc
	v_cndmask_b32_e32 v3, v3, v14, vcc
	v_lshlrev_b32_e32 v14, 24, v30
	v_lshlrev_b32_e32 v3, 20, v3
	v_and_b32_e32 v14, 0x80000000, v14
	v_lshl_add_u32 v15, v15, 23, v62
	v_or3_b32 v3, v14, v15, v3
.LBB6_4978:                             ;   in Loop: Header=BB6_3657 Depth=2
	s_or_b64 exec, exec, s[30:31]
.LBB6_4979:                             ;   in Loop: Header=BB6_3657 Depth=2
	s_or_b64 exec, exec, s[94:95]
.LBB6_4980:                             ;   in Loop: Header=BB6_3657 Depth=2
	s_or_b64 exec, exec, s[22:23]
	v_max_f32_e32 v3, v3, v3
	v_max_f32_e32 v2, v2, v2
	v_min_f32_e32 v3, v2, v3
.LBB6_4981:                             ;   in Loop: Header=BB6_3657 Depth=2
	v_and_b32_e32 v60, 0x7f800000, v3
	v_cmp_ne_u64_e32 vcc, s[72:73], v[60:61]
                                        ; implicit-def: $vgpr28
	s_and_saveexec_b64 s[22:23], vcc
	s_xor_b64 s[94:95], exec, s[22:23]
	s_cbranch_execz .LBB6_4999
; %bb.4982:                             ;   in Loop: Header=BB6_3657 Depth=2
	v_and_b32_e32 v60, 0x7fffffff, v3
	v_cmp_gt_u64_e32 vcc, s[74:75], v[60:61]
	v_and_b32_sdwa v2, v3, s53 dst_sel:DWORD dst_unused:UNUSED_PAD src0_sel:BYTE_3 src1_sel:DWORD
                                        ; implicit-def: $vgpr28
	s_and_saveexec_b64 s[22:23], vcc
	s_xor_b64 s[30:31], exec, s[22:23]
	s_cbranch_execz .LBB6_4996
; %bb.4983:                             ;   in Loop: Header=BB6_3657 Depth=2
	v_cmp_ne_u32_e32 vcc, 0, v3
	v_mov_b32_e32 v28, 0
	s_and_saveexec_b64 s[34:35], vcc
	s_cbranch_execz .LBB6_4995
; %bb.4984:                             ;   in Loop: Header=BB6_3657 Depth=2
	v_and_b32_e32 v14, 0x7fffff, v3
	v_bfe_u32 v3, v3, 23, 8
	v_cmp_gt_u32_e64 s[22:23], s64, v3
	v_sub_u32_e32 v15, 0x79, v3
	v_cmp_eq_u32_e32 vcc, 0, v3
	v_cndmask_b32_e64 v15, 0, v15, s[22:23]
	v_mov_b32_e32 v28, 0x78
	v_or_b32_e32 v16, 0x800000, v14
	v_cndmask_b32_e32 v28, v15, v28, vcc
	v_cndmask_b32_e32 v60, v16, v14, vcc
	v_add_u32_e32 v14, 20, v28
	v_lshlrev_b64 v[14:15], v14, -1
	v_add_u32_e32 v16, 19, v28
	v_lshlrev_b64 v[29:30], v16, 1
	v_bfi_b32 v15, v15, 0, 0
	v_bfi_b32 v14, v14, 0, v60
	v_cmp_eq_u64_e64 s[22:23], v[14:15], v[29:30]
	v_lshrrev_b64 v[14:15], v28, v[60:61]
	v_mov_b32_e32 v16, v15
	v_mov_b32_e32 v15, v14
	s_and_saveexec_b64 s[36:37], s[22:23]
; %bb.4985:                             ;   in Loop: Header=BB6_3657 Depth=2
	v_bfe_u32 v15, v14, 20, 1
	v_add_co_u32_e64 v15, s[22:23], v14, v15
	v_add_co_u32_e64 v15, s[22:23], -1, v15
; %bb.4986:                             ;   in Loop: Header=BB6_3657 Depth=2
	s_or_b64 exec, exec, s[36:37]
	v_add_u32_e32 v3, 0xffffff81, v3
	v_cndmask_b32_e32 v3, v3, v41, vcc
	v_lshrrev_b32_e32 v16, 23, v14
	v_add3_u32 v28, v28, v3, v16
	v_add_u32_e32 v16, 6, v28
	v_and_b32_e32 v3, 0xfffff, v15
	v_add_u32_e32 v60, v3, v14
	v_cmp_ne_u32_e32 vcc, 0, v16
                                        ; implicit-def: $vgpr14_vgpr15
                                        ; implicit-def: $vgpr3
	s_and_saveexec_b64 s[22:23], vcc
	s_xor_b64 s[22:23], exec, s[22:23]
; %bb.4987:                             ;   in Loop: Header=BB6_3657 Depth=2
	v_cmp_lt_u64_e32 vcc, s[76:77], v[60:61]
	v_add_u32_e32 v3, 7, v28
	v_cndmask_b32_e64 v14, 0, 1, vcc
	v_lshrrev_b64 v[14:15], v14, v[60:61]
	v_cndmask_b32_e32 v3, v16, v3, vcc
; %bb.4988:                             ;   in Loop: Header=BB6_3657 Depth=2
	s_andn2_saveexec_b64 s[22:23], s[22:23]
; %bb.4989:                             ;   in Loop: Header=BB6_3657 Depth=2
	v_mov_b32_e32 v14, v60
	v_bfe_u32 v3, v60, 23, 1
	v_mov_b32_e32 v15, v61
; %bb.4990:                             ;   in Loop: Header=BB6_3657 Depth=2
	s_or_b64 exec, exec, s[22:23]
	v_lshrrev_b64 v[14:15], 20, v[14:15]
	v_cmp_gt_i32_e32 vcc, 16, v3
	v_cndmask_b32_e32 v15, 0, v15, vcc
	v_cndmask_b32_e32 v14, 7, v14, vcc
	v_cmp_ne_u64_e32 vcc, 0, v[14:15]
	v_cmp_ne_u32_e64 s[22:23], 0, v3
	s_or_b64 s[22:23], s[22:23], vcc
                                        ; implicit-def: $vgpr28
	s_and_saveexec_b64 vcc, s[22:23]
	s_xor_b64 s[22:23], exec, vcc
; %bb.4991:                             ;   in Loop: Header=BB6_3657 Depth=2
	v_min_i32_e32 v3, 15, v3
	v_lshl_or_b32 v2, v3, 3, v2
	v_and_or_b32 v28, v14, 7, v2
                                        ; implicit-def: $vgpr2
; %bb.4992:                             ;   in Loop: Header=BB6_3657 Depth=2
	s_andn2_saveexec_b64 s[22:23], s[22:23]
; %bb.4993:                             ;   in Loop: Header=BB6_3657 Depth=2
	v_mov_b32_e32 v28, v2
; %bb.4994:                             ;   in Loop: Header=BB6_3657 Depth=2
	s_or_b64 exec, exec, s[22:23]
.LBB6_4995:                             ;   in Loop: Header=BB6_3657 Depth=2
	s_or_b64 exec, exec, s[34:35]
                                        ; implicit-def: $vgpr2
.LBB6_4996:                             ;   in Loop: Header=BB6_3657 Depth=2
	s_andn2_saveexec_b64 s[22:23], s[30:31]
; %bb.4997:                             ;   in Loop: Header=BB6_3657 Depth=2
	v_or_b32_e32 v28, 0x7e, v2
; %bb.4998:                             ;   in Loop: Header=BB6_3657 Depth=2
	s_or_b64 exec, exec, s[22:23]
                                        ; implicit-def: $vgpr3
.LBB6_4999:                             ;   in Loop: Header=BB6_3657 Depth=2
	s_andn2_saveexec_b64 s[22:23], s[94:95]
; %bb.5000:                             ;   in Loop: Header=BB6_3657 Depth=2
	v_or_b32_sdwa v28, v3, s54 dst_sel:DWORD dst_unused:UNUSED_PAD src0_sel:BYTE_3 src1_sel:DWORD
; %bb.5001:                             ;   in Loop: Header=BB6_3657 Depth=2
	s_or_b64 exec, exec, s[22:23]
	v_and_b32_e32 v14, 0xff, v38
	v_cmp_ne_u16_e64 s[22:23], 0, v14
	s_and_b64 vcc, exec, s[20:21]
	s_mov_b64 s[94:95], -1
                                        ; implicit-def: $vgpr15
	s_cbranch_vccnz .LBB6_5015
; %bb.5002:                             ;   in Loop: Header=BB6_3657 Depth=2
	v_mov_b32_e32 v3, 0
	v_mov_b32_e32 v2, 0
	s_and_saveexec_b64 s[94:95], s[22:23]
	s_cbranch_execz .LBB6_5008
; %bb.5003:                             ;   in Loop: Header=BB6_3657 Depth=2
	v_cmp_ne_u16_e32 vcc, s53, v14
	v_bfrev_b32_e32 v2, 1
	s_and_saveexec_b64 s[30:31], vcc
	s_cbranch_execz .LBB6_5007
; %bb.5004:                             ;   in Loop: Header=BB6_3657 Depth=2
	v_and_b32_e32 v15, 0x7f, v38
	v_cmp_ne_u32_e32 vcc, s54, v15
	v_mov_b32_e32 v2, 0x7f800001
	s_and_saveexec_b64 s[34:35], vcc
	s_cbranch_execz .LBB6_5006
; %bb.5005:                             ;   in Loop: Header=BB6_3657 Depth=2
	v_and_b32_e32 v2, 7, v14
	v_lshrrev_b32_e32 v29, 3, v15
	v_cmp_gt_u32_e32 vcc, 8, v15
	v_ffbh_u32_e32 v15, v2
	v_min_u32_e32 v30, 32, v15
	v_subrev_u32_e32 v15, 28, v30
	v_lshlrev_b64 v[15:16], v15, v[14:15]
	v_sub_u32_e32 v16, 29, v30
	v_and_b32_e32 v15, 7, v15
	v_cndmask_b32_e32 v16, v29, v16, vcc
	v_cndmask_b32_e32 v2, v2, v15, vcc
	v_lshlrev_b32_e32 v15, 24, v38
	v_lshlrev_b32_e32 v2, 20, v2
	v_and_b32_e32 v15, 0x80000000, v15
	v_lshl_add_u32 v16, v16, 23, v62
	v_or3_b32 v2, v15, v16, v2
.LBB6_5006:                             ;   in Loop: Header=BB6_3657 Depth=2
	s_or_b64 exec, exec, s[34:35]
.LBB6_5007:                             ;   in Loop: Header=BB6_3657 Depth=2
	s_or_b64 exec, exec, s[30:31]
.LBB6_5008:                             ;   in Loop: Header=BB6_3657 Depth=2
	s_or_b64 exec, exec, s[94:95]
	v_and_b32_e32 v15, 0xff, v37
	v_cmp_ne_u16_e32 vcc, 0, v15
	s_and_saveexec_b64 s[94:95], vcc
	s_cbranch_execz .LBB6_5014
; %bb.5009:                             ;   in Loop: Header=BB6_3657 Depth=2
	v_cmp_ne_u16_e32 vcc, s53, v15
	v_bfrev_b32_e32 v3, 1
	s_and_saveexec_b64 s[30:31], vcc
	s_cbranch_execz .LBB6_5013
; %bb.5010:                             ;   in Loop: Header=BB6_3657 Depth=2
	v_and_b32_e32 v16, 0x7f, v37
	v_cmp_ne_u32_e32 vcc, s54, v16
	v_mov_b32_e32 v3, 0x7f800001
	s_and_saveexec_b64 s[34:35], vcc
	s_cbranch_execz .LBB6_5012
; %bb.5011:                             ;   in Loop: Header=BB6_3657 Depth=2
	v_and_b32_e32 v3, 7, v15
	v_lshrrev_b32_e32 v29, 3, v16
	v_cmp_gt_u32_e32 vcc, 8, v16
	v_ffbh_u32_e32 v16, v3
	v_min_u32_e32 v30, 32, v16
	v_subrev_u32_e32 v16, 28, v30
	v_lshlrev_b64 v[15:16], v16, v[15:16]
	v_sub_u32_e32 v16, 29, v30
	v_and_b32_e32 v15, 7, v15
	v_cndmask_b32_e32 v16, v29, v16, vcc
	v_cndmask_b32_e32 v3, v3, v15, vcc
	v_lshlrev_b32_e32 v15, 24, v37
	v_lshlrev_b32_e32 v3, 20, v3
	v_and_b32_e32 v15, 0x80000000, v15
	v_lshl_add_u32 v16, v16, 23, v62
	v_or3_b32 v3, v15, v16, v3
.LBB6_5012:                             ;   in Loop: Header=BB6_3657 Depth=2
	s_or_b64 exec, exec, s[34:35]
.LBB6_5013:                             ;   in Loop: Header=BB6_3657 Depth=2
	s_or_b64 exec, exec, s[30:31]
.LBB6_5014:                             ;   in Loop: Header=BB6_3657 Depth=2
	s_or_b64 exec, exec, s[94:95]
	v_max_f32_e32 v3, v3, v3
	v_max_f32_e32 v2, v2, v2
	;; [unrolled: 1-line block ×3, first 2 shown]
	s_mov_b64 s[94:95], 0
.LBB6_5015:                             ;   in Loop: Header=BB6_3657 Depth=2
	s_and_b64 vcc, exec, s[94:95]
	s_cbranch_vccz .LBB6_5029
; %bb.5016:                             ;   in Loop: Header=BB6_3657 Depth=2
	v_mov_b32_e32 v3, 0
	v_mov_b32_e32 v2, 0
	s_and_saveexec_b64 s[94:95], s[22:23]
	s_cbranch_execz .LBB6_5022
; %bb.5017:                             ;   in Loop: Header=BB6_3657 Depth=2
	v_cmp_ne_u16_e32 vcc, s53, v14
	v_bfrev_b32_e32 v2, 1
	s_and_saveexec_b64 s[22:23], vcc
	s_cbranch_execz .LBB6_5021
; %bb.5018:                             ;   in Loop: Header=BB6_3657 Depth=2
	v_and_b32_e32 v15, 0x7f, v38
	v_cmp_ne_u32_e32 vcc, s54, v15
	v_mov_b32_e32 v2, 0x7f800001
	s_and_saveexec_b64 s[30:31], vcc
	s_cbranch_execz .LBB6_5020
; %bb.5019:                             ;   in Loop: Header=BB6_3657 Depth=2
	v_and_b32_e32 v2, 7, v14
	v_lshrrev_b32_e32 v16, 3, v15
	v_cmp_gt_u32_e32 vcc, 8, v15
	v_ffbh_u32_e32 v15, v2
	v_min_u32_e32 v29, 32, v15
	v_subrev_u32_e32 v15, 28, v29
	v_lshlrev_b64 v[14:15], v15, v[14:15]
	v_sub_u32_e32 v15, 29, v29
	v_and_b32_e32 v14, 7, v14
	v_cndmask_b32_e32 v15, v16, v15, vcc
	v_cndmask_b32_e32 v2, v2, v14, vcc
	v_lshlrev_b32_e32 v14, 24, v38
	v_lshlrev_b32_e32 v2, 20, v2
	v_and_b32_e32 v14, 0x80000000, v14
	v_lshl_add_u32 v15, v15, 23, v62
	v_or3_b32 v2, v14, v15, v2
.LBB6_5020:                             ;   in Loop: Header=BB6_3657 Depth=2
	s_or_b64 exec, exec, s[30:31]
.LBB6_5021:                             ;   in Loop: Header=BB6_3657 Depth=2
	s_or_b64 exec, exec, s[22:23]
.LBB6_5022:                             ;   in Loop: Header=BB6_3657 Depth=2
	s_or_b64 exec, exec, s[94:95]
	v_and_b32_e32 v14, 0xff, v37
	v_cmp_ne_u16_e32 vcc, 0, v14
	s_and_saveexec_b64 s[22:23], vcc
	s_cbranch_execz .LBB6_5028
; %bb.5023:                             ;   in Loop: Header=BB6_3657 Depth=2
	v_cmp_ne_u16_e32 vcc, s53, v14
	v_bfrev_b32_e32 v3, 1
	s_and_saveexec_b64 s[94:95], vcc
	s_cbranch_execz .LBB6_5027
; %bb.5024:                             ;   in Loop: Header=BB6_3657 Depth=2
	v_and_b32_e32 v15, 0x7f, v37
	v_cmp_ne_u32_e32 vcc, s54, v15
	v_mov_b32_e32 v3, 0x7f800001
	s_and_saveexec_b64 s[30:31], vcc
	s_cbranch_execz .LBB6_5026
; %bb.5025:                             ;   in Loop: Header=BB6_3657 Depth=2
	v_and_b32_e32 v3, 7, v14
	v_lshrrev_b32_e32 v16, 3, v15
	v_cmp_gt_u32_e32 vcc, 8, v15
	v_ffbh_u32_e32 v15, v3
	v_min_u32_e32 v29, 32, v15
	v_subrev_u32_e32 v15, 28, v29
	v_lshlrev_b64 v[14:15], v15, v[14:15]
	v_sub_u32_e32 v15, 29, v29
	v_and_b32_e32 v14, 7, v14
	v_cndmask_b32_e32 v15, v16, v15, vcc
	v_cndmask_b32_e32 v3, v3, v14, vcc
	v_lshlrev_b32_e32 v14, 24, v37
	v_lshlrev_b32_e32 v3, 20, v3
	v_and_b32_e32 v14, 0x80000000, v14
	v_lshl_add_u32 v15, v15, 23, v62
	v_or3_b32 v3, v14, v15, v3
.LBB6_5026:                             ;   in Loop: Header=BB6_3657 Depth=2
	s_or_b64 exec, exec, s[30:31]
.LBB6_5027:                             ;   in Loop: Header=BB6_3657 Depth=2
	s_or_b64 exec, exec, s[94:95]
.LBB6_5028:                             ;   in Loop: Header=BB6_3657 Depth=2
	s_or_b64 exec, exec, s[22:23]
	v_max_f32_e32 v3, v3, v3
	v_max_f32_e32 v2, v2, v2
	v_min_f32_e32 v15, v2, v3
.LBB6_5029:                             ;   in Loop: Header=BB6_3657 Depth=2
	v_and_b32_e32 v60, 0x7f800000, v15
	v_cmp_ne_u64_e32 vcc, s[72:73], v[60:61]
                                        ; implicit-def: $vgpr2
	s_and_saveexec_b64 s[22:23], vcc
	s_xor_b64 s[94:95], exec, s[22:23]
	s_cbranch_execz .LBB6_5047
; %bb.5030:                             ;   in Loop: Header=BB6_3657 Depth=2
	v_and_b32_e32 v60, 0x7fffffff, v15
	v_cmp_gt_u64_e32 vcc, s[74:75], v[60:61]
	v_and_b32_sdwa v3, v15, s53 dst_sel:DWORD dst_unused:UNUSED_PAD src0_sel:BYTE_3 src1_sel:DWORD
                                        ; implicit-def: $vgpr2
	s_and_saveexec_b64 s[22:23], vcc
	s_xor_b64 s[30:31], exec, s[22:23]
	s_cbranch_execz .LBB6_5044
; %bb.5031:                             ;   in Loop: Header=BB6_3657 Depth=2
	v_cmp_ne_u32_e32 vcc, 0, v15
	v_mov_b32_e32 v2, 0
	s_and_saveexec_b64 s[34:35], vcc
	s_cbranch_execz .LBB6_5043
; %bb.5032:                             ;   in Loop: Header=BB6_3657 Depth=2
	v_bfe_u32 v2, v15, 23, 8
	v_and_b32_e32 v14, 0x7fffff, v15
	v_cmp_gt_u32_e64 s[22:23], s64, v2
	v_sub_u32_e32 v15, 0x79, v2
	v_cmp_eq_u32_e32 vcc, 0, v2
	v_cndmask_b32_e64 v15, 0, v15, s[22:23]
	v_mov_b32_e32 v29, 0x78
	v_or_b32_e32 v16, 0x800000, v14
	v_cndmask_b32_e32 v29, v15, v29, vcc
	v_cndmask_b32_e32 v60, v16, v14, vcc
	v_add_u32_e32 v14, 20, v29
	v_lshlrev_b64 v[14:15], v14, -1
	v_add_u32_e32 v16, 19, v29
	v_lshlrev_b64 v[30:31], v16, 1
	v_bfi_b32 v15, v15, 0, 0
	v_bfi_b32 v14, v14, 0, v60
	v_cmp_eq_u64_e64 s[22:23], v[14:15], v[30:31]
	v_lshrrev_b64 v[14:15], v29, v[60:61]
	v_mov_b32_e32 v16, v15
	v_mov_b32_e32 v15, v14
	s_and_saveexec_b64 s[36:37], s[22:23]
; %bb.5033:                             ;   in Loop: Header=BB6_3657 Depth=2
	v_bfe_u32 v15, v14, 20, 1
	v_add_co_u32_e64 v15, s[22:23], v14, v15
	v_add_co_u32_e64 v15, s[22:23], -1, v15
; %bb.5034:                             ;   in Loop: Header=BB6_3657 Depth=2
	s_or_b64 exec, exec, s[36:37]
	v_add_u32_e32 v2, 0xffffff81, v2
	v_cndmask_b32_e32 v2, v2, v41, vcc
	v_lshrrev_b32_e32 v16, 23, v14
	v_add3_u32 v29, v29, v2, v16
	v_add_u32_e32 v2, 6, v29
	v_and_b32_e32 v15, 0xfffff, v15
	v_add_u32_e32 v60, v15, v14
	v_cmp_ne_u32_e32 vcc, 0, v2
                                        ; implicit-def: $vgpr14_vgpr15
                                        ; implicit-def: $vgpr16
	s_and_saveexec_b64 s[22:23], vcc
	s_xor_b64 s[22:23], exec, s[22:23]
; %bb.5035:                             ;   in Loop: Header=BB6_3657 Depth=2
	v_cmp_lt_u64_e32 vcc, s[76:77], v[60:61]
	v_add_u32_e32 v14, 7, v29
	v_cndmask_b32_e32 v16, v2, v14, vcc
	v_cndmask_b32_e64 v2, 0, 1, vcc
	v_lshrrev_b64 v[14:15], v2, v[60:61]
; %bb.5036:                             ;   in Loop: Header=BB6_3657 Depth=2
	s_andn2_saveexec_b64 s[22:23], s[22:23]
; %bb.5037:                             ;   in Loop: Header=BB6_3657 Depth=2
	v_mov_b32_e32 v14, v60
	v_bfe_u32 v16, v60, 23, 1
	v_mov_b32_e32 v15, v61
; %bb.5038:                             ;   in Loop: Header=BB6_3657 Depth=2
	s_or_b64 exec, exec, s[22:23]
	v_lshrrev_b64 v[14:15], 20, v[14:15]
	v_cmp_gt_i32_e32 vcc, 16, v16
	v_cndmask_b32_e32 v15, 0, v15, vcc
	v_cndmask_b32_e32 v14, 7, v14, vcc
	v_cmp_ne_u64_e32 vcc, 0, v[14:15]
	v_cmp_ne_u32_e64 s[22:23], 0, v16
	s_or_b64 s[22:23], s[22:23], vcc
                                        ; implicit-def: $vgpr2
	s_and_saveexec_b64 vcc, s[22:23]
	s_xor_b64 s[22:23], exec, vcc
; %bb.5039:                             ;   in Loop: Header=BB6_3657 Depth=2
	v_min_i32_e32 v2, 15, v16
	v_lshl_or_b32 v2, v2, 3, v3
	v_and_or_b32 v2, v14, 7, v2
                                        ; implicit-def: $vgpr3
; %bb.5040:                             ;   in Loop: Header=BB6_3657 Depth=2
	s_andn2_saveexec_b64 s[22:23], s[22:23]
; %bb.5041:                             ;   in Loop: Header=BB6_3657 Depth=2
	v_mov_b32_e32 v2, v3
; %bb.5042:                             ;   in Loop: Header=BB6_3657 Depth=2
	s_or_b64 exec, exec, s[22:23]
.LBB6_5043:                             ;   in Loop: Header=BB6_3657 Depth=2
	s_or_b64 exec, exec, s[34:35]
                                        ; implicit-def: $vgpr3
.LBB6_5044:                             ;   in Loop: Header=BB6_3657 Depth=2
	s_andn2_saveexec_b64 s[22:23], s[30:31]
; %bb.5045:                             ;   in Loop: Header=BB6_3657 Depth=2
	v_or_b32_e32 v2, 0x7e, v3
; %bb.5046:                             ;   in Loop: Header=BB6_3657 Depth=2
	s_or_b64 exec, exec, s[22:23]
                                        ; implicit-def: $vgpr15
.LBB6_5047:                             ;   in Loop: Header=BB6_3657 Depth=2
	s_andn2_saveexec_b64 s[22:23], s[94:95]
; %bb.5048:                             ;   in Loop: Header=BB6_3657 Depth=2
	v_or_b32_sdwa v2, v15, s54 dst_sel:DWORD dst_unused:UNUSED_PAD src0_sel:BYTE_3 src1_sel:DWORD
; %bb.5049:                             ;   in Loop: Header=BB6_3657 Depth=2
	s_or_b64 exec, exec, s[22:23]
	v_and_b32_e32 v14, 0xff, v36
	v_cmp_ne_u16_e64 s[22:23], 0, v14
	s_and_b64 vcc, exec, s[20:21]
	s_mov_b64 s[94:95], -1
                                        ; implicit-def: $vgpr15
	s_cbranch_vccnz .LBB6_5063
; %bb.5050:                             ;   in Loop: Header=BB6_3657 Depth=2
	v_mov_b32_e32 v16, 0
	v_mov_b32_e32 v3, 0
	s_and_saveexec_b64 s[94:95], s[22:23]
	s_cbranch_execz .LBB6_5056
; %bb.5051:                             ;   in Loop: Header=BB6_3657 Depth=2
	v_cmp_ne_u16_e32 vcc, s53, v14
	v_bfrev_b32_e32 v3, 1
	s_and_saveexec_b64 s[30:31], vcc
	s_cbranch_execz .LBB6_5055
; %bb.5052:                             ;   in Loop: Header=BB6_3657 Depth=2
	v_and_b32_e32 v15, 0x7f, v36
	v_cmp_ne_u32_e32 vcc, s54, v15
	v_mov_b32_e32 v3, 0x7f800001
	s_and_saveexec_b64 s[34:35], vcc
	s_cbranch_execz .LBB6_5054
; %bb.5053:                             ;   in Loop: Header=BB6_3657 Depth=2
	v_and_b32_e32 v3, 7, v14
	v_lshrrev_b32_e32 v31, 3, v15
	v_cmp_gt_u32_e32 vcc, 8, v15
	v_ffbh_u32_e32 v15, v3
	v_min_u32_e32 v15, 32, v15
	v_subrev_u32_e32 v29, 28, v15
	v_lshlrev_b64 v[29:30], v29, v[14:15]
	v_sub_u32_e32 v15, 29, v15
	v_and_b32_e32 v29, 7, v29
	v_cndmask_b32_e32 v15, v31, v15, vcc
	v_cndmask_b32_e32 v3, v3, v29, vcc
	v_lshlrev_b32_e32 v29, 24, v36
	v_lshlrev_b32_e32 v3, 20, v3
	v_and_b32_e32 v29, 0x80000000, v29
	v_lshl_add_u32 v15, v15, 23, v62
	v_or3_b32 v3, v29, v15, v3
.LBB6_5054:                             ;   in Loop: Header=BB6_3657 Depth=2
	s_or_b64 exec, exec, s[34:35]
.LBB6_5055:                             ;   in Loop: Header=BB6_3657 Depth=2
	s_or_b64 exec, exec, s[30:31]
.LBB6_5056:                             ;   in Loop: Header=BB6_3657 Depth=2
	s_or_b64 exec, exec, s[94:95]
	v_and_b32_e32 v15, 0xff, v32
	v_cmp_ne_u16_e32 vcc, 0, v15
	s_and_saveexec_b64 s[94:95], vcc
	s_cbranch_execz .LBB6_5062
; %bb.5057:                             ;   in Loop: Header=BB6_3657 Depth=2
	v_cmp_ne_u16_e32 vcc, s53, v15
	v_bfrev_b32_e32 v16, 1
	s_and_saveexec_b64 s[30:31], vcc
	s_cbranch_execz .LBB6_5061
; %bb.5058:                             ;   in Loop: Header=BB6_3657 Depth=2
	v_and_b32_e32 v29, 0x7f, v32
	v_cmp_ne_u32_e32 vcc, s54, v29
	v_mov_b32_e32 v16, 0x7f800001
	s_and_saveexec_b64 s[34:35], vcc
	s_cbranch_execz .LBB6_5060
; %bb.5059:                             ;   in Loop: Header=BB6_3657 Depth=2
	v_and_b32_e32 v30, 7, v15
	v_ffbh_u32_e32 v16, v30
	v_lshrrev_b32_e32 v31, 3, v29
	v_cmp_gt_u32_e32 vcc, 8, v29
	v_min_u32_e32 v29, 32, v16
	v_subrev_u32_e32 v16, 28, v29
	v_lshlrev_b64 v[15:16], v16, v[15:16]
	v_sub_u32_e32 v16, 29, v29
	v_and_b32_e32 v15, 7, v15
	v_cndmask_b32_e32 v16, v31, v16, vcc
	v_cndmask_b32_e32 v15, v30, v15, vcc
	v_lshlrev_b32_e32 v29, 24, v32
	v_lshlrev_b32_e32 v15, 20, v15
	v_and_b32_e32 v29, 0x80000000, v29
	v_lshl_add_u32 v16, v16, 23, v62
	v_or3_b32 v16, v29, v16, v15
.LBB6_5060:                             ;   in Loop: Header=BB6_3657 Depth=2
	s_or_b64 exec, exec, s[34:35]
.LBB6_5061:                             ;   in Loop: Header=BB6_3657 Depth=2
	s_or_b64 exec, exec, s[30:31]
.LBB6_5062:                             ;   in Loop: Header=BB6_3657 Depth=2
	s_or_b64 exec, exec, s[94:95]
	v_max_f32_e32 v15, v16, v16
	v_max_f32_e32 v3, v3, v3
	;; [unrolled: 1-line block ×3, first 2 shown]
	s_mov_b64 s[94:95], 0
.LBB6_5063:                             ;   in Loop: Header=BB6_3657 Depth=2
	s_and_b64 vcc, exec, s[94:95]
	s_cbranch_vccz .LBB6_5077
; %bb.5064:                             ;   in Loop: Header=BB6_3657 Depth=2
	v_mov_b32_e32 v15, 0
	v_mov_b32_e32 v3, 0
	s_and_saveexec_b64 s[94:95], s[22:23]
	s_cbranch_execz .LBB6_5070
; %bb.5065:                             ;   in Loop: Header=BB6_3657 Depth=2
	v_cmp_ne_u16_e32 vcc, s53, v14
	v_bfrev_b32_e32 v3, 1
	s_and_saveexec_b64 s[22:23], vcc
	s_cbranch_execz .LBB6_5069
; %bb.5066:                             ;   in Loop: Header=BB6_3657 Depth=2
	v_and_b32_e32 v16, 0x7f, v36
	v_cmp_ne_u32_e32 vcc, s54, v16
	v_mov_b32_e32 v3, 0x7f800001
	s_and_saveexec_b64 s[30:31], vcc
	s_cbranch_execz .LBB6_5068
; %bb.5067:                             ;   in Loop: Header=BB6_3657 Depth=2
	v_and_b32_e32 v3, 7, v14
	v_lshrrev_b32_e32 v31, 3, v16
	v_cmp_gt_u32_e32 vcc, 8, v16
	v_ffbh_u32_e32 v16, v3
	v_min_u32_e32 v16, 32, v16
	v_subrev_u32_e32 v29, 28, v16
	v_lshlrev_b64 v[29:30], v29, v[14:15]
	v_sub_u32_e32 v14, 29, v16
	v_and_b32_e32 v16, 7, v29
	v_cndmask_b32_e32 v14, v31, v14, vcc
	v_cndmask_b32_e32 v3, v3, v16, vcc
	v_lshlrev_b32_e32 v16, 24, v36
	v_lshlrev_b32_e32 v3, 20, v3
	v_and_b32_e32 v16, 0x80000000, v16
	v_lshl_add_u32 v14, v14, 23, v62
	v_or3_b32 v3, v16, v14, v3
.LBB6_5068:                             ;   in Loop: Header=BB6_3657 Depth=2
	s_or_b64 exec, exec, s[30:31]
.LBB6_5069:                             ;   in Loop: Header=BB6_3657 Depth=2
	s_or_b64 exec, exec, s[22:23]
.LBB6_5070:                             ;   in Loop: Header=BB6_3657 Depth=2
	s_or_b64 exec, exec, s[94:95]
	v_and_b32_e32 v14, 0xff, v32
	v_cmp_ne_u16_e32 vcc, 0, v14
	s_and_saveexec_b64 s[22:23], vcc
	s_cbranch_execz .LBB6_5076
; %bb.5071:                             ;   in Loop: Header=BB6_3657 Depth=2
	v_cmp_ne_u16_e32 vcc, s53, v14
	v_bfrev_b32_e32 v15, 1
	s_and_saveexec_b64 s[94:95], vcc
	s_cbranch_execz .LBB6_5075
; %bb.5072:                             ;   in Loop: Header=BB6_3657 Depth=2
	v_and_b32_e32 v16, 0x7f, v32
	v_cmp_ne_u32_e32 vcc, s54, v16
	v_mov_b32_e32 v15, 0x7f800001
	s_and_saveexec_b64 s[30:31], vcc
	s_cbranch_execz .LBB6_5074
; %bb.5073:                             ;   in Loop: Header=BB6_3657 Depth=2
	v_and_b32_e32 v29, 7, v14
	v_ffbh_u32_e32 v15, v29
	v_lshrrev_b32_e32 v30, 3, v16
	v_cmp_gt_u32_e32 vcc, 8, v16
	v_min_u32_e32 v16, 32, v15
	v_subrev_u32_e32 v15, 28, v16
	v_lshlrev_b64 v[14:15], v15, v[14:15]
	v_sub_u32_e32 v15, 29, v16
	v_and_b32_e32 v14, 7, v14
	v_cndmask_b32_e32 v15, v30, v15, vcc
	v_cndmask_b32_e32 v14, v29, v14, vcc
	v_lshlrev_b32_e32 v16, 24, v32
	v_lshlrev_b32_e32 v14, 20, v14
	v_and_b32_e32 v16, 0x80000000, v16
	v_lshl_add_u32 v15, v15, 23, v62
	v_or3_b32 v15, v16, v15, v14
.LBB6_5074:                             ;   in Loop: Header=BB6_3657 Depth=2
	s_or_b64 exec, exec, s[30:31]
.LBB6_5075:                             ;   in Loop: Header=BB6_3657 Depth=2
	s_or_b64 exec, exec, s[94:95]
.LBB6_5076:                             ;   in Loop: Header=BB6_3657 Depth=2
	s_or_b64 exec, exec, s[22:23]
	v_max_f32_e32 v14, v15, v15
	v_max_f32_e32 v3, v3, v3
	v_min_f32_e32 v15, v3, v14
.LBB6_5077:                             ;   in Loop: Header=BB6_3657 Depth=2
	v_and_b32_e32 v60, 0x7f800000, v15
	v_cmp_ne_u64_e32 vcc, s[72:73], v[60:61]
                                        ; implicit-def: $vgpr3
	s_and_saveexec_b64 s[22:23], vcc
	s_xor_b64 s[94:95], exec, s[22:23]
	s_cbranch_execz .LBB6_5095
; %bb.5078:                             ;   in Loop: Header=BB6_3657 Depth=2
	v_and_b32_e32 v60, 0x7fffffff, v15
	v_cmp_gt_u64_e32 vcc, s[74:75], v[60:61]
	v_and_b32_sdwa v29, v15, s53 dst_sel:DWORD dst_unused:UNUSED_PAD src0_sel:BYTE_3 src1_sel:DWORD
                                        ; implicit-def: $vgpr3
	s_and_saveexec_b64 s[22:23], vcc
	s_xor_b64 s[30:31], exec, s[22:23]
	s_cbranch_execz .LBB6_5092
; %bb.5079:                             ;   in Loop: Header=BB6_3657 Depth=2
	v_cmp_ne_u32_e32 vcc, 0, v15
	v_mov_b32_e32 v3, 0
	s_and_saveexec_b64 s[34:35], vcc
	s_cbranch_execz .LBB6_5091
; %bb.5080:                             ;   in Loop: Header=BB6_3657 Depth=2
	v_bfe_u32 v3, v15, 23, 8
	v_and_b32_e32 v14, 0x7fffff, v15
	v_cmp_gt_u32_e64 s[22:23], s64, v3
	v_sub_u32_e32 v15, 0x79, v3
	v_cmp_eq_u32_e32 vcc, 0, v3
	v_cndmask_b32_e64 v15, 0, v15, s[22:23]
	v_mov_b32_e32 v30, 0x78
	v_or_b32_e32 v16, 0x800000, v14
	v_cndmask_b32_e32 v30, v15, v30, vcc
	v_cndmask_b32_e32 v60, v16, v14, vcc
	v_add_u32_e32 v14, 20, v30
	v_lshlrev_b64 v[14:15], v14, -1
	v_add_u32_e32 v16, 19, v30
	v_lshlrev_b64 v[31:32], v16, 1
	v_bfi_b32 v15, v15, 0, 0
	v_bfi_b32 v14, v14, 0, v60
	v_cmp_eq_u64_e64 s[22:23], v[14:15], v[31:32]
	v_lshrrev_b64 v[14:15], v30, v[60:61]
	v_mov_b32_e32 v16, v15
	v_mov_b32_e32 v15, v14
	s_and_saveexec_b64 s[36:37], s[22:23]
; %bb.5081:                             ;   in Loop: Header=BB6_3657 Depth=2
	v_bfe_u32 v15, v14, 20, 1
	v_add_co_u32_e64 v15, s[22:23], v14, v15
	v_add_co_u32_e64 v15, s[22:23], -1, v15
; %bb.5082:                             ;   in Loop: Header=BB6_3657 Depth=2
	s_or_b64 exec, exec, s[36:37]
	v_add_u32_e32 v3, 0xffffff81, v3
	v_cndmask_b32_e32 v3, v3, v41, vcc
	v_lshrrev_b32_e32 v16, 23, v14
	v_add3_u32 v30, v30, v3, v16
	v_add_u32_e32 v3, 6, v30
	v_and_b32_e32 v15, 0xfffff, v15
	v_add_u32_e32 v60, v15, v14
	v_cmp_ne_u32_e32 vcc, 0, v3
                                        ; implicit-def: $vgpr14_vgpr15
                                        ; implicit-def: $vgpr16
	s_and_saveexec_b64 s[22:23], vcc
	s_xor_b64 s[22:23], exec, s[22:23]
; %bb.5083:                             ;   in Loop: Header=BB6_3657 Depth=2
	v_cmp_lt_u64_e32 vcc, s[76:77], v[60:61]
	v_add_u32_e32 v14, 7, v30
	v_cndmask_b32_e32 v16, v3, v14, vcc
	v_cndmask_b32_e64 v3, 0, 1, vcc
	v_lshrrev_b64 v[14:15], v3, v[60:61]
; %bb.5084:                             ;   in Loop: Header=BB6_3657 Depth=2
	s_andn2_saveexec_b64 s[22:23], s[22:23]
; %bb.5085:                             ;   in Loop: Header=BB6_3657 Depth=2
	v_mov_b32_e32 v14, v60
	v_bfe_u32 v16, v60, 23, 1
	v_mov_b32_e32 v15, v61
; %bb.5086:                             ;   in Loop: Header=BB6_3657 Depth=2
	s_or_b64 exec, exec, s[22:23]
	v_lshrrev_b64 v[14:15], 20, v[14:15]
	v_cmp_gt_i32_e32 vcc, 16, v16
	v_cndmask_b32_e32 v15, 0, v15, vcc
	v_cndmask_b32_e32 v14, 7, v14, vcc
	v_cmp_ne_u64_e32 vcc, 0, v[14:15]
	v_cmp_ne_u32_e64 s[22:23], 0, v16
	s_or_b64 s[22:23], s[22:23], vcc
                                        ; implicit-def: $vgpr3
	s_and_saveexec_b64 vcc, s[22:23]
	s_xor_b64 s[22:23], exec, vcc
; %bb.5087:                             ;   in Loop: Header=BB6_3657 Depth=2
	v_min_i32_e32 v3, 15, v16
	v_lshl_or_b32 v3, v3, 3, v29
	v_and_or_b32 v3, v14, 7, v3
                                        ; implicit-def: $vgpr29
; %bb.5088:                             ;   in Loop: Header=BB6_3657 Depth=2
	s_andn2_saveexec_b64 s[22:23], s[22:23]
; %bb.5089:                             ;   in Loop: Header=BB6_3657 Depth=2
	v_mov_b32_e32 v3, v29
; %bb.5090:                             ;   in Loop: Header=BB6_3657 Depth=2
	s_or_b64 exec, exec, s[22:23]
.LBB6_5091:                             ;   in Loop: Header=BB6_3657 Depth=2
	s_or_b64 exec, exec, s[34:35]
                                        ; implicit-def: $vgpr29
.LBB6_5092:                             ;   in Loop: Header=BB6_3657 Depth=2
	s_andn2_saveexec_b64 s[22:23], s[30:31]
; %bb.5093:                             ;   in Loop: Header=BB6_3657 Depth=2
	v_or_b32_e32 v3, 0x7e, v29
; %bb.5094:                             ;   in Loop: Header=BB6_3657 Depth=2
	s_or_b64 exec, exec, s[22:23]
                                        ; implicit-def: $vgpr15
.LBB6_5095:                             ;   in Loop: Header=BB6_3657 Depth=2
	s_andn2_saveexec_b64 s[22:23], s[94:95]
; %bb.5096:                             ;   in Loop: Header=BB6_3657 Depth=2
	v_or_b32_sdwa v3, v15, s54 dst_sel:DWORD dst_unused:UNUSED_PAD src0_sel:BYTE_3 src1_sel:DWORD
; %bb.5097:                             ;   in Loop: Header=BB6_3657 Depth=2
	s_or_b64 exec, exec, s[22:23]
	v_and_b32_e32 v14, 0xff, v35
	v_cmp_ne_u16_e64 s[22:23], 0, v14
	s_and_b64 vcc, exec, s[20:21]
	s_mov_b64 s[94:95], -1
                                        ; implicit-def: $vgpr15
	s_cbranch_vccnz .LBB6_5111
; %bb.5098:                             ;   in Loop: Header=BB6_3657 Depth=2
	v_mov_b32_e32 v29, 0
	v_mov_b32_e32 v16, 0
	s_and_saveexec_b64 s[94:95], s[22:23]
	s_cbranch_execz .LBB6_5104
; %bb.5099:                             ;   in Loop: Header=BB6_3657 Depth=2
	v_cmp_ne_u16_e32 vcc, s53, v14
	v_bfrev_b32_e32 v16, 1
	s_and_saveexec_b64 s[30:31], vcc
	s_cbranch_execz .LBB6_5103
; %bb.5100:                             ;   in Loop: Header=BB6_3657 Depth=2
	v_and_b32_e32 v15, 0x7f, v35
	v_cmp_ne_u32_e32 vcc, s54, v15
	v_mov_b32_e32 v16, 0x7f800001
	s_and_saveexec_b64 s[34:35], vcc
	s_cbranch_execz .LBB6_5102
; %bb.5101:                             ;   in Loop: Header=BB6_3657 Depth=2
	v_and_b32_e32 v30, 7, v14
	v_lshrrev_b32_e32 v31, 3, v15
	v_cmp_gt_u32_e32 vcc, 8, v15
	v_ffbh_u32_e32 v15, v30
	v_min_u32_e32 v32, 32, v15
	v_subrev_u32_e32 v15, 28, v32
	v_lshlrev_b64 v[15:16], v15, v[14:15]
	v_sub_u32_e32 v16, 29, v32
	v_and_b32_e32 v15, 7, v15
	v_cndmask_b32_e32 v16, v31, v16, vcc
	v_cndmask_b32_e32 v15, v30, v15, vcc
	v_lshlrev_b32_e32 v30, 24, v35
	v_lshlrev_b32_e32 v15, 20, v15
	v_and_b32_e32 v30, 0x80000000, v30
	v_lshl_add_u32 v16, v16, 23, v62
	v_or3_b32 v16, v30, v16, v15
.LBB6_5102:                             ;   in Loop: Header=BB6_3657 Depth=2
	s_or_b64 exec, exec, s[34:35]
.LBB6_5103:                             ;   in Loop: Header=BB6_3657 Depth=2
	s_or_b64 exec, exec, s[30:31]
.LBB6_5104:                             ;   in Loop: Header=BB6_3657 Depth=2
	s_or_b64 exec, exec, s[94:95]
	v_and_b32_e32 v15, 0xff, v34
	v_cmp_ne_u16_e32 vcc, 0, v15
	s_and_saveexec_b64 s[94:95], vcc
	s_cbranch_execz .LBB6_5110
; %bb.5105:                             ;   in Loop: Header=BB6_3657 Depth=2
	v_cmp_ne_u16_e32 vcc, s53, v15
	v_bfrev_b32_e32 v29, 1
	s_and_saveexec_b64 s[30:31], vcc
	s_cbranch_execz .LBB6_5109
; %bb.5106:                             ;   in Loop: Header=BB6_3657 Depth=2
	v_and_b32_e32 v30, 0x7f, v34
	v_cmp_ne_u32_e32 vcc, s54, v30
	v_mov_b32_e32 v29, 0x7f800001
	s_and_saveexec_b64 s[34:35], vcc
	s_cbranch_execz .LBB6_5108
; %bb.5107:                             ;   in Loop: Header=BB6_3657 Depth=2
	v_and_b32_e32 v31, 7, v15
	v_ffbh_u32_e32 v29, v31
	v_min_u32_e32 v33, 32, v29
	v_subrev_u32_e32 v29, 28, v33
	v_lshrrev_b32_e32 v32, 3, v30
	v_cmp_gt_u32_e32 vcc, 8, v30
	v_lshlrev_b64 v[29:30], v29, v[15:16]
	v_sub_u32_e32 v15, 29, v33
	v_and_b32_e32 v29, 7, v29
	v_cndmask_b32_e32 v15, v32, v15, vcc
	v_cndmask_b32_e32 v29, v31, v29, vcc
	v_lshlrev_b32_e32 v30, 24, v34
	v_lshlrev_b32_e32 v29, 20, v29
	v_and_b32_e32 v30, 0x80000000, v30
	v_lshl_add_u32 v15, v15, 23, v62
	v_or3_b32 v29, v30, v15, v29
.LBB6_5108:                             ;   in Loop: Header=BB6_3657 Depth=2
	s_or_b64 exec, exec, s[34:35]
.LBB6_5109:                             ;   in Loop: Header=BB6_3657 Depth=2
	s_or_b64 exec, exec, s[30:31]
.LBB6_5110:                             ;   in Loop: Header=BB6_3657 Depth=2
	s_or_b64 exec, exec, s[94:95]
	v_max_f32_e32 v15, v29, v29
	v_max_f32_e32 v16, v16, v16
	;; [unrolled: 1-line block ×3, first 2 shown]
	s_mov_b64 s[94:95], 0
.LBB6_5111:                             ;   in Loop: Header=BB6_3657 Depth=2
	s_and_b64 vcc, exec, s[94:95]
	s_cbranch_vccz .LBB6_5125
; %bb.5112:                             ;   in Loop: Header=BB6_3657 Depth=2
	v_mov_b32_e32 v16, 0
	v_mov_b32_e32 v15, 0
	s_and_saveexec_b64 s[94:95], s[22:23]
	s_cbranch_execz .LBB6_5118
; %bb.5113:                             ;   in Loop: Header=BB6_3657 Depth=2
	v_cmp_ne_u16_e32 vcc, s53, v14
	v_bfrev_b32_e32 v15, 1
	s_and_saveexec_b64 s[22:23], vcc
	s_cbranch_execz .LBB6_5117
; %bb.5114:                             ;   in Loop: Header=BB6_3657 Depth=2
	v_and_b32_e32 v29, 0x7f, v35
	v_cmp_ne_u32_e32 vcc, s54, v29
	v_mov_b32_e32 v15, 0x7f800001
	s_and_saveexec_b64 s[30:31], vcc
	s_cbranch_execz .LBB6_5116
; %bb.5115:                             ;   in Loop: Header=BB6_3657 Depth=2
	v_and_b32_e32 v30, 7, v14
	v_ffbh_u32_e32 v15, v30
	v_lshrrev_b32_e32 v31, 3, v29
	v_cmp_gt_u32_e32 vcc, 8, v29
	v_min_u32_e32 v29, 32, v15
	v_subrev_u32_e32 v15, 28, v29
	v_lshlrev_b64 v[14:15], v15, v[14:15]
	v_sub_u32_e32 v15, 29, v29
	v_and_b32_e32 v14, 7, v14
	v_cndmask_b32_e32 v15, v31, v15, vcc
	v_cndmask_b32_e32 v14, v30, v14, vcc
	v_lshlrev_b32_e32 v29, 24, v35
	v_lshlrev_b32_e32 v14, 20, v14
	v_and_b32_e32 v29, 0x80000000, v29
	v_lshl_add_u32 v15, v15, 23, v62
	v_or3_b32 v15, v29, v15, v14
.LBB6_5116:                             ;   in Loop: Header=BB6_3657 Depth=2
	s_or_b64 exec, exec, s[30:31]
.LBB6_5117:                             ;   in Loop: Header=BB6_3657 Depth=2
	s_or_b64 exec, exec, s[22:23]
.LBB6_5118:                             ;   in Loop: Header=BB6_3657 Depth=2
	s_or_b64 exec, exec, s[94:95]
	v_and_b32_e32 v14, 0xff, v34
	v_cmp_ne_u16_e32 vcc, 0, v14
	s_and_saveexec_b64 s[22:23], vcc
	s_cbranch_execz .LBB6_5124
; %bb.5119:                             ;   in Loop: Header=BB6_3657 Depth=2
	v_cmp_ne_u16_e32 vcc, s53, v14
	v_bfrev_b32_e32 v16, 1
	s_and_saveexec_b64 s[94:95], vcc
	s_cbranch_execz .LBB6_5123
; %bb.5120:                             ;   in Loop: Header=BB6_3657 Depth=2
	v_and_b32_e32 v29, 0x7f, v34
	v_cmp_ne_u32_e32 vcc, s54, v29
	v_mov_b32_e32 v16, 0x7f800001
	s_and_saveexec_b64 s[30:31], vcc
	s_cbranch_execz .LBB6_5122
; %bb.5121:                             ;   in Loop: Header=BB6_3657 Depth=2
	v_and_b32_e32 v16, 7, v14
	v_lshrrev_b32_e32 v31, 3, v29
	v_cmp_gt_u32_e32 vcc, 8, v29
	v_ffbh_u32_e32 v29, v16
	v_min_u32_e32 v32, 32, v29
	v_subrev_u32_e32 v29, 28, v32
	v_lshlrev_b64 v[29:30], v29, v[14:15]
	v_sub_u32_e32 v14, 29, v32
	v_and_b32_e32 v29, 7, v29
	v_cndmask_b32_e32 v14, v31, v14, vcc
	v_cndmask_b32_e32 v16, v16, v29, vcc
	v_lshlrev_b32_e32 v29, 24, v34
	v_lshlrev_b32_e32 v16, 20, v16
	v_and_b32_e32 v29, 0x80000000, v29
	v_lshl_add_u32 v14, v14, 23, v62
	v_or3_b32 v16, v29, v14, v16
.LBB6_5122:                             ;   in Loop: Header=BB6_3657 Depth=2
	s_or_b64 exec, exec, s[30:31]
.LBB6_5123:                             ;   in Loop: Header=BB6_3657 Depth=2
	s_or_b64 exec, exec, s[94:95]
.LBB6_5124:                             ;   in Loop: Header=BB6_3657 Depth=2
	s_or_b64 exec, exec, s[22:23]
	v_max_f32_e32 v14, v16, v16
	v_max_f32_e32 v15, v15, v15
	v_min_f32_e32 v15, v15, v14
.LBB6_5125:                             ;   in Loop: Header=BB6_3657 Depth=2
	v_and_b32_e32 v60, 0x7f800000, v15
	v_cmp_ne_u64_e32 vcc, s[72:73], v[60:61]
                                        ; implicit-def: $vgpr29
	s_and_saveexec_b64 s[22:23], vcc
	s_xor_b64 s[94:95], exec, s[22:23]
	s_cbranch_execz .LBB6_5143
; %bb.5126:                             ;   in Loop: Header=BB6_3657 Depth=2
	v_and_b32_e32 v60, 0x7fffffff, v15
	v_cmp_gt_u64_e32 vcc, s[74:75], v[60:61]
	v_and_b32_sdwa v30, v15, s53 dst_sel:DWORD dst_unused:UNUSED_PAD src0_sel:BYTE_3 src1_sel:DWORD
                                        ; implicit-def: $vgpr29
	s_and_saveexec_b64 s[22:23], vcc
	s_xor_b64 s[30:31], exec, s[22:23]
	s_cbranch_execz .LBB6_5140
; %bb.5127:                             ;   in Loop: Header=BB6_3657 Depth=2
	v_cmp_ne_u32_e32 vcc, 0, v15
	v_mov_b32_e32 v29, 0
	s_and_saveexec_b64 s[34:35], vcc
	s_cbranch_execz .LBB6_5139
; %bb.5128:                             ;   in Loop: Header=BB6_3657 Depth=2
	v_bfe_u32 v29, v15, 23, 8
	v_and_b32_e32 v14, 0x7fffff, v15
	v_cmp_gt_u32_e64 s[22:23], s64, v29
	v_sub_u32_e32 v15, 0x79, v29
	v_cmp_eq_u32_e32 vcc, 0, v29
	v_cndmask_b32_e64 v15, 0, v15, s[22:23]
	v_mov_b32_e32 v31, 0x78
	v_or_b32_e32 v16, 0x800000, v14
	v_cndmask_b32_e32 v31, v15, v31, vcc
	v_cndmask_b32_e32 v60, v16, v14, vcc
	v_add_u32_e32 v14, 20, v31
	v_lshlrev_b64 v[14:15], v14, -1
	v_add_u32_e32 v16, 19, v31
	v_lshlrev_b64 v[32:33], v16, 1
	v_bfi_b32 v15, v15, 0, 0
	v_bfi_b32 v14, v14, 0, v60
	v_cmp_eq_u64_e64 s[22:23], v[14:15], v[32:33]
	v_lshrrev_b64 v[14:15], v31, v[60:61]
	v_mov_b32_e32 v16, v15
	v_mov_b32_e32 v15, v14
	s_and_saveexec_b64 s[36:37], s[22:23]
; %bb.5129:                             ;   in Loop: Header=BB6_3657 Depth=2
	v_bfe_u32 v15, v14, 20, 1
	v_add_co_u32_e64 v15, s[22:23], v14, v15
	v_add_co_u32_e64 v15, s[22:23], -1, v15
; %bb.5130:                             ;   in Loop: Header=BB6_3657 Depth=2
	s_or_b64 exec, exec, s[36:37]
	v_add_u32_e32 v16, 0xffffff81, v29
	v_cndmask_b32_e32 v16, v16, v41, vcc
	v_lshrrev_b32_e32 v29, 23, v14
	v_add3_u32 v31, v31, v16, v29
	v_add_u32_e32 v29, 6, v31
	v_and_b32_e32 v15, 0xfffff, v15
	v_add_u32_e32 v60, v15, v14
	v_cmp_ne_u32_e32 vcc, 0, v29
                                        ; implicit-def: $vgpr14_vgpr15
                                        ; implicit-def: $vgpr16
	s_and_saveexec_b64 s[22:23], vcc
	s_xor_b64 s[22:23], exec, s[22:23]
; %bb.5131:                             ;   in Loop: Header=BB6_3657 Depth=2
	v_cmp_lt_u64_e32 vcc, s[76:77], v[60:61]
	v_add_u32_e32 v14, 7, v31
	v_cndmask_b32_e32 v16, v29, v14, vcc
	v_cndmask_b32_e64 v14, 0, 1, vcc
	v_lshrrev_b64 v[14:15], v14, v[60:61]
; %bb.5132:                             ;   in Loop: Header=BB6_3657 Depth=2
	s_andn2_saveexec_b64 s[22:23], s[22:23]
; %bb.5133:                             ;   in Loop: Header=BB6_3657 Depth=2
	v_mov_b32_e32 v14, v60
	v_bfe_u32 v16, v60, 23, 1
	v_mov_b32_e32 v15, v61
; %bb.5134:                             ;   in Loop: Header=BB6_3657 Depth=2
	s_or_b64 exec, exec, s[22:23]
	v_lshrrev_b64 v[14:15], 20, v[14:15]
	v_cmp_gt_i32_e32 vcc, 16, v16
	v_cndmask_b32_e32 v15, 0, v15, vcc
	v_cndmask_b32_e32 v14, 7, v14, vcc
	v_cmp_ne_u64_e32 vcc, 0, v[14:15]
	v_cmp_ne_u32_e64 s[22:23], 0, v16
	s_or_b64 s[22:23], s[22:23], vcc
                                        ; implicit-def: $vgpr29
	s_and_saveexec_b64 vcc, s[22:23]
	s_xor_b64 s[22:23], exec, vcc
; %bb.5135:                             ;   in Loop: Header=BB6_3657 Depth=2
	v_min_i32_e32 v15, 15, v16
	v_lshl_or_b32 v15, v15, 3, v30
	v_and_or_b32 v29, v14, 7, v15
                                        ; implicit-def: $vgpr30
; %bb.5136:                             ;   in Loop: Header=BB6_3657 Depth=2
	s_andn2_saveexec_b64 s[22:23], s[22:23]
; %bb.5137:                             ;   in Loop: Header=BB6_3657 Depth=2
	v_mov_b32_e32 v29, v30
; %bb.5138:                             ;   in Loop: Header=BB6_3657 Depth=2
	s_or_b64 exec, exec, s[22:23]
.LBB6_5139:                             ;   in Loop: Header=BB6_3657 Depth=2
	s_or_b64 exec, exec, s[34:35]
                                        ; implicit-def: $vgpr30
.LBB6_5140:                             ;   in Loop: Header=BB6_3657 Depth=2
	s_andn2_saveexec_b64 s[22:23], s[30:31]
; %bb.5141:                             ;   in Loop: Header=BB6_3657 Depth=2
	v_or_b32_e32 v29, 0x7e, v30
; %bb.5142:                             ;   in Loop: Header=BB6_3657 Depth=2
	s_or_b64 exec, exec, s[22:23]
                                        ; implicit-def: $vgpr15
.LBB6_5143:                             ;   in Loop: Header=BB6_3657 Depth=2
	s_andn2_saveexec_b64 s[22:23], s[94:95]
; %bb.5144:                             ;   in Loop: Header=BB6_3657 Depth=2
	v_or_b32_sdwa v29, v15, s54 dst_sel:DWORD dst_unused:UNUSED_PAD src0_sel:BYTE_3 src1_sel:DWORD
; %bb.5145:                             ;   in Loop: Header=BB6_3657 Depth=2
	s_or_b64 exec, exec, s[22:23]
	v_and_b32_e32 v14, 0xff, v42
	v_cmp_ne_u16_e64 s[22:23], 0, v14
	s_and_b64 vcc, exec, s[20:21]
	s_mov_b64 s[20:21], -1
                                        ; implicit-def: $vgpr16
	s_cbranch_vccnz .LBB6_5159
; %bb.5146:                             ;   in Loop: Header=BB6_3657 Depth=2
	v_mov_b32_e32 v30, 0
	v_mov_b32_e32 v16, 0
	s_and_saveexec_b64 s[20:21], s[22:23]
	s_cbranch_execz .LBB6_5152
; %bb.5147:                             ;   in Loop: Header=BB6_3657 Depth=2
	v_cmp_ne_u16_e32 vcc, s53, v14
	v_bfrev_b32_e32 v16, 1
	s_and_saveexec_b64 s[94:95], vcc
	s_cbranch_execz .LBB6_5151
; %bb.5148:                             ;   in Loop: Header=BB6_3657 Depth=2
	v_and_b32_e32 v15, 0x7f, v42
	v_cmp_ne_u32_e32 vcc, s54, v15
	v_mov_b32_e32 v16, 0x7f800001
	s_and_saveexec_b64 s[30:31], vcc
	s_cbranch_execz .LBB6_5150
; %bb.5149:                             ;   in Loop: Header=BB6_3657 Depth=2
	v_and_b32_e32 v31, 7, v14
	v_lshrrev_b32_e32 v32, 3, v15
	v_cmp_gt_u32_e32 vcc, 8, v15
	v_ffbh_u32_e32 v15, v31
	v_min_u32_e32 v33, 32, v15
	v_subrev_u32_e32 v15, 28, v33
	v_lshlrev_b64 v[15:16], v15, v[14:15]
	v_sub_u32_e32 v16, 29, v33
	v_and_b32_e32 v15, 7, v15
	v_cndmask_b32_e32 v16, v32, v16, vcc
	v_cndmask_b32_e32 v15, v31, v15, vcc
	v_lshlrev_b32_e32 v31, 24, v42
	v_lshlrev_b32_e32 v15, 20, v15
	v_and_b32_e32 v31, 0x80000000, v31
	v_lshl_add_u32 v16, v16, 23, v62
	v_or3_b32 v16, v31, v16, v15
.LBB6_5150:                             ;   in Loop: Header=BB6_3657 Depth=2
	s_or_b64 exec, exec, s[30:31]
.LBB6_5151:                             ;   in Loop: Header=BB6_3657 Depth=2
	s_or_b64 exec, exec, s[94:95]
.LBB6_5152:                             ;   in Loop: Header=BB6_3657 Depth=2
	s_or_b64 exec, exec, s[20:21]
	v_and_b32_e32 v15, 0xff, v43
	v_cmp_ne_u16_e32 vcc, 0, v15
	s_and_saveexec_b64 s[20:21], vcc
	s_cbranch_execz .LBB6_5158
; %bb.5153:                             ;   in Loop: Header=BB6_3657 Depth=2
	v_cmp_ne_u16_e32 vcc, s53, v15
	v_bfrev_b32_e32 v30, 1
	s_and_saveexec_b64 s[94:95], vcc
	s_cbranch_execz .LBB6_5157
; %bb.5154:                             ;   in Loop: Header=BB6_3657 Depth=2
	v_and_b32_e32 v31, 0x7f, v43
	v_cmp_ne_u32_e32 vcc, s54, v31
	v_mov_b32_e32 v30, 0x7f800001
	s_and_saveexec_b64 s[30:31], vcc
	s_cbranch_execz .LBB6_5156
; %bb.5155:                             ;   in Loop: Header=BB6_3657 Depth=2
	v_and_b32_e32 v32, 7, v15
	v_ffbh_u32_e32 v30, v32
	v_min_u32_e32 v34, 32, v30
	v_subrev_u32_e32 v30, 28, v34
	v_lshrrev_b32_e32 v33, 3, v31
	v_cmp_gt_u32_e32 vcc, 8, v31
	v_lshlrev_b64 v[30:31], v30, v[15:16]
	v_sub_u32_e32 v15, 29, v34
	v_and_b32_e32 v30, 7, v30
	v_cndmask_b32_e32 v15, v33, v15, vcc
	v_cndmask_b32_e32 v30, v32, v30, vcc
	v_lshlrev_b32_e32 v31, 24, v43
	v_lshlrev_b32_e32 v30, 20, v30
	v_and_b32_e32 v31, 0x80000000, v31
	v_lshl_add_u32 v15, v15, 23, v62
	v_or3_b32 v30, v31, v15, v30
.LBB6_5156:                             ;   in Loop: Header=BB6_3657 Depth=2
	s_or_b64 exec, exec, s[30:31]
.LBB6_5157:                             ;   in Loop: Header=BB6_3657 Depth=2
	s_or_b64 exec, exec, s[94:95]
.LBB6_5158:                             ;   in Loop: Header=BB6_3657 Depth=2
	s_or_b64 exec, exec, s[20:21]
	v_max_f32_e32 v15, v30, v30
	v_max_f32_e32 v16, v16, v16
	;; [unrolled: 1-line block ×3, first 2 shown]
	s_mov_b64 s[20:21], 0
.LBB6_5159:                             ;   in Loop: Header=BB6_3657 Depth=2
	s_and_b64 vcc, exec, s[20:21]
	s_cbranch_vccz .LBB6_5173
; %bb.5160:                             ;   in Loop: Header=BB6_3657 Depth=2
	v_mov_b32_e32 v16, 0
	v_mov_b32_e32 v15, 0
	s_and_saveexec_b64 s[20:21], s[22:23]
	s_cbranch_execz .LBB6_5166
; %bb.5161:                             ;   in Loop: Header=BB6_3657 Depth=2
	v_cmp_ne_u16_e32 vcc, s53, v14
	v_bfrev_b32_e32 v15, 1
	s_and_saveexec_b64 s[22:23], vcc
	s_cbranch_execz .LBB6_5165
; %bb.5162:                             ;   in Loop: Header=BB6_3657 Depth=2
	v_and_b32_e32 v30, 0x7f, v42
	v_cmp_ne_u32_e32 vcc, s54, v30
	v_mov_b32_e32 v15, 0x7f800001
	s_and_saveexec_b64 s[94:95], vcc
	s_cbranch_execz .LBB6_5164
; %bb.5163:                             ;   in Loop: Header=BB6_3657 Depth=2
	v_and_b32_e32 v31, 7, v14
	v_ffbh_u32_e32 v15, v31
	v_lshrrev_b32_e32 v32, 3, v30
	v_cmp_gt_u32_e32 vcc, 8, v30
	v_min_u32_e32 v30, 32, v15
	v_subrev_u32_e32 v15, 28, v30
	v_lshlrev_b64 v[14:15], v15, v[14:15]
	v_sub_u32_e32 v15, 29, v30
	v_and_b32_e32 v14, 7, v14
	v_cndmask_b32_e32 v15, v32, v15, vcc
	v_cndmask_b32_e32 v14, v31, v14, vcc
	v_lshlrev_b32_e32 v30, 24, v42
	v_lshlrev_b32_e32 v14, 20, v14
	v_and_b32_e32 v30, 0x80000000, v30
	v_lshl_add_u32 v15, v15, 23, v62
	v_or3_b32 v15, v30, v15, v14
.LBB6_5164:                             ;   in Loop: Header=BB6_3657 Depth=2
	s_or_b64 exec, exec, s[94:95]
.LBB6_5165:                             ;   in Loop: Header=BB6_3657 Depth=2
	s_or_b64 exec, exec, s[22:23]
.LBB6_5166:                             ;   in Loop: Header=BB6_3657 Depth=2
	s_or_b64 exec, exec, s[20:21]
	v_and_b32_e32 v14, 0xff, v43
	v_cmp_ne_u16_e32 vcc, 0, v14
	s_and_saveexec_b64 s[20:21], vcc
	s_cbranch_execz .LBB6_5172
; %bb.5167:                             ;   in Loop: Header=BB6_3657 Depth=2
	v_cmp_ne_u16_e32 vcc, s53, v14
	v_bfrev_b32_e32 v16, 1
	s_and_saveexec_b64 s[22:23], vcc
	s_cbranch_execz .LBB6_5171
; %bb.5168:                             ;   in Loop: Header=BB6_3657 Depth=2
	v_and_b32_e32 v30, 0x7f, v43
	v_cmp_ne_u32_e32 vcc, s54, v30
	v_mov_b32_e32 v16, 0x7f800001
	s_and_saveexec_b64 s[94:95], vcc
	s_cbranch_execz .LBB6_5170
; %bb.5169:                             ;   in Loop: Header=BB6_3657 Depth=2
	v_and_b32_e32 v16, 7, v14
	v_lshrrev_b32_e32 v32, 3, v30
	v_cmp_gt_u32_e32 vcc, 8, v30
	v_ffbh_u32_e32 v30, v16
	v_min_u32_e32 v33, 32, v30
	v_subrev_u32_e32 v30, 28, v33
	v_lshlrev_b64 v[30:31], v30, v[14:15]
	v_sub_u32_e32 v14, 29, v33
	v_and_b32_e32 v30, 7, v30
	v_cndmask_b32_e32 v14, v32, v14, vcc
	v_cndmask_b32_e32 v16, v16, v30, vcc
	v_lshlrev_b32_e32 v30, 24, v43
	v_lshlrev_b32_e32 v16, 20, v16
	v_and_b32_e32 v30, 0x80000000, v30
	v_lshl_add_u32 v14, v14, 23, v62
	v_or3_b32 v16, v30, v14, v16
.LBB6_5170:                             ;   in Loop: Header=BB6_3657 Depth=2
	s_or_b64 exec, exec, s[94:95]
.LBB6_5171:                             ;   in Loop: Header=BB6_3657 Depth=2
	s_or_b64 exec, exec, s[22:23]
.LBB6_5172:                             ;   in Loop: Header=BB6_3657 Depth=2
	s_or_b64 exec, exec, s[20:21]
	v_max_f32_e32 v14, v16, v16
	v_max_f32_e32 v15, v15, v15
	v_min_f32_e32 v16, v15, v14
.LBB6_5173:                             ;   in Loop: Header=BB6_3657 Depth=2
	v_and_b32_e32 v60, 0x7f800000, v16
	v_cmp_ne_u64_e32 vcc, s[72:73], v[60:61]
                                        ; implicit-def: $vgpr15
	s_and_saveexec_b64 s[20:21], vcc
	s_xor_b64 s[22:23], exec, s[20:21]
	s_cbranch_execz .LBB6_5191
; %bb.5174:                             ;   in Loop: Header=BB6_3657 Depth=2
	v_and_b32_e32 v60, 0x7fffffff, v16
	v_cmp_gt_u64_e32 vcc, s[74:75], v[60:61]
	v_and_b32_sdwa v30, v16, s53 dst_sel:DWORD dst_unused:UNUSED_PAD src0_sel:BYTE_3 src1_sel:DWORD
                                        ; implicit-def: $vgpr15
	s_and_saveexec_b64 s[20:21], vcc
	s_xor_b64 s[94:95], exec, s[20:21]
	s_cbranch_execz .LBB6_5188
; %bb.5175:                             ;   in Loop: Header=BB6_3657 Depth=2
	v_cmp_ne_u32_e32 vcc, 0, v16
	v_mov_b32_e32 v15, 0
	s_and_saveexec_b64 s[30:31], vcc
	s_cbranch_execz .LBB6_5187
; %bb.5176:                             ;   in Loop: Header=BB6_3657 Depth=2
	v_bfe_u32 v31, v16, 23, 8
	v_cmp_gt_u32_e64 s[20:21], s64, v31
	v_sub_u32_e32 v15, 0x79, v31
	v_and_b32_e32 v14, 0x7fffff, v16
	v_cmp_eq_u32_e32 vcc, 0, v31
	v_cndmask_b32_e64 v15, 0, v15, s[20:21]
	v_mov_b32_e32 v32, 0x78
	v_or_b32_e32 v16, 0x800000, v14
	v_cndmask_b32_e32 v32, v15, v32, vcc
	v_cndmask_b32_e32 v60, v16, v14, vcc
	v_add_u32_e32 v14, 20, v32
	v_lshlrev_b64 v[14:15], v14, -1
	v_add_u32_e32 v16, 19, v32
	v_lshlrev_b64 v[33:34], v16, 1
	v_bfi_b32 v15, v15, 0, 0
	v_bfi_b32 v14, v14, 0, v60
	v_cmp_eq_u64_e64 s[20:21], v[14:15], v[33:34]
	v_lshrrev_b64 v[14:15], v32, v[60:61]
	v_mov_b32_e32 v16, v15
	v_mov_b32_e32 v15, v14
	s_and_saveexec_b64 s[34:35], s[20:21]
; %bb.5177:                             ;   in Loop: Header=BB6_3657 Depth=2
	v_bfe_u32 v15, v14, 20, 1
	v_add_co_u32_e64 v15, s[20:21], v14, v15
	v_add_co_u32_e64 v15, s[20:21], -1, v15
; %bb.5178:                             ;   in Loop: Header=BB6_3657 Depth=2
	s_or_b64 exec, exec, s[34:35]
	v_add_u32_e32 v16, 0xffffff81, v31
	v_cndmask_b32_e32 v16, v16, v41, vcc
	v_lshrrev_b32_e32 v31, 23, v14
	v_add3_u32 v32, v32, v16, v31
	v_add_u32_e32 v31, 6, v32
	v_and_b32_e32 v15, 0xfffff, v15
	v_add_u32_e32 v60, v15, v14
	v_cmp_ne_u32_e32 vcc, 0, v31
                                        ; implicit-def: $vgpr14_vgpr15
                                        ; implicit-def: $vgpr16
	s_and_saveexec_b64 s[20:21], vcc
	s_xor_b64 s[20:21], exec, s[20:21]
; %bb.5179:                             ;   in Loop: Header=BB6_3657 Depth=2
	v_cmp_lt_u64_e32 vcc, s[76:77], v[60:61]
	v_add_u32_e32 v14, 7, v32
	v_cndmask_b32_e32 v16, v31, v14, vcc
	v_cndmask_b32_e64 v14, 0, 1, vcc
	v_lshrrev_b64 v[14:15], v14, v[60:61]
; %bb.5180:                             ;   in Loop: Header=BB6_3657 Depth=2
	s_andn2_saveexec_b64 s[20:21], s[20:21]
; %bb.5181:                             ;   in Loop: Header=BB6_3657 Depth=2
	v_mov_b32_e32 v14, v60
	v_bfe_u32 v16, v60, 23, 1
	v_mov_b32_e32 v15, v61
; %bb.5182:                             ;   in Loop: Header=BB6_3657 Depth=2
	s_or_b64 exec, exec, s[20:21]
	v_lshrrev_b64 v[14:15], 20, v[14:15]
	v_cmp_gt_i32_e32 vcc, 16, v16
	v_cndmask_b32_e32 v15, 0, v15, vcc
	v_cndmask_b32_e32 v14, 7, v14, vcc
	v_cmp_ne_u64_e32 vcc, 0, v[14:15]
	v_cmp_ne_u32_e64 s[20:21], 0, v16
	s_or_b64 s[20:21], s[20:21], vcc
                                        ; implicit-def: $vgpr15
	s_and_saveexec_b64 vcc, s[20:21]
	s_xor_b64 s[20:21], exec, vcc
; %bb.5183:                             ;   in Loop: Header=BB6_3657 Depth=2
	v_min_i32_e32 v15, 15, v16
	v_lshl_or_b32 v15, v15, 3, v30
	v_and_or_b32 v15, v14, 7, v15
                                        ; implicit-def: $vgpr30
; %bb.5184:                             ;   in Loop: Header=BB6_3657 Depth=2
	s_andn2_saveexec_b64 s[20:21], s[20:21]
; %bb.5185:                             ;   in Loop: Header=BB6_3657 Depth=2
	v_mov_b32_e32 v15, v30
; %bb.5186:                             ;   in Loop: Header=BB6_3657 Depth=2
	s_or_b64 exec, exec, s[20:21]
.LBB6_5187:                             ;   in Loop: Header=BB6_3657 Depth=2
	s_or_b64 exec, exec, s[30:31]
                                        ; implicit-def: $vgpr30
.LBB6_5188:                             ;   in Loop: Header=BB6_3657 Depth=2
	s_andn2_saveexec_b64 s[20:21], s[94:95]
; %bb.5189:                             ;   in Loop: Header=BB6_3657 Depth=2
	v_or_b32_e32 v15, 0x7e, v30
; %bb.5190:                             ;   in Loop: Header=BB6_3657 Depth=2
	s_or_b64 exec, exec, s[20:21]
                                        ; implicit-def: $vgpr16
.LBB6_5191:                             ;   in Loop: Header=BB6_3657 Depth=2
	s_andn2_saveexec_b64 s[20:21], s[22:23]
	s_cbranch_execz .LBB6_3656
; %bb.5192:                             ;   in Loop: Header=BB6_3657 Depth=2
	v_or_b32_sdwa v15, v16, s54 dst_sel:DWORD dst_unused:UNUSED_PAD src0_sel:BYTE_3 src1_sel:DWORD
	s_branch .LBB6_3656
.LBB6_5193:                             ;   in Loop: Header=BB6_49 Depth=1
	s_or_b64 exec, exec, s[92:93]
	buffer_load_dword v36, off, s[0:3], s33 offset:268 ; 4-byte Folded Reload
	buffer_load_dword v37, off, s[0:3], s33 offset:272 ; 4-byte Folded Reload
	;; [unrolled: 1-line block ×16, first 2 shown]
	v_mov_b32_e32 v51, 1
	v_mov_b32_e32 v52, 0xc8
	;; [unrolled: 1-line block ×4, first 2 shown]
	v_bfrev_b32_e32 v54, 1
	s_waitcnt vmcnt(0)
	v_lshlrev_b32_e32 v39, 10, v0
.LBB6_5194:                             ;   in Loop: Header=BB6_49 Depth=1
	s_or_b64 exec, exec, s[24:25]
	v_and_b32_e32 v0, 0xfffff800, v3
	v_cmp_ne_u32_e32 vcc, v3, v0
	s_and_b64 exec, exec, vcc
	s_cbranch_execz .LBB6_5246
; %bb.5195:                             ;   in Loop: Header=BB6_49 Depth=1
	v_lshlrev_b32_e32 v1, 6, v4
	v_sub_u32_e32 v1, v2, v1
	v_lshlrev_b32_e32 v2, 6, v20
	v_sub_u32_e32 v1, v1, v2
	v_and_b32_e32 v2, 0x7ff, v3
	v_sub_u32_e32 v2, v2, v1
	v_cmp_lt_i32_e32 vcc, 0, v2
	s_and_b64 exec, exec, vcc
	s_cbranch_execz .LBB6_5246
; %bb.5196:                             ;   in Loop: Header=BB6_49 Depth=1
	s_trap 2
	ds_read_b128 v[3:6], v0
	v_add3_u32 v9, v0, v7, v1
	ds_read_b64 v[7:8], v0
	v_ashrrev_i32_e32 v13, 31, v9
	s_bitcmp1_b32 s67, 0
	s_waitcnt lgkmcnt(0)
	v_add_co_u32_e32 v0, vcc, v3, v9
	v_addc_co_u32_e32 v1, vcc, v4, v13, vcc
	v_add_co_u32_e32 v10, vcc, v5, v9
	v_addc_co_u32_e32 v11, vcc, v6, v13, vcc
	;; [unrolled: 2-line block ×3, first 2 shown]
	s_mov_b64 s[28:29], 0
	s_cselect_b64 s[92:93], -1, 0
	s_branch .LBB6_5198
.LBB6_5197:                             ;   in Loop: Header=BB6_5198 Depth=2
	s_or_b64 exec, exec, s[20:21]
	v_add_co_u32_e32 v0, vcc, v0, v48
	v_addc_co_u32_e32 v1, vcc, 0, v1, vcc
	v_add_co_u32_e32 v10, vcc, v10, v48
	v_addc_co_u32_e32 v11, vcc, 0, v11, vcc
	v_sub_u32_e32 v2, v2, v48
	v_cmp_gt_i32_e32 vcc, 1, v2
	flat_store_byte v[12:13], v4 glc slc
	s_or_b64 s[28:29], vcc, s[28:29]
	v_add_co_u32_e32 v12, vcc, v12, v48
	v_addc_co_u32_e32 v13, vcc, 0, v13, vcc
	s_andn2_b64 exec, exec, s[28:29]
	s_cbranch_execz .LBB6_5246
.LBB6_5198:                             ;   Parent Loop BB6_49 Depth=1
                                        ; =>  This Inner Loop Header: Depth=2
	flat_load_ubyte v4, v[10:11] glc slc
	flat_load_ubyte v5, v[0:1] glc slc
	s_mov_b64 s[94:95], -1
	s_and_b64 vcc, exec, s[92:93]
                                        ; implicit-def: $vgpr6
	s_waitcnt vmcnt(0) lgkmcnt(0)
	v_cmp_ne_u16_e64 s[22:23], 0, v4
	v_cmp_ne_u16_e64 s[20:21], s53, v4
	v_and_b32_sdwa v3, sext(v4), s55 dst_sel:DWORD dst_unused:UNUSED_PAD src0_sel:BYTE_0 src1_sel:DWORD
	v_cmp_ne_u16_e64 s[24:25], 0, v5
	s_cbranch_vccz .LBB6_5212
; %bb.5199:                             ;   in Loop: Header=BB6_5198 Depth=2
	v_mov_b32_e32 v6, 0
	v_mov_b32_e32 v7, 0
	s_and_saveexec_b64 s[94:95], s[24:25]
	s_cbranch_execz .LBB6_5205
; %bb.5200:                             ;   in Loop: Header=BB6_5198 Depth=2
	v_cmp_ne_u16_e32 vcc, s53, v5
	v_bfrev_b32_e32 v7, 1
	s_and_saveexec_b64 s[30:31], vcc
	s_cbranch_execz .LBB6_5204
; %bb.5201:                             ;   in Loop: Header=BB6_5198 Depth=2
	v_and_b32_e32 v14, 0xffff, v5
	v_and_b32_e32 v8, 0x7f, v14
	v_cmp_ne_u32_e32 vcc, s54, v8
	v_mov_b32_e32 v7, 0x7f800001
	s_and_saveexec_b64 s[34:35], vcc
	s_cbranch_execz .LBB6_5203
; %bb.5202:                             ;   in Loop: Header=BB6_5198 Depth=2
	v_and_b32_e32 v9, 7, v14
	v_ffbh_u32_e32 v7, v9
	v_min_u32_e32 v16, 32, v7
	v_lshrrev_b32_e32 v15, 3, v8
	v_subrev_u32_e32 v7, 28, v16
	v_cmp_gt_u32_e32 vcc, 8, v8
	v_lshlrev_b64 v[7:8], v7, v[14:15]
	v_sub_u32_e32 v8, 29, v16
	v_and_b32_e32 v7, 7, v7
	v_cndmask_b32_e32 v8, v15, v8, vcc
	v_cndmask_b32_e32 v7, v9, v7, vcc
	v_lshlrev_b32_e32 v9, 24, v5
	v_lshlrev_b32_e32 v7, 20, v7
	v_and_b32_e32 v9, 0x80000000, v9
	v_lshl_add_u32 v8, v8, 23, v62
	v_or3_b32 v7, v9, v8, v7
.LBB6_5203:                             ;   in Loop: Header=BB6_5198 Depth=2
	s_or_b64 exec, exec, s[34:35]
.LBB6_5204:                             ;   in Loop: Header=BB6_5198 Depth=2
	s_or_b64 exec, exec, s[30:31]
.LBB6_5205:                             ;   in Loop: Header=BB6_5198 Depth=2
	s_or_b64 exec, exec, s[94:95]
	s_and_saveexec_b64 s[94:95], s[22:23]
	s_cbranch_execz .LBB6_5211
; %bb.5206:                             ;   in Loop: Header=BB6_5198 Depth=2
	v_bfrev_b32_e32 v6, 1
	s_and_saveexec_b64 s[30:31], s[20:21]
	s_cbranch_execz .LBB6_5210
; %bb.5207:                             ;   in Loop: Header=BB6_5198 Depth=2
	v_and_b32_e32 v14, 0xffff, v4
	v_and_b32_e32 v8, 0x7f, v14
	v_cmp_ne_u32_e32 vcc, s54, v8
	v_mov_b32_e32 v6, 0x7f800001
	s_and_saveexec_b64 s[34:35], vcc
	s_cbranch_execz .LBB6_5209
; %bb.5208:                             ;   in Loop: Header=BB6_5198 Depth=2
	v_and_b32_e32 v6, 7, v14
	v_lshrrev_b32_e32 v15, 3, v8
	v_cmp_gt_u32_e32 vcc, 8, v8
	v_ffbh_u32_e32 v8, v6
	v_min_u32_e32 v16, 32, v8
	v_subrev_u32_e32 v8, 28, v16
	v_lshlrev_b64 v[8:9], v8, v[14:15]
	v_sub_u32_e32 v9, 29, v16
	v_and_b32_e32 v8, 7, v8
	v_cndmask_b32_e32 v6, v6, v8, vcc
	v_cndmask_b32_e32 v9, v15, v9, vcc
	v_lshlrev_b32_e32 v6, 20, v6
	v_lshl_or_b32 v6, v9, 23, v6
	v_add_u32_e32 v6, 0x3c000000, v6
	v_or_b32_e32 v6, v6, v3
.LBB6_5209:                             ;   in Loop: Header=BB6_5198 Depth=2
	s_or_b64 exec, exec, s[34:35]
.LBB6_5210:                             ;   in Loop: Header=BB6_5198 Depth=2
	s_or_b64 exec, exec, s[30:31]
.LBB6_5211:                             ;   in Loop: Header=BB6_5198 Depth=2
	s_or_b64 exec, exec, s[94:95]
	v_max_f32_e32 v6, v6, v6
	v_max_f32_e32 v7, v7, v7
	;; [unrolled: 1-line block ×3, first 2 shown]
	s_mov_b64 s[94:95], 0
.LBB6_5212:                             ;   in Loop: Header=BB6_5198 Depth=2
	s_and_b64 vcc, exec, s[94:95]
	s_cbranch_vccz .LBB6_5226
; %bb.5213:                             ;   in Loop: Header=BB6_5198 Depth=2
	v_mov_b32_e32 v6, 0
	v_mov_b32_e32 v7, 0
	s_and_saveexec_b64 s[94:95], s[24:25]
	s_cbranch_execz .LBB6_5219
; %bb.5214:                             ;   in Loop: Header=BB6_5198 Depth=2
	v_cmp_ne_u16_e32 vcc, s53, v5
	v_bfrev_b32_e32 v7, 1
	s_and_saveexec_b64 s[24:25], vcc
	s_cbranch_execz .LBB6_5218
; %bb.5215:                             ;   in Loop: Header=BB6_5198 Depth=2
	v_and_b32_e32 v14, 0xffff, v5
	v_and_b32_e32 v8, 0x7f, v14
	v_cmp_ne_u32_e32 vcc, s54, v8
	v_mov_b32_e32 v7, 0x7f800001
	s_and_saveexec_b64 s[30:31], vcc
	s_cbranch_execz .LBB6_5217
; %bb.5216:                             ;   in Loop: Header=BB6_5198 Depth=2
	v_and_b32_e32 v9, 7, v14
	v_ffbh_u32_e32 v7, v9
	v_min_u32_e32 v16, 32, v7
	v_lshrrev_b32_e32 v15, 3, v8
	v_subrev_u32_e32 v7, 28, v16
	v_cmp_gt_u32_e32 vcc, 8, v8
	v_lshlrev_b64 v[7:8], v7, v[14:15]
	v_sub_u32_e32 v8, 29, v16
	v_and_b32_e32 v7, 7, v7
	v_cndmask_b32_e32 v8, v15, v8, vcc
	v_cndmask_b32_e32 v7, v9, v7, vcc
	v_lshlrev_b32_e32 v5, 24, v5
	v_lshlrev_b32_e32 v7, 20, v7
	v_and_b32_e32 v5, 0x80000000, v5
	v_lshl_add_u32 v8, v8, 23, v62
	v_or3_b32 v7, v5, v8, v7
.LBB6_5217:                             ;   in Loop: Header=BB6_5198 Depth=2
	s_or_b64 exec, exec, s[30:31]
.LBB6_5218:                             ;   in Loop: Header=BB6_5198 Depth=2
	s_or_b64 exec, exec, s[24:25]
.LBB6_5219:                             ;   in Loop: Header=BB6_5198 Depth=2
	s_or_b64 exec, exec, s[94:95]
	s_and_saveexec_b64 s[24:25], s[22:23]
	s_cbranch_execz .LBB6_5225
; %bb.5220:                             ;   in Loop: Header=BB6_5198 Depth=2
	v_bfrev_b32_e32 v6, 1
	s_and_saveexec_b64 s[22:23], s[20:21]
	s_cbranch_execz .LBB6_5224
; %bb.5221:                             ;   in Loop: Header=BB6_5198 Depth=2
	v_and_b32_e32 v14, 0xffff, v4
	v_and_b32_e32 v4, 0x7f, v14
	v_cmp_ne_u32_e32 vcc, s54, v4
	v_mov_b32_e32 v6, 0x7f800001
	s_and_saveexec_b64 s[20:21], vcc
	s_cbranch_execz .LBB6_5223
; %bb.5222:                             ;   in Loop: Header=BB6_5198 Depth=2
	v_and_b32_e32 v6, 7, v14
	v_lshrrev_b32_e32 v8, 3, v4
	v_cmp_gt_u32_e32 vcc, 8, v4
	v_ffbh_u32_e32 v4, v6
	v_min_u32_e32 v9, 32, v4
	v_subrev_u32_e32 v4, 28, v9
	v_lshlrev_b64 v[4:5], v4, v[14:15]
	v_sub_u32_e32 v5, 29, v9
	v_and_b32_e32 v4, 7, v4
	v_cndmask_b32_e32 v4, v6, v4, vcc
	v_cndmask_b32_e32 v5, v8, v5, vcc
	v_lshlrev_b32_e32 v4, 20, v4
	v_lshl_or_b32 v4, v5, 23, v4
	v_add_u32_e32 v4, 0x3c000000, v4
	v_or_b32_e32 v6, v4, v3
.LBB6_5223:                             ;   in Loop: Header=BB6_5198 Depth=2
	s_or_b64 exec, exec, s[20:21]
.LBB6_5224:                             ;   in Loop: Header=BB6_5198 Depth=2
	s_or_b64 exec, exec, s[22:23]
.LBB6_5225:                             ;   in Loop: Header=BB6_5198 Depth=2
	s_or_b64 exec, exec, s[24:25]
	v_max_f32_e32 v3, v6, v6
	v_max_f32_e32 v4, v7, v7
	v_min_f32_e32 v6, v4, v3
.LBB6_5226:                             ;   in Loop: Header=BB6_5198 Depth=2
	v_and_b32_e32 v60, 0x7f800000, v6
	v_cmp_ne_u64_e32 vcc, s[72:73], v[60:61]
                                        ; implicit-def: $vgpr4
	s_and_saveexec_b64 s[20:21], vcc
	s_xor_b64 s[22:23], exec, s[20:21]
	s_cbranch_execz .LBB6_5244
; %bb.5227:                             ;   in Loop: Header=BB6_5198 Depth=2
	v_and_b32_e32 v60, 0x7fffffff, v6
	v_cmp_gt_u64_e32 vcc, s[74:75], v[60:61]
	v_and_b32_sdwa v3, v6, s53 dst_sel:DWORD dst_unused:UNUSED_PAD src0_sel:BYTE_3 src1_sel:DWORD
                                        ; implicit-def: $vgpr4
	s_and_saveexec_b64 s[20:21], vcc
	s_xor_b64 s[24:25], exec, s[20:21]
	s_cbranch_execz .LBB6_5241
; %bb.5228:                             ;   in Loop: Header=BB6_5198 Depth=2
	v_cmp_ne_u32_e32 vcc, 0, v6
	v_mov_b32_e32 v4, 0
	s_and_saveexec_b64 s[94:95], vcc
	s_cbranch_execz .LBB6_5240
; %bb.5229:                             ;   in Loop: Header=BB6_5198 Depth=2
	v_bfe_u32 v4, v6, 23, 8
	v_cmp_gt_u32_e64 s[20:21], s64, v4
	v_sub_u32_e32 v5, 0x79, v4
	v_and_b32_e32 v7, 0x7fffff, v6
	v_cmp_eq_u32_e32 vcc, 0, v4
	v_cndmask_b32_e64 v5, 0, v5, s[20:21]
	v_mov_b32_e32 v8, 0x78
	v_or_b32_e32 v6, 0x800000, v7
	v_cndmask_b32_e32 v5, v5, v8, vcc
	v_cndmask_b32_e32 v60, v6, v7, vcc
	v_add_u32_e32 v6, 20, v5
	v_lshlrev_b64 v[6:7], v6, -1
	v_add_u32_e32 v8, 19, v5
	v_lshlrev_b64 v[8:9], v8, 1
	v_lshrrev_b64 v[14:15], v5, v[60:61]
	v_bfi_b32 v7, v7, 0, 0
	v_bfi_b32 v6, v6, 0, v60
	v_cmp_eq_u64_e64 s[20:21], v[6:7], v[8:9]
	v_mov_b32_e32 v16, v15
	v_mov_b32_e32 v15, v14
	s_and_saveexec_b64 s[30:31], s[20:21]
; %bb.5230:                             ;   in Loop: Header=BB6_5198 Depth=2
	v_bfe_u32 v6, v14, 20, 1
	v_add_co_u32_e64 v6, s[20:21], v14, v6
	v_add_co_u32_e64 v15, s[20:21], -1, v6
; %bb.5231:                             ;   in Loop: Header=BB6_5198 Depth=2
	s_or_b64 exec, exec, s[30:31]
	v_add_u32_e32 v4, 0xffffff81, v4
	v_cndmask_b32_e32 v4, v4, v41, vcc
	v_lshrrev_b32_e32 v6, 23, v14
	v_add3_u32 v6, v5, v4, v6
	v_add_u32_e32 v4, 6, v6
	v_and_b32_e32 v5, 0xfffff, v15
	v_add_u32_e32 v60, v5, v14
	v_cmp_ne_u32_e32 vcc, 0, v4
                                        ; implicit-def: $vgpr14_vgpr15
                                        ; implicit-def: $vgpr5
	s_and_saveexec_b64 s[20:21], vcc
	s_xor_b64 s[20:21], exec, s[20:21]
; %bb.5232:                             ;   in Loop: Header=BB6_5198 Depth=2
	v_cmp_lt_u64_e32 vcc, s[76:77], v[60:61]
	v_add_u32_e32 v5, 7, v6
	v_cndmask_b32_e32 v5, v4, v5, vcc
	v_cndmask_b32_e64 v4, 0, 1, vcc
	v_lshrrev_b64 v[14:15], v4, v[60:61]
; %bb.5233:                             ;   in Loop: Header=BB6_5198 Depth=2
	s_andn2_saveexec_b64 s[20:21], s[20:21]
; %bb.5234:                             ;   in Loop: Header=BB6_5198 Depth=2
	v_mov_b32_e32 v14, v60
	v_bfe_u32 v5, v60, 23, 1
	v_mov_b32_e32 v15, v61
; %bb.5235:                             ;   in Loop: Header=BB6_5198 Depth=2
	s_or_b64 exec, exec, s[20:21]
	v_lshrrev_b64 v[6:7], 20, v[14:15]
	v_cmp_gt_i32_e32 vcc, 16, v5
	v_cndmask_b32_e32 v15, 0, v7, vcc
	v_cndmask_b32_e32 v14, 7, v6, vcc
	v_cmp_ne_u64_e32 vcc, 0, v[14:15]
	v_cmp_ne_u32_e64 s[20:21], 0, v5
	s_or_b64 s[20:21], s[20:21], vcc
                                        ; implicit-def: $vgpr4
	s_and_saveexec_b64 vcc, s[20:21]
	s_xor_b64 s[20:21], exec, vcc
; %bb.5236:                             ;   in Loop: Header=BB6_5198 Depth=2
	v_min_i32_e32 v4, 15, v5
	v_lshl_or_b32 v3, v4, 3, v3
	v_and_or_b32 v4, v14, 7, v3
                                        ; implicit-def: $vgpr3
; %bb.5237:                             ;   in Loop: Header=BB6_5198 Depth=2
	s_andn2_saveexec_b64 s[20:21], s[20:21]
; %bb.5238:                             ;   in Loop: Header=BB6_5198 Depth=2
	v_mov_b32_e32 v4, v3
; %bb.5239:                             ;   in Loop: Header=BB6_5198 Depth=2
	s_or_b64 exec, exec, s[20:21]
.LBB6_5240:                             ;   in Loop: Header=BB6_5198 Depth=2
	s_or_b64 exec, exec, s[94:95]
                                        ; implicit-def: $vgpr3
.LBB6_5241:                             ;   in Loop: Header=BB6_5198 Depth=2
	s_andn2_saveexec_b64 s[20:21], s[24:25]
; %bb.5242:                             ;   in Loop: Header=BB6_5198 Depth=2
	v_or_b32_e32 v4, 0x7e, v3
; %bb.5243:                             ;   in Loop: Header=BB6_5198 Depth=2
	s_or_b64 exec, exec, s[20:21]
                                        ; implicit-def: $vgpr6
.LBB6_5244:                             ;   in Loop: Header=BB6_5198 Depth=2
	s_andn2_saveexec_b64 s[20:21], s[22:23]
	s_cbranch_execz .LBB6_5197
; %bb.5245:                             ;   in Loop: Header=BB6_5198 Depth=2
	v_or_b32_sdwa v4, v6, s54 dst_sel:DWORD dst_unused:UNUSED_PAD src0_sel:BYTE_3 src1_sel:DWORD
	s_branch .LBB6_5197
.LBB6_5246:                             ;   in Loop: Header=BB6_49 Depth=1
	s_or_b64 exec, exec, s[26:27]
	buffer_load_dword v14, off, s[0:3], s33 offset:176 ; 4-byte Folded Reload
	buffer_load_dword v15, off, s[0:3], s33 offset:180 ; 4-byte Folded Reload
	;; [unrolled: 1-line block ×8, first 2 shown]
	v_cmp_ne_u32_e64 s[20:21], 0, v55
	s_and_saveexec_b64 s[22:23], s[10:11]
	s_cbranch_execz .LBB6_5265
.LBB6_5247:                             ;   in Loop: Header=BB6_49 Depth=1
	s_and_saveexec_b64 s[24:25], s[56:57]
	s_xor_b64 s[24:25], exec, s[24:25]
	s_cbranch_execz .LBB6_5262
; %bb.5248:                             ;   in Loop: Header=BB6_49 Depth=1
	s_and_saveexec_b64 s[26:27], s[12:13]
	s_cbranch_execz .LBB6_5261
; %bb.5249:                             ;   in Loop: Header=BB6_49 Depth=1
	s_mov_b64 s[92:93], exec
	v_mbcnt_lo_u32_b32 v0, s92, 0
	v_mbcnt_hi_u32_b32 v0, s93, v0
	v_cmp_eq_u32_e32 vcc, 0, v0
	s_waitcnt vmcnt(0) lgkmcnt(0)
	buffer_wbinvl1_vol
	s_and_saveexec_b64 s[28:29], vcc
	s_cbranch_execz .LBB6_5251
; %bb.5250:                             ;   in Loop: Header=BB6_49 Depth=1
	s_bcnt1_i32_b64 s92, s[92:93]
	v_mov_b32_e32 v60, s92
	ds_add_u64 v0, v[60:61]
	s_trap 2
.LBB6_5251:                             ;   in Loop: Header=BB6_49 Depth=1
	s_or_b64 exec, exec, s[28:29]
	s_trap 2
	ds_read_b64 v[0:1], v0
	s_waitcnt lgkmcnt(0)
	buffer_load_dword v2, off, s[0:3], s33 offset:80 ; 4-byte Folded Reload
	buffer_load_dword v3, off, s[0:3], s33 offset:84 ; 4-byte Folded Reload
	;; [unrolled: 1-line block ×3, first 2 shown]
	s_waitcnt vmcnt(0)
	v_add_co_u32_e32 v2, vcc, v2, v4
	v_addc_co_u32_e32 v3, vcc, 0, v3, vcc
	buffer_store_dword v2, off, s[0:3], s33 offset:80 ; 4-byte Folded Spill
	s_nop 0
	buffer_store_dword v3, off, s[0:3], s33 offset:84 ; 4-byte Folded Spill
	v_cmp_lt_u64_e32 vcc, v[0:1], v[2:3]
	s_and_saveexec_b64 s[28:29], vcc
	s_cbranch_execz .LBB6_5260
; %bb.5252:                             ;   in Loop: Header=BB6_49 Depth=1
	s_mov_b32 s38, 0
	s_mov_b64 s[92:93], 0
                                        ; implicit-def: $sgpr94_sgpr95
                                        ; implicit-def: $sgpr30_sgpr31
	s_branch .LBB6_5254
.LBB6_5253:                             ;   in Loop: Header=BB6_5254 Depth=2
	s_or_b64 exec, exec, s[36:37]
	s_and_b64 vcc, exec, vcc
	s_or_b64 s[92:93], vcc, s[92:93]
	s_andn2_b64 s[94:95], s[94:95], exec
	s_and_b64 vcc, s[30:31], exec
	s_or_b64 s[94:95], s[94:95], vcc
	s_andn2_b64 exec, exec, s[92:93]
	s_cbranch_execz .LBB6_5258
.LBB6_5254:                             ;   Parent Loop BB6_49 Depth=1
                                        ; =>  This Inner Loop Header: Depth=2
	s_add_i32 s38, s38, 1
	s_cmpk_lg_i32 s38, 0x2710
	s_cselect_b64 s[34:35], -1, 0
	s_and_b64 vcc, exec, s[34:35]
	s_cbranch_vccz .LBB6_5256
; %bb.5255:                             ;   in Loop: Header=BB6_5254 Depth=2
	s_mov_b64 vcc, -1
	s_or_b64 s[30:31], s[30:31], exec
	s_and_saveexec_b64 s[36:37], s[34:35]
	s_cbranch_execz .LBB6_5253
	s_branch .LBB6_5257
.LBB6_5256:                             ;   in Loop: Header=BB6_5254 Depth=2
	s_trap 2
	ds_read_b64 v[0:1], v0
	s_andn2_b64 s[34:35], s[34:35], exec
	s_mov_b32 s38, 0
	s_waitcnt vmcnt(0) lgkmcnt(0)
	flat_load_dword v0, v[0:1] glc
	s_waitcnt vmcnt(0) lgkmcnt(0)
	buffer_wbinvl1_vol
	v_cmp_eq_u32_e32 vcc, 0, v0
	s_and_b64 vcc, vcc, exec
	s_or_b64 s[34:35], s[34:35], vcc
	s_mov_b64 vcc, -1
	s_or_b64 s[30:31], s[30:31], exec
	s_and_saveexec_b64 s[36:37], s[34:35]
	s_cbranch_execz .LBB6_5253
.LBB6_5257:                             ;   in Loop: Header=BB6_5254 Depth=2
	s_sleep 1
	s_trap 2
	ds_read_b64 v[0:1], v0
	s_waitcnt lgkmcnt(0)
	buffer_load_dword v2, off, s[0:3], s33 offset:80 ; 4-byte Folded Reload
	buffer_load_dword v3, off, s[0:3], s33 offset:84 ; 4-byte Folded Reload
	s_andn2_b64 s[30:31], s[30:31], exec
	s_waitcnt vmcnt(0)
	v_cmp_ge_u64_e32 vcc, v[0:1], v[2:3]
	s_orn2_b64 vcc, vcc, exec
	s_branch .LBB6_5253
.LBB6_5258:                             ;   in Loop: Header=BB6_49 Depth=1
	s_or_b64 exec, exec, s[92:93]
	s_and_saveexec_b64 s[92:93], s[94:95]
	s_xor_b64 s[92:93], exec, s[92:93]
	s_cbranch_execz .LBB6_5260
; %bb.5259:                             ;   in Loop: Header=BB6_49 Depth=1
	ds_write_b32 v0, v51
	s_trap 2
.LBB6_5260:                             ;   in Loop: Header=BB6_49 Depth=1
	s_or_b64 exec, exec, s[28:29]
	;;#ASMSTART
	s_wakeup
	;;#ASMEND
.LBB6_5261:                             ;   in Loop: Header=BB6_49 Depth=1
	s_or_b64 exec, exec, s[26:27]
.LBB6_5262:                             ;   in Loop: Header=BB6_49 Depth=1
	s_andn2_saveexec_b64 s[24:25], s[24:25]
	s_cbranch_execz .LBB6_5264
; %bb.5263:                             ;   in Loop: Header=BB6_49 Depth=1
	s_waitcnt vmcnt(0) lgkmcnt(0)
	buffer_wbinvl1_vol
	s_barrier
.LBB6_5264:                             ;   in Loop: Header=BB6_49 Depth=1
	s_or_b64 exec, exec, s[24:25]
.LBB6_5265:                             ;   in Loop: Header=BB6_49 Depth=1
	s_or_b64 exec, exec, s[22:23]
	buffer_load_dword v0, off, s[0:3], s33 offset:76 ; 4-byte Folded Reload
	s_waitcnt vmcnt(0)
	v_and_b32_e32 v0, 16, v0
	v_cmp_ne_u32_e32 vcc, 0, v0
	s_and_b64 s[22:23], vcc, s[20:21]
	s_and_saveexec_b64 s[20:21], s[22:23]
	s_cbranch_execz .LBB6_5267
; %bb.5266:                             ;   in Loop: Header=BB6_49 Depth=1
	s_waitcnt lgkmcnt(0)
	buffer_wbinvl1_vol
.LBB6_5267:                             ;   in Loop: Header=BB6_49 Depth=1
	s_or_b64 exec, exec, s[20:21]
	v_cmp_ne_u32_e32 vcc, 0, v0
	s_xor_b64 s[20:21], s[18:19], -1
	s_and_b64 s[22:23], vcc, s[20:21]
	s_and_saveexec_b64 s[20:21], s[22:23]
	s_cbranch_execz .LBB6_5269
; %bb.5268:                             ;   in Loop: Header=BB6_49 Depth=1
	flat_store_dword v[36:37], v51
.LBB6_5269:                             ;   in Loop: Header=BB6_49 Depth=1
	s_or_b64 exec, exec, s[20:21]
	buffer_load_dword v0, off, s[0:3], s33 offset:76 ; 4-byte Folded Reload
	s_waitcnt vmcnt(0)
	v_and_b32_e32 v0, 48, v0
	v_cmp_ne_u32_e32 vcc, 0, v0
	s_and_saveexec_b64 s[20:21], vcc
	s_cbranch_execz .LBB6_5271
; %bb.5270:                             ;   in Loop: Header=BB6_49 Depth=1
	buffer_load_dword v0, off, s[0:3], s33 offset:68 ; 4-byte Folded Reload
	buffer_load_dword v1, off, s[0:3], s33 offset:72 ; 4-byte Folded Reload
	v_add_co_u32_e32 v21, vcc, 1, v21
	v_addc_co_u32_e32 v22, vcc, 0, v22, vcc
	s_waitcnt vmcnt(0)
	flat_store_dwordx2 v[0:1], v[21:22]
.LBB6_5271:                             ;   in Loop: Header=BB6_49 Depth=1
	s_or_b64 exec, exec, s[20:21]
	v_mov_b32_e32 v0, v43
.LBB6_5272:                             ;   in Loop: Header=BB6_49 Depth=1
	s_or_b64 exec, exec, s[90:91]
	s_and_saveexec_b64 s[22:23], s[88:89]
	s_cbranch_execnz .LBB6_5273
; %bb.10832:                            ;   in Loop: Header=BB6_49 Depth=1
	s_getpc_b64 s[68:69]
.Lpost_getpc15:
	s_add_u32 s68, s68, (.LBB6_48-.Lpost_getpc15)&4294967295
	s_addc_u32 s69, s69, (.LBB6_48-.Lpost_getpc15)>>32
	s_setpc_b64 s[68:69]
.LBB6_5273:                             ;   in Loop: Header=BB6_49 Depth=1
	buffer_load_dword v1, off, s[0:3], s33 offset:76 ; 4-byte Folded Reload
	v_sub_u32_e32 v0, v42, v0
	v_min_i32_e32 v0, v43, v0
	s_waitcnt vmcnt(0)
	v_and_b32_e32 v1, 12, v1
	v_cmp_ne_u32_e32 vcc, 0, v1
	s_and_saveexec_b64 s[24:25], vcc
	s_cbranch_execz .LBB6_5297
; %bb.5274:                             ;   in Loop: Header=BB6_49 Depth=1
	buffer_load_dword v1, off, s[0:3], s33 offset:76 ; 4-byte Folded Reload
	buffer_load_dword v3, off, s[0:3], s33 offset:60 ; 4-byte Folded Reload
	;; [unrolled: 1-line block ×3, first 2 shown]
	s_waitcnt vmcnt(0)
	v_and_b32_e32 v2, 8, v1
	v_add_co_u32_e32 v3, vcc, v3, v2
	v_addc_co_u32_e32 v4, vcc, 0, v4, vcc
	v_add_co_u32_e32 v10, vcc, 1, v21
	v_addc_co_u32_e32 v11, vcc, 0, v22, vcc
	v_cmp_lt_u64_e32 vcc, v[3:4], v[10:11]
	s_and_saveexec_b64 s[26:27], vcc
	s_cbranch_execz .LBB6_5286
; %bb.5275:                             ;   in Loop: Header=BB6_49 Depth=1
	buffer_load_dword v1, off, s[0:3], s33 offset:76 ; 4-byte Folded Reload
	s_mov_b32 s48, 0
	s_mov_b64 s[28:29], 0
                                        ; implicit-def: $sgpr88_sgpr89
                                        ; implicit-def: $sgpr90_sgpr91
                                        ; implicit-def: $sgpr92_sgpr93
	s_waitcnt vmcnt(0)
	v_and_b32_e32 v1, 64, v1
	v_cmp_eq_u32_e32 vcc, 0, v1
	s_branch .LBB6_5279
.LBB6_5276:                             ;   in Loop: Header=BB6_5279 Depth=2
	buffer_load_dword v3, off, s[0:3], s33 offset:60 ; 4-byte Folded Reload
	buffer_load_dword v4, off, s[0:3], s33 offset:64 ; 4-byte Folded Reload
	s_or_b64 s[34:35], s[34:35], exec
	s_waitcnt vmcnt(1)
	v_add_co_u32_e64 v3, s[20:21], v3, v2
	s_waitcnt vmcnt(0)
	v_addc_co_u32_e64 v4, s[20:21], 0, v4, s[20:21]
	v_cmp_ge_u64_e64 s[20:21], v[3:4], v[10:11]
	s_orn2_b64 s[30:31], s[20:21], exec
.LBB6_5277:                             ;   in Loop: Header=BB6_5279 Depth=2
	s_or_b64 exec, exec, s[38:39]
	s_andn2_b64 s[20:21], s[92:93], exec
	s_and_b64 s[92:93], s[34:35], exec
	s_or_b64 s[92:93], s[20:21], s[92:93]
	s_andn2_b64 s[20:21], s[90:91], exec
	s_and_b64 s[90:91], s[30:31], exec
	s_or_b64 s[90:91], s[20:21], s[90:91]
.LBB6_5278:                             ;   in Loop: Header=BB6_5279 Depth=2
	s_or_b64 exec, exec, s[94:95]
	s_and_b64 s[20:21], exec, s[90:91]
	s_or_b64 s[28:29], s[20:21], s[28:29]
	s_andn2_b64 s[20:21], s[88:89], exec
	s_and_b64 s[88:89], s[92:93], exec
	s_or_b64 s[88:89], s[20:21], s[88:89]
	s_andn2_b64 exec, exec, s[28:29]
	s_cbranch_execz .LBB6_5283
.LBB6_5279:                             ;   Parent Loop BB6_49 Depth=1
                                        ; =>  This Inner Loop Header: Depth=2
	s_sleep 1
	buffer_load_dword v3, off, s[0:3], s33 offset:68 ; 4-byte Folded Reload
	buffer_load_dword v4, off, s[0:3], s33 offset:72 ; 4-byte Folded Reload
	s_or_b64 s[92:93], s[92:93], exec
	s_or_b64 s[90:91], s[90:91], exec
                                        ; implicit-def: $vgpr1
	s_waitcnt vmcnt(0)
	flat_load_dwordx2 v[3:4], v[3:4] glc
	s_waitcnt vmcnt(0) lgkmcnt(0)
	buffer_store_dword v3, off, s[0:3], s33 offset:60 ; 4-byte Folded Spill
	s_nop 0
	buffer_store_dword v4, off, s[0:3], s33 offset:64 ; 4-byte Folded Spill
	s_and_saveexec_b64 s[94:95], vcc
	s_cbranch_execz .LBB6_5278
; %bb.5280:                             ;   in Loop: Header=BB6_5279 Depth=2
	s_cmpk_lt_i32 s48, 0x270f
	s_cselect_b64 s[36:37], -1, 0
	s_cmpk_gt_i32 s48, 0x270e
	s_mov_b64 s[30:31], -1
	s_cbranch_scc0 .LBB6_5282
; %bb.5281:                             ;   in Loop: Header=BB6_5279 Depth=2
	s_trap 2
	ds_read_b64 v[3:4], v0
	s_andn2_b64 s[36:37], s[36:37], exec
	s_mov_b32 s48, 0
	s_mov_b64 s[34:35], 0
	s_waitcnt vmcnt(0) lgkmcnt(0)
	flat_load_dword v1, v[3:4] glc
	s_waitcnt vmcnt(0) lgkmcnt(0)
	buffer_wbinvl1_vol
	v_cmp_eq_u32_e64 s[20:21], 0, v1
	s_and_b64 s[20:21], s[20:21], exec
	s_or_b64 s[36:37], s[36:37], s[20:21]
	s_and_saveexec_b64 s[38:39], s[36:37]
	s_cbranch_execz .LBB6_5277
	s_branch .LBB6_5276
.LBB6_5282:                             ;   in Loop: Header=BB6_5279 Depth=2
	s_add_i32 s48, s48, 1
	s_mov_b64 s[34:35], -1
                                        ; implicit-def: $vgpr1
	s_and_saveexec_b64 s[38:39], s[36:37]
	s_cbranch_execz .LBB6_5277
	s_branch .LBB6_5276
.LBB6_5283:                             ;   in Loop: Header=BB6_49 Depth=1
	s_or_b64 exec, exec, s[28:29]
	s_xor_b64 s[20:21], s[88:89], -1
	s_and_saveexec_b64 s[28:29], s[20:21]
	s_xor_b64 s[20:21], exec, s[28:29]
	s_cbranch_execz .LBB6_5285
; %bb.5284:                             ;   in Loop: Header=BB6_49 Depth=1
	ds_write_b32 v0, v1
	s_trap 2
	buffer_load_dword v1, off, s[0:3], s33 offset:76 ; 4-byte Folded Reload
	s_waitcnt vmcnt(0)
	v_or_b32_e32 v1, 64, v1
	buffer_store_dword v1, off, s[0:3], s33 offset:76 ; 4-byte Folded Spill
.LBB6_5285:                             ;   in Loop: Header=BB6_49 Depth=1
	s_or_b64 exec, exec, s[20:21]
.LBB6_5286:                             ;   in Loop: Header=BB6_49 Depth=1
	s_or_b64 exec, exec, s[26:27]
	;;#ASMSTART
	s_wakeup
	;;#ASMEND
	buffer_load_dword v1, off, s[0:3], s33 offset:76 ; 4-byte Folded Reload
	v_and_b32_e32 v3, 7, v21
	s_waitcnt vmcnt(0)
	v_and_b32_e32 v1, 0x108, v1
	v_cmp_ne_u32_e32 vcc, s52, v1
	s_and_saveexec_b64 s[20:21], vcc
	s_xor_b64 s[20:21], exec, s[20:21]
	s_andn2_saveexec_b64 s[20:21], s[20:21]
	s_cbranch_execz .LBB6_5288
; %bb.5287:                             ;   in Loop: Header=BB6_49 Depth=1
	v_mad_u64_u32 v[4:5], s[26:27], v3, 24, v[19:20]
	v_ashrrev_i32_e32 v1, 31, v0
	flat_store_dwordx2 v[4:5], v[0:1] offset:8
.LBB6_5288:                             ;   in Loop: Header=BB6_49 Depth=1
	s_or_b64 exec, exec, s[20:21]
	buffer_load_dword v1, off, s[0:3], s33 offset:76 ; 4-byte Folded Reload
	s_mov_b64 s[20:21], -1
                                        ; implicit-def: $vgpr8_vgpr9
	s_waitcnt vmcnt(0)
	v_and_b32_e32 v1, 0x100, v1
	v_cmp_ne_u32_e32 vcc, 0, v1
	s_and_saveexec_b64 s[26:27], vcc
	s_cbranch_execz .LBB6_5292
; %bb.5289:                             ;   in Loop: Header=BB6_49 Depth=1
	v_mad_u64_u32 v[12:13], s[20:21], v3, 24, v[19:20]
                                        ; implicit-def: $vgpr8_vgpr9
	v_mov_b32_e32 v1, v13
	v_mad_u64_u32 v[4:5], s[20:21], v61, 24, v[1:2]
	v_mov_b32_e32 v13, v4
	flat_load_dword v1, v[12:13]
	s_waitcnt vmcnt(0) lgkmcnt(0)
	v_cmp_ne_u32_e32 vcc, 1, v1
	v_cmp_eq_u32_e64 s[20:21], 1, v1
	s_and_saveexec_b64 s[28:29], s[20:21]
	s_cbranch_execz .LBB6_5291
; %bb.5290:                             ;   in Loop: Header=BB6_49 Depth=1
	flat_load_dword v8, v[12:13] offset:4 glc
	s_waitcnt vmcnt(0) lgkmcnt(0)
	v_ashrrev_i32_e32 v9, 31, v8
.LBB6_5291:                             ;   in Loop: Header=BB6_49 Depth=1
	s_or_b64 exec, exec, s[28:29]
	s_orn2_b64 s[20:21], vcc, exec
.LBB6_5292:                             ;   in Loop: Header=BB6_49 Depth=1
	s_or_b64 exec, exec, s[26:27]
	s_and_saveexec_b64 s[26:27], s[20:21]
	s_cbranch_execz .LBB6_5294
; %bb.5293:                             ;   in Loop: Header=BB6_49 Depth=1
	buffer_load_dword v5, off, s[0:3], s33 offset:232 ; 4-byte Folded Reload
	v_mul_lo_u32 v4, v3, v38
	s_waitcnt vmcnt(0)
	v_mul_lo_u32 v1, v61, v5
	v_mad_u64_u32 v[8:9], s[20:21], v3, v5, 0
	v_add3_u32 v9, v9, v4, v1
.LBB6_5294:                             ;   in Loop: Header=BB6_49 Depth=1
	s_or_b64 exec, exec, s[26:27]
	v_cmp_eq_u32_e32 vcc, 0, v2
	buffer_load_dword v1, off, s[0:3], s33 offset:212 ; 4-byte Folded Reload
	buffer_load_dword v2, off, s[0:3], s33 offset:216 ; 4-byte Folded Reload
	v_cndmask_b32_e32 v3, v52, v53, vcc
	v_add_u32_e32 v3, v0, v3
	s_waitcnt vmcnt(0)
	v_add_co_u32_e32 v1, vcc, v1, v8
	v_addc_co_u32_e32 v2, vcc, v2, v9, vcc
	ds_write_b64 v3, v[1:2] offset:584
	buffer_load_dword v1, off, s[0:3], s33 offset:76 ; 4-byte Folded Reload
	s_waitcnt vmcnt(0)
	v_and_b32_e32 v1, 0x2000, v1
	v_cmp_ne_u32_e32 vcc, 0, v1
	s_and_saveexec_b64 s[20:21], vcc
	s_cbranch_execz .LBB6_5296
; %bb.5295:                             ;   in Loop: Header=BB6_49 Depth=1
	ds_read_b64 v[1:2], v0 offset:872
	s_waitcnt lgkmcnt(0)
	v_add_co_u32_e32 v1, vcc, 1, v1
	v_addc_co_u32_e32 v2, vcc, 0, v2, vcc
	ds_write_b64 v0, v[1:2] offset:872
.LBB6_5296:                             ;   in Loop: Header=BB6_49 Depth=1
	s_or_b64 exec, exec, s[20:21]
	v_mov_b32_e32 v22, v11
	v_mov_b32_e32 v21, v10
.LBB6_5297:                             ;   in Loop: Header=BB6_49 Depth=1
	s_or_b64 exec, exec, s[24:25]
	s_and_saveexec_b64 s[20:21], s[10:11]
	s_cbranch_execz .LBB6_5316
; %bb.5298:                             ;   in Loop: Header=BB6_49 Depth=1
	s_and_saveexec_b64 s[24:25], s[56:57]
	s_xor_b64 s[24:25], exec, s[24:25]
	s_cbranch_execz .LBB6_5313
; %bb.5299:                             ;   in Loop: Header=BB6_49 Depth=1
	s_and_saveexec_b64 s[26:27], s[12:13]
	s_cbranch_execz .LBB6_5312
; %bb.5300:                             ;   in Loop: Header=BB6_49 Depth=1
	s_mov_b64 s[88:89], exec
	v_mbcnt_lo_u32_b32 v1, s88, 0
	v_mbcnt_hi_u32_b32 v1, s89, v1
	v_cmp_eq_u32_e32 vcc, 0, v1
	s_waitcnt lgkmcnt(0)
	buffer_wbinvl1_vol
	s_and_saveexec_b64 s[28:29], vcc
	s_cbranch_execz .LBB6_5302
; %bb.5301:                             ;   in Loop: Header=BB6_49 Depth=1
	s_bcnt1_i32_b64 s88, s[88:89]
	v_mov_b32_e32 v60, s88
	ds_add_u64 v0, v[60:61]
	s_trap 2
.LBB6_5302:                             ;   in Loop: Header=BB6_49 Depth=1
	s_or_b64 exec, exec, s[28:29]
	s_trap 2
	ds_read_b64 v[1:2], v0
	s_waitcnt lgkmcnt(0)
	buffer_load_dword v3, off, s[0:3], s33 offset:80 ; 4-byte Folded Reload
	buffer_load_dword v4, off, s[0:3], s33 offset:84 ; 4-byte Folded Reload
	;; [unrolled: 1-line block ×3, first 2 shown]
	s_waitcnt vmcnt(0)
	v_add_co_u32_e32 v3, vcc, v3, v5
	v_addc_co_u32_e32 v4, vcc, 0, v4, vcc
	buffer_store_dword v3, off, s[0:3], s33 offset:80 ; 4-byte Folded Spill
	s_nop 0
	buffer_store_dword v4, off, s[0:3], s33 offset:84 ; 4-byte Folded Spill
	v_cmp_lt_u64_e32 vcc, v[1:2], v[3:4]
	s_and_saveexec_b64 s[28:29], vcc
	s_cbranch_execz .LBB6_5311
; %bb.5303:                             ;   in Loop: Header=BB6_49 Depth=1
	s_mov_b32 s34, 0
	s_mov_b64 s[88:89], 0
                                        ; implicit-def: $sgpr90_sgpr91
                                        ; implicit-def: $sgpr92_sgpr93
	s_branch .LBB6_5305
.LBB6_5304:                             ;   in Loop: Header=BB6_5305 Depth=2
	s_or_b64 exec, exec, s[30:31]
	s_and_b64 s[94:95], exec, vcc
	s_or_b64 s[88:89], s[94:95], s[88:89]
	s_andn2_b64 s[90:91], s[90:91], exec
	s_and_b64 s[94:95], s[92:93], exec
	s_or_b64 s[90:91], s[90:91], s[94:95]
	s_andn2_b64 exec, exec, s[88:89]
	s_cbranch_execz .LBB6_5309
.LBB6_5305:                             ;   Parent Loop BB6_49 Depth=1
                                        ; =>  This Inner Loop Header: Depth=2
	s_add_i32 s34, s34, 1
	s_cmpk_lg_i32 s34, 0x2710
	s_cselect_b64 s[94:95], -1, 0
	s_and_b64 vcc, exec, s[94:95]
	s_cbranch_vccz .LBB6_5307
; %bb.5306:                             ;   in Loop: Header=BB6_5305 Depth=2
	s_mov_b64 vcc, -1
	s_or_b64 s[92:93], s[92:93], exec
	s_and_saveexec_b64 s[30:31], s[94:95]
	s_cbranch_execz .LBB6_5304
	s_branch .LBB6_5308
.LBB6_5307:                             ;   in Loop: Header=BB6_5305 Depth=2
	s_trap 2
	ds_read_b64 v[1:2], v0
	s_andn2_b64 s[94:95], s[94:95], exec
	s_mov_b32 s34, 0
	s_waitcnt vmcnt(0) lgkmcnt(0)
	flat_load_dword v1, v[1:2] glc
	s_waitcnt vmcnt(0) lgkmcnt(0)
	buffer_wbinvl1_vol
	v_cmp_eq_u32_e32 vcc, 0, v1
	s_and_b64 vcc, vcc, exec
	s_or_b64 s[94:95], s[94:95], vcc
	s_mov_b64 vcc, -1
	s_or_b64 s[92:93], s[92:93], exec
	s_and_saveexec_b64 s[30:31], s[94:95]
	s_cbranch_execz .LBB6_5304
.LBB6_5308:                             ;   in Loop: Header=BB6_5305 Depth=2
	s_sleep 1
	s_trap 2
	ds_read_b64 v[1:2], v0
	s_waitcnt lgkmcnt(0)
	buffer_load_dword v3, off, s[0:3], s33 offset:80 ; 4-byte Folded Reload
	buffer_load_dword v4, off, s[0:3], s33 offset:84 ; 4-byte Folded Reload
	s_andn2_b64 s[92:93], s[92:93], exec
	s_waitcnt vmcnt(0)
	v_cmp_ge_u64_e32 vcc, v[1:2], v[3:4]
	s_orn2_b64 vcc, vcc, exec
	s_branch .LBB6_5304
.LBB6_5309:                             ;   in Loop: Header=BB6_49 Depth=1
	s_or_b64 exec, exec, s[88:89]
	s_and_saveexec_b64 s[88:89], s[90:91]
	s_xor_b64 s[88:89], exec, s[88:89]
	s_cbranch_execz .LBB6_5311
; %bb.5310:                             ;   in Loop: Header=BB6_49 Depth=1
	ds_write_b32 v0, v51
	s_trap 2
.LBB6_5311:                             ;   in Loop: Header=BB6_49 Depth=1
	s_or_b64 exec, exec, s[28:29]
	;;#ASMSTART
	s_wakeup
	;;#ASMEND
.LBB6_5312:                             ;   in Loop: Header=BB6_49 Depth=1
	s_or_b64 exec, exec, s[26:27]
.LBB6_5313:                             ;   in Loop: Header=BB6_49 Depth=1
	s_andn2_saveexec_b64 s[24:25], s[24:25]
	s_cbranch_execz .LBB6_5315
; %bb.5314:                             ;   in Loop: Header=BB6_49 Depth=1
	s_waitcnt vmcnt(0) lgkmcnt(0)
	buffer_wbinvl1_vol
	s_barrier
.LBB6_5315:                             ;   in Loop: Header=BB6_49 Depth=1
	s_or_b64 exec, exec, s[24:25]
.LBB6_5316:                             ;   in Loop: Header=BB6_49 Depth=1
	s_or_b64 exec, exec, s[20:21]
	s_trap 2
	ds_read_b32 v1, v0
	v_cmp_lt_i32_e32 vcc, 0, v0
	buffer_load_dword v0, off, s[0:3], s33 offset:76 ; 4-byte Folded Reload
	s_waitcnt lgkmcnt(0)
	v_readfirstlane_b32 s20, v1
	s_cmp_eq_u32 s20, 0
	s_cselect_b64 s[20:21], -1, 0
	s_and_b64 s[20:21], vcc, s[20:21]
	s_waitcnt vmcnt(0)
	v_and_b32_e32 v0, 16, v0
	v_cmp_ne_u32_e32 vcc, 0, v0
	s_and_b64 s[24:25], vcc, s[20:21]
	s_and_saveexec_b64 s[20:21], s[24:25]
	s_cbranch_execz .LBB6_5318
; %bb.5317:                             ;   in Loop: Header=BB6_49 Depth=1
	buffer_wbinvl1_vol
.LBB6_5318:                             ;   in Loop: Header=BB6_49 Depth=1
	s_or_b64 exec, exec, s[20:21]
	v_cmp_ne_u32_e32 vcc, 0, v0
	s_xor_b64 s[20:21], s[18:19], -1
	s_and_b64 s[24:25], vcc, s[20:21]
	s_and_saveexec_b64 s[20:21], s[24:25]
	s_cbranch_execz .LBB6_5320
; %bb.5319:                             ;   in Loop: Header=BB6_49 Depth=1
	flat_store_dword v[36:37], v51
.LBB6_5320:                             ;   in Loop: Header=BB6_49 Depth=1
	s_or_b64 exec, exec, s[20:21]
	buffer_load_dword v0, off, s[0:3], s33 offset:76 ; 4-byte Folded Reload
	s_waitcnt vmcnt(0)
	v_and_b32_e32 v0, 48, v0
	v_cmp_ne_u32_e32 vcc, 0, v0
	s_and_saveexec_b64 s[20:21], vcc
	s_cbranch_execnz .LBB6_5321
; %bb.10834:                            ;   in Loop: Header=BB6_49 Depth=1
	s_getpc_b64 s[68:69]
.Lpost_getpc16:
	s_add_u32 s68, s68, (.LBB6_47-.Lpost_getpc16)&4294967295
	s_addc_u32 s69, s69, (.LBB6_47-.Lpost_getpc16)>>32
	s_setpc_b64 s[68:69]
.LBB6_5321:                             ;   in Loop: Header=BB6_49 Depth=1
	buffer_load_dword v0, off, s[0:3], s33 offset:68 ; 4-byte Folded Reload
	buffer_load_dword v1, off, s[0:3], s33 offset:72 ; 4-byte Folded Reload
	v_add_co_u32_e32 v21, vcc, 1, v21
	v_addc_co_u32_e32 v22, vcc, 0, v22, vcc
	s_waitcnt vmcnt(0)
	flat_store_dwordx2 v[0:1], v[21:22]
; %bb.10810:                            ;   in Loop: Header=BB6_49 Depth=1
	s_getpc_b64 s[68:69]
.Lpost_getpc4:
	s_add_u32 s68, s68, (.LBB6_47-.Lpost_getpc4)&4294967295
	s_addc_u32 s69, s69, (.LBB6_47-.Lpost_getpc4)>>32
	s_setpc_b64 s[68:69]
.LBB6_5322:
	s_or_b64 exec, exec, s[60:61]
	buffer_load_dword v61, off, s[0:3], s33 offset:292 ; 4-byte Folded Reload
.LBB6_5323:
	s_or_b64 exec, exec, s[46:47]
                                        ; implicit-def: $vgpr0_vgpr1
                                        ; kill: killed $vgpr0_vgpr1
                                        ; implicit-def: $vgpr14_vgpr15
                                        ; implicit-def: $vgpr6
                                        ; implicit-def: $vgpr0
                                        ; kill: killed $vgpr0
                                        ; implicit-def: $vgpr0_vgpr1
                                        ; kill: killed $vgpr0_vgpr1
                                        ; implicit-def: $vgpr0_vgpr1
                                        ; kill: killed $vgpr0_vgpr1
	;; [unrolled: 2-line block ×3, first 2 shown]
                                        ; implicit-def: $vgpr0
                                        ; kill: killed $vgpr0
                                        ; implicit-def: $vgpr0
	buffer_store_dword v0, off, s[0:3], s33 offset:92 ; 4-byte Folded Spill
	s_nop 0
	buffer_store_dword v1, off, s[0:3], s33 offset:96 ; 4-byte Folded Spill
.LBB6_5324:
	s_andn2_saveexec_b64 s[28:29], s[44:45]
	s_cbranch_execnz .LBB6_5325
; %bb.10836:
	s_getpc_b64 s[68:69]
.Lpost_getpc17:
	s_add_u32 s68, s68, (.LBB6_10596-.Lpost_getpc17)&4294967295
	s_addc_u32 s69, s69, (.LBB6_10596-.Lpost_getpc17)>>32
	s_setpc_b64 s[68:69]
.LBB6_5325:
	v_mov_b32_e32 v0, 0
	s_waitcnt vmcnt(0)
	v_cmp_ne_u64_e32 vcc, 0, v[14:15]
	v_mov_b32_e32 v1, 0
	buffer_store_dword v0, off, s[0:3], s33 offset:80 ; 4-byte Folded Spill
	s_nop 0
	buffer_store_dword v1, off, s[0:3], s33 offset:84 ; 4-byte Folded Spill
	s_and_saveexec_b64 s[44:45], vcc
	s_cbranch_execnz .LBB6_5326
; %bb.10838:
	s_getpc_b64 s[68:69]
.Lpost_getpc18:
	s_add_u32 s68, s68, (.LBB6_10595-.Lpost_getpc18)&4294967295
	s_addc_u32 s69, s69, (.LBB6_10595-.Lpost_getpc18)>>32
	s_setpc_b64 s[68:69]
.LBB6_5326:
	buffer_load_dword v1, off, s[0:3], s33 offset:220 ; 4-byte Folded Reload
	s_trap 2
	buffer_load_dword v0, off, s[0:3], s33 offset:264 ; 4-byte Folded Reload
	s_ashr_i32 s6, s50, 31
	s_lshr_b32 s6, s6, 24
	s_add_i32 s6, s50, s6
	s_ashr_i32 s48, s6, 8
	v_cmp_eq_u32_e32 vcc, 64, v61
	s_mov_b32 s56, 0
	v_mov_b32_e32 v24, 0
	s_mov_b32 s76, -1
	v_cmp_ne_u32_e64 s[10:11], 64, v61
	s_mov_b32 s57, 0x1000000
	v_lshrrev_b32_e32 v46, 6, v61
	v_mov_b32_e32 v3, 0
	v_and_b32_e32 v23, 0x3fc0, v61
	s_mov_b64 s[58:59], 0
	v_mov_b32_e32 v25, 0
	s_xor_b64 s[60:61], vcc, -1
	s_movk_i32 s49, 0x80
	s_movk_i32 s51, 0x7f
	s_brev_b32 s52, 1
	s_mov_b64 s[62:63], 0x7f800000
	s_mov_b64 s[72:73], 0x43e00001
	s_movk_i32 s53, 0x7a
	s_mov_b64 s[74:75], 0xffffff
	s_mov_b32 s77, 0xffffff
	s_movk_i32 s54, 0xffc0
	s_mov_b32 s55, 0x3ffffc00
	v_bfrev_b32_e32 v5, 60
	v_mov_b32_e32 v59, 0xffffff82
	v_mov_b32_e32 v54, 0x7f800001
	s_waitcnt vmcnt(0)
	v_and_b32_e32 v2, 63, v1
	v_cmp_ge_u32_e64 s[6:7], v1, v61
	v_cmp_ne_u32_sdwa s[46:47], v61, v0 src0_sel:DWORD src1_sel:WORD_0
	buffer_load_dword v0, off, s[0:3], s33 offset:260 ; 4-byte Folded Reload
	v_cmp_le_u32_e64 s[14:15], v2, v6
	buffer_store_dword v2, off, s[0:3], s33 offset:332 ; 4-byte Folded Spill
	v_cmp_eq_u32_e64 s[16:17], 0, v2
	s_waitcnt vmcnt(0)
	v_and_b32_e32 v0, 63, v0
	v_cmp_eq_u32_e64 s[12:13], 0, v0
	v_lshrrev_b32_e32 v0, 6, v1
	buffer_store_dword v0, off, s[0:3], s33 offset:304 ; 4-byte Folded Spill
	v_lshlrev_b32_e32 v0, 12, v0
	v_lshl_or_b32 v0, v2, 4, v0
	buffer_store_dword v0, off, s[0:3], s33 offset:336 ; 4-byte Folded Spill
	v_mov_b32_e32 v0, 0
	v_mov_b32_e32 v1, 0
	buffer_store_dword v0, off, s[0:3], s33 offset:80 ; 4-byte Folded Spill
	s_nop 0
	buffer_store_dword v1, off, s[0:3], s33 offset:84 ; 4-byte Folded Spill
	buffer_load_dword v6, off, s[0:3], s33 offset:92 ; 4-byte Folded Reload
	buffer_load_dword v7, off, s[0:3], s33 offset:96 ; 4-byte Folded Reload
	s_nop 0
	buffer_store_dword v23, off, s[0:3], s33 offset:296 ; 4-byte Folded Spill
	buffer_store_dword v61, off, s[0:3], s33 offset:292 ; 4-byte Folded Spill
	;; [unrolled: 1-line block ×3, first 2 shown]
	s_nop 0
	buffer_store_dword v15, off, s[0:3], s33 offset:180 ; 4-byte Folded Spill
	buffer_store_dword v16, off, s[0:3], s33 offset:184 ; 4-byte Folded Spill
	;; [unrolled: 1-line block ×4, first 2 shown]
	s_branch .LBB6_5329
.LBB6_5327:                             ;   in Loop: Header=BB6_5329 Depth=1
	s_or_b64 exec, exec, s[18:19]
.LBB6_5328:                             ;   in Loop: Header=BB6_5329 Depth=1
	s_or_b64 exec, exec, s[20:21]
	buffer_load_dword v6, off, s[0:3], s33 offset:92 ; 4-byte Folded Reload
	buffer_load_dword v7, off, s[0:3], s33 offset:96 ; 4-byte Folded Reload
	s_waitcnt vmcnt(0)
	v_add_co_u32_e32 v24, vcc, v24, v6
	v_addc_co_u32_e32 v25, vcc, 0, v25, vcc
	v_cmp_ge_u64_e32 vcc, v[24:25], v[14:15]
	s_or_b64 s[58:59], vcc, s[58:59]
	s_andn2_b64 exec, exec, s[58:59]
	s_cbranch_execnz .LBB6_5329
; %bb.10840:
	s_getpc_b64 s[68:69]
.Lpost_getpc19:
	s_add_u32 s68, s68, (.LBB6_10594-.Lpost_getpc19)&4294967295
	s_addc_u32 s69, s69, (.LBB6_10594-.Lpost_getpc19)>>32
	s_setpc_b64 s[68:69]
.LBB6_5329:                             ; =>This Loop Header: Depth=1
                                        ;     Child Loop BB6_5338 Depth 2
                                        ;     Child Loop BB6_5362 Depth 2
	;; [unrolled: 1-line block ×10, first 2 shown]
	v_sub_co_u32_e32 v0, vcc, v14, v24
	v_subb_co_u32_e32 v1, vcc, v15, v25, vcc
	s_waitcnt vmcnt(0)
	v_cmp_lt_u64_e32 vcc, v[6:7], v[0:1]
	v_mov_b32_e32 v4, v3
	v_cndmask_b32_e64 v7, v1, 0, vcc
	v_cndmask_b32_e32 v6, v0, v6, vcc
	v_cmp_eq_u64_e32 vcc, 0, v[6:7]
	v_add_u32_e32 v0, 15, v6
	v_and_b32_e32 v0, 0x7ffffff0, v0
	s_or_b64 s[78:79], s[6:7], vcc
	v_mov_b32_e32 v1, v6
	v_max_i32_e32 v26, s48, v0
	s_xor_b64 s[18:19], s[78:79], -1
	buffer_store_dword v1, off, s[0:3], s33 offset:204 ; 4-byte Folded Spill
	s_nop 0
	buffer_store_dword v2, off, s[0:3], s33 offset:208 ; 4-byte Folded Spill
	s_and_saveexec_b64 s[88:89], s[18:19]
	s_cbranch_execnz .LBB6_5330
; %bb.10842:                            ;   in Loop: Header=BB6_5329 Depth=1
	s_getpc_b64 s[68:69]
.Lpost_getpc20:
	s_add_u32 s68, s68, (.LBB6_10548-.Lpost_getpc20)&4294967295
	s_addc_u32 s69, s69, (.LBB6_10548-.Lpost_getpc20)>>32
	s_setpc_b64 s[68:69]
.LBB6_5330:                             ;   in Loop: Header=BB6_5329 Depth=1
	s_and_saveexec_b64 s[18:19], s[4:5]
	s_cbranch_execz .LBB6_5332
; %bb.5331:                             ;   in Loop: Header=BB6_5329 Depth=1
	s_trap 2
	ds_read2_b64 v[6:9], v0 offset1:1
	buffer_load_dword v0, off, s[0:3], s33 offset:224 ; 4-byte Folded Reload
	buffer_load_dword v1, off, s[0:3], s33 offset:228 ; 4-byte Folded Reload
	s_waitcnt vmcnt(0)
	v_add_co_u32_e32 v2, vcc, v24, v0
	v_addc_co_u32_e32 v4, vcc, v25, v1, vcc
	ds_read_b64 v[0:1], v0
	s_waitcnt lgkmcnt(0)
	v_add_co_u32_e32 v6, vcc, v6, v2
	v_addc_co_u32_e32 v7, vcc, v7, v4, vcc
	ds_write_b64 v0, v[6:7]
	v_add_co_u32_e32 v6, vcc, v8, v2
	v_addc_co_u32_e32 v7, vcc, v9, v4, vcc
	v_add_co_u32_e32 v2, vcc, v0, v2
	v_addc_co_u32_e32 v4, vcc, v1, v4, vcc
	v_cmp_ne_u64_e32 vcc, 0, v[0:1]
	ds_write_b64 v0, v[6:7]
	v_cndmask_b32_e32 v1, 0, v4, vcc
	v_cndmask_b32_e32 v0, 0, v2, vcc
	ds_write_b64 v0, v[0:1]
.LBB6_5332:                             ;   in Loop: Header=BB6_5329 Depth=1
	s_or_b64 exec, exec, s[18:19]
	buffer_load_dword v0, off, s[0:3], s33 offset:76 ; 4-byte Folded Reload
	s_waitcnt vmcnt(0)
	v_and_b32_e32 v0, 4, v0
	v_cmp_ne_u32_e32 vcc, 0, v0
	s_and_saveexec_b64 s[20:21], vcc
	s_cbranch_execz .LBB6_5354
; %bb.5333:                             ;   in Loop: Header=BB6_5329 Depth=1
	buffer_load_dword v6, off, s[0:3], s33 offset:60 ; 4-byte Folded Reload
	buffer_load_dword v7, off, s[0:3], s33 offset:64 ; 4-byte Folded Reload
	v_add_co_u32_e32 v0, vcc, 1, v21
	v_addc_co_u32_e32 v1, vcc, 0, v22, vcc
	s_waitcnt vmcnt(0)
	v_cmp_lt_u64_e32 vcc, v[6:7], v[0:1]
	s_and_saveexec_b64 s[22:23], vcc
	s_cbranch_execz .LBB6_5345
; %bb.5334:                             ;   in Loop: Header=BB6_5329 Depth=1
	buffer_load_dword v2, off, s[0:3], s33 offset:76 ; 4-byte Folded Reload
	s_mov_b32 s64, 0
	s_mov_b64 s[24:25], 0
                                        ; implicit-def: $sgpr26_sgpr27
                                        ; implicit-def: $sgpr90_sgpr91
                                        ; implicit-def: $sgpr92_sgpr93
	s_waitcnt vmcnt(0)
	v_and_b32_e32 v2, 64, v2
	v_cmp_eq_u32_e32 vcc, 0, v2
	s_branch .LBB6_5338
.LBB6_5335:                             ;   in Loop: Header=BB6_5338 Depth=2
	buffer_load_dword v6, off, s[0:3], s33 offset:60 ; 4-byte Folded Reload
	buffer_load_dword v7, off, s[0:3], s33 offset:64 ; 4-byte Folded Reload
	s_or_b64 s[34:35], s[34:35], exec
	s_waitcnt vmcnt(0)
	v_cmp_ge_u64_e64 s[18:19], v[6:7], v[0:1]
	s_orn2_b64 s[30:31], s[18:19], exec
.LBB6_5336:                             ;   in Loop: Header=BB6_5338 Depth=2
	s_or_b64 exec, exec, s[38:39]
	s_andn2_b64 s[18:19], s[92:93], exec
	s_and_b64 s[92:93], s[34:35], exec
	s_or_b64 s[92:93], s[18:19], s[92:93]
	s_andn2_b64 s[18:19], s[90:91], exec
	s_and_b64 s[90:91], s[30:31], exec
	s_or_b64 s[90:91], s[18:19], s[90:91]
.LBB6_5337:                             ;   in Loop: Header=BB6_5338 Depth=2
	s_or_b64 exec, exec, s[94:95]
	s_and_b64 s[18:19], exec, s[90:91]
	s_or_b64 s[24:25], s[18:19], s[24:25]
	s_andn2_b64 s[18:19], s[26:27], exec
	s_and_b64 s[26:27], s[92:93], exec
	s_or_b64 s[26:27], s[18:19], s[26:27]
	s_andn2_b64 exec, exec, s[24:25]
	s_cbranch_execz .LBB6_5342
.LBB6_5338:                             ;   Parent Loop BB6_5329 Depth=1
                                        ; =>  This Inner Loop Header: Depth=2
	s_sleep 1
	buffer_load_dword v6, off, s[0:3], s33 offset:68 ; 4-byte Folded Reload
	buffer_load_dword v7, off, s[0:3], s33 offset:72 ; 4-byte Folded Reload
	s_or_b64 s[92:93], s[92:93], exec
	s_or_b64 s[90:91], s[90:91], exec
                                        ; implicit-def: $vgpr2
	s_waitcnt vmcnt(0)
	flat_load_dwordx2 v[6:7], v[6:7] glc
	s_waitcnt vmcnt(0) lgkmcnt(0)
	buffer_store_dword v6, off, s[0:3], s33 offset:60 ; 4-byte Folded Spill
	s_nop 0
	buffer_store_dword v7, off, s[0:3], s33 offset:64 ; 4-byte Folded Spill
	s_and_saveexec_b64 s[94:95], vcc
	s_cbranch_execz .LBB6_5337
; %bb.5339:                             ;   in Loop: Header=BB6_5338 Depth=2
	s_cmpk_lt_i32 s64, 0x270f
	s_cselect_b64 s[36:37], -1, 0
	s_cmpk_gt_i32 s64, 0x270e
	s_mov_b64 s[30:31], -1
	s_cbranch_scc0 .LBB6_5341
; %bb.5340:                             ;   in Loop: Header=BB6_5338 Depth=2
	s_trap 2
	ds_read_b64 v[6:7], v0
	s_andn2_b64 s[36:37], s[36:37], exec
	s_mov_b32 s64, 0
	s_mov_b64 s[34:35], 0
	s_waitcnt vmcnt(0) lgkmcnt(0)
	flat_load_dword v2, v[6:7] glc
	s_waitcnt vmcnt(0) lgkmcnt(0)
	buffer_wbinvl1_vol
	v_cmp_eq_u32_e64 s[18:19], 0, v2
	s_and_b64 s[18:19], s[18:19], exec
	s_or_b64 s[36:37], s[36:37], s[18:19]
	s_and_saveexec_b64 s[38:39], s[36:37]
	s_cbranch_execz .LBB6_5336
	s_branch .LBB6_5335
.LBB6_5341:                             ;   in Loop: Header=BB6_5338 Depth=2
	s_add_i32 s64, s64, 1
	s_mov_b64 s[34:35], -1
                                        ; implicit-def: $vgpr2
	s_and_saveexec_b64 s[38:39], s[36:37]
	s_cbranch_execz .LBB6_5336
	s_branch .LBB6_5335
.LBB6_5342:                             ;   in Loop: Header=BB6_5329 Depth=1
	s_or_b64 exec, exec, s[24:25]
	s_xor_b64 s[18:19], s[26:27], -1
	s_and_saveexec_b64 s[24:25], s[18:19]
	s_xor_b64 s[18:19], exec, s[24:25]
	s_cbranch_execz .LBB6_5344
; %bb.5343:                             ;   in Loop: Header=BB6_5329 Depth=1
	ds_write_b32 v0, v2
	s_trap 2
	buffer_load_dword v2, off, s[0:3], s33 offset:76 ; 4-byte Folded Reload
	s_waitcnt vmcnt(0)
	v_or_b32_e32 v2, 64, v2
	buffer_store_dword v2, off, s[0:3], s33 offset:76 ; 4-byte Folded Spill
.LBB6_5344:                             ;   in Loop: Header=BB6_5329 Depth=1
	s_or_b64 exec, exec, s[18:19]
.LBB6_5345:                             ;   in Loop: Header=BB6_5329 Depth=1
	s_or_b64 exec, exec, s[22:23]
	;;#ASMSTART
	s_wakeup
	;;#ASMEND
	buffer_load_dword v2, off, s[0:3], s33 offset:76 ; 4-byte Folded Reload
	s_mov_b64 s[18:19], -1
                                        ; implicit-def: $vgpr8_vgpr9
	s_waitcnt vmcnt(0)
	v_and_b32_e32 v2, 0x100, v2
	v_cmp_ne_u32_e32 vcc, 0, v2
	v_and_b32_e32 v2, 7, v21
	s_and_saveexec_b64 s[22:23], vcc
	s_cbranch_execz .LBB6_5349
; %bb.5346:                             ;   in Loop: Header=BB6_5329 Depth=1
	v_mad_u64_u32 v[10:11], s[18:19], v2, 24, v[19:20]
                                        ; implicit-def: $vgpr8_vgpr9
	flat_load_dword v4, v[10:11]
	s_waitcnt vmcnt(0) lgkmcnt(0)
	v_cmp_ne_u32_e32 vcc, 1, v4
	v_cmp_eq_u32_e64 s[18:19], 1, v4
	s_and_saveexec_b64 s[24:25], s[18:19]
	s_cbranch_execz .LBB6_5348
; %bb.5347:                             ;   in Loop: Header=BB6_5329 Depth=1
	flat_load_dword v8, v[10:11] offset:4 glc
	s_waitcnt vmcnt(0) lgkmcnt(0)
	v_ashrrev_i32_e32 v9, 31, v8
.LBB6_5348:                             ;   in Loop: Header=BB6_5329 Depth=1
	s_or_b64 exec, exec, s[24:25]
	s_orn2_b64 s[18:19], vcc, exec
.LBB6_5349:                             ;   in Loop: Header=BB6_5329 Depth=1
	s_or_b64 exec, exec, s[22:23]
	s_and_saveexec_b64 s[22:23], s[18:19]
	s_cbranch_execz .LBB6_5351
; %bb.5350:                             ;   in Loop: Header=BB6_5329 Depth=1
	buffer_load_dword v4, off, s[0:3], s33 offset:232 ; 4-byte Folded Reload
	s_waitcnt vmcnt(0)
	v_mad_i64_i32 v[8:9], s[18:19], v2, v4, 0
.LBB6_5351:                             ;   in Loop: Header=BB6_5329 Depth=1
	s_or_b64 exec, exec, s[22:23]
	buffer_load_dword v6, off, s[0:3], s33 offset:212 ; 4-byte Folded Reload
	buffer_load_dword v7, off, s[0:3], s33 offset:216 ; 4-byte Folded Reload
	;; [unrolled: 1-line block ×3, first 2 shown]
	s_waitcnt vmcnt(0)
	v_add_co_u32_e32 v6, vcc, v6, v8
	v_addc_co_u32_e32 v7, vcc, v7, v9, vcc
	v_and_b32_e32 v2, 0x2000, v2
	v_cmp_ne_u32_e32 vcc, 0, v2
	ds_write_b64 v0, v[6:7] offset:728
	s_and_saveexec_b64 s[18:19], vcc
	s_cbranch_execz .LBB6_5353
; %bb.5352:                             ;   in Loop: Header=BB6_5329 Depth=1
	ds_read_b64 v[6:7], v0 offset:872
	s_waitcnt lgkmcnt(0)
	v_add_co_u32_e32 v6, vcc, 1, v6
	v_addc_co_u32_e32 v7, vcc, 0, v7, vcc
	ds_write_b64 v0, v[6:7] offset:872
.LBB6_5353:                             ;   in Loop: Header=BB6_5329 Depth=1
	s_or_b64 exec, exec, s[18:19]
	v_mov_b32_e32 v22, v1
	v_mov_b32_e32 v21, v0
.LBB6_5354:                             ;   in Loop: Header=BB6_5329 Depth=1
	s_or_b64 exec, exec, s[20:21]
	s_and_saveexec_b64 s[18:19], s[10:11]
	s_cbranch_execz .LBB6_5373
; %bb.5355:                             ;   in Loop: Header=BB6_5329 Depth=1
	s_and_saveexec_b64 s[20:21], s[46:47]
	s_xor_b64 s[20:21], exec, s[20:21]
	s_cbranch_execz .LBB6_5370
; %bb.5356:                             ;   in Loop: Header=BB6_5329 Depth=1
	s_and_saveexec_b64 s[22:23], s[12:13]
	s_cbranch_execz .LBB6_5369
; %bb.5357:                             ;   in Loop: Header=BB6_5329 Depth=1
	s_mov_b64 s[26:27], exec
	v_mbcnt_lo_u32_b32 v0, s26, 0
	v_mbcnt_hi_u32_b32 v0, s27, v0
	v_cmp_eq_u32_e32 vcc, 0, v0
	s_waitcnt lgkmcnt(0)
	buffer_wbinvl1_vol
	s_and_saveexec_b64 s[24:25], vcc
	s_cbranch_execz .LBB6_5359
; %bb.5358:                             ;   in Loop: Header=BB6_5329 Depth=1
	s_bcnt1_i32_b64 s26, s[26:27]
	v_mov_b32_e32 v2, s26
	ds_add_u64 v0, v[2:3]
	s_trap 2
.LBB6_5359:                             ;   in Loop: Header=BB6_5329 Depth=1
	s_or_b64 exec, exec, s[24:25]
	s_trap 2
	ds_read_b64 v[0:1], v0
	s_waitcnt lgkmcnt(0)
	buffer_load_dword v6, off, s[0:3], s33 offset:80 ; 4-byte Folded Reload
	buffer_load_dword v7, off, s[0:3], s33 offset:84 ; 4-byte Folded Reload
	s_waitcnt vmcnt(1)
	v_add_co_u32_e32 v6, vcc, v6, v46
	s_waitcnt vmcnt(0)
	v_addc_co_u32_e32 v7, vcc, 0, v7, vcc
	buffer_store_dword v6, off, s[0:3], s33 offset:80 ; 4-byte Folded Spill
	s_nop 0
	buffer_store_dword v7, off, s[0:3], s33 offset:84 ; 4-byte Folded Spill
	v_cmp_lt_u64_e32 vcc, v[0:1], v[6:7]
	s_and_saveexec_b64 s[24:25], vcc
	s_cbranch_execz .LBB6_5368
; %bb.5360:                             ;   in Loop: Header=BB6_5329 Depth=1
	s_mov_b32 s34, 0
	s_mov_b64 s[26:27], 0
                                        ; implicit-def: $sgpr90_sgpr91
                                        ; implicit-def: $sgpr92_sgpr93
	s_branch .LBB6_5362
.LBB6_5361:                             ;   in Loop: Header=BB6_5362 Depth=2
	s_or_b64 exec, exec, s[30:31]
	s_and_b64 s[94:95], exec, vcc
	s_or_b64 s[26:27], s[94:95], s[26:27]
	s_andn2_b64 s[90:91], s[90:91], exec
	s_and_b64 s[94:95], s[92:93], exec
	s_or_b64 s[90:91], s[90:91], s[94:95]
	s_andn2_b64 exec, exec, s[26:27]
	s_cbranch_execz .LBB6_5366
.LBB6_5362:                             ;   Parent Loop BB6_5329 Depth=1
                                        ; =>  This Inner Loop Header: Depth=2
	s_add_i32 s34, s34, 1
	s_cmpk_lg_i32 s34, 0x2710
	s_cselect_b64 s[94:95], -1, 0
	s_and_b64 vcc, exec, s[94:95]
	s_cbranch_vccz .LBB6_5364
; %bb.5363:                             ;   in Loop: Header=BB6_5362 Depth=2
	s_mov_b64 vcc, -1
	s_or_b64 s[92:93], s[92:93], exec
	s_and_saveexec_b64 s[30:31], s[94:95]
	s_cbranch_execz .LBB6_5361
	s_branch .LBB6_5365
.LBB6_5364:                             ;   in Loop: Header=BB6_5362 Depth=2
	s_trap 2
	ds_read_b64 v[0:1], v0
	s_andn2_b64 s[94:95], s[94:95], exec
	s_mov_b32 s34, 0
	s_waitcnt vmcnt(0) lgkmcnt(0)
	flat_load_dword v0, v[0:1] glc
	s_waitcnt vmcnt(0) lgkmcnt(0)
	buffer_wbinvl1_vol
	v_cmp_eq_u32_e32 vcc, 0, v0
	s_and_b64 vcc, vcc, exec
	s_or_b64 s[94:95], s[94:95], vcc
	s_mov_b64 vcc, -1
	s_or_b64 s[92:93], s[92:93], exec
	s_and_saveexec_b64 s[30:31], s[94:95]
	s_cbranch_execz .LBB6_5361
.LBB6_5365:                             ;   in Loop: Header=BB6_5362 Depth=2
	s_sleep 1
	s_trap 2
	ds_read_b64 v[0:1], v0
	s_waitcnt lgkmcnt(0)
	buffer_load_dword v6, off, s[0:3], s33 offset:80 ; 4-byte Folded Reload
	buffer_load_dword v7, off, s[0:3], s33 offset:84 ; 4-byte Folded Reload
	s_andn2_b64 s[92:93], s[92:93], exec
	s_waitcnt vmcnt(0)
	v_cmp_ge_u64_e32 vcc, v[0:1], v[6:7]
	s_orn2_b64 vcc, vcc, exec
	s_branch .LBB6_5361
.LBB6_5366:                             ;   in Loop: Header=BB6_5329 Depth=1
	s_or_b64 exec, exec, s[26:27]
	s_and_saveexec_b64 s[26:27], s[90:91]
	s_xor_b64 s[26:27], exec, s[26:27]
	s_cbranch_execz .LBB6_5368
; %bb.5367:                             ;   in Loop: Header=BB6_5329 Depth=1
	v_mov_b32_e32 v0, 1
	ds_write_b32 v0, v0
	s_trap 2
.LBB6_5368:                             ;   in Loop: Header=BB6_5329 Depth=1
	s_or_b64 exec, exec, s[24:25]
	;;#ASMSTART
	s_wakeup
	;;#ASMEND
.LBB6_5369:                             ;   in Loop: Header=BB6_5329 Depth=1
	s_or_b64 exec, exec, s[22:23]
.LBB6_5370:                             ;   in Loop: Header=BB6_5329 Depth=1
	s_andn2_saveexec_b64 s[20:21], s[20:21]
	s_cbranch_execz .LBB6_5372
; %bb.5371:                             ;   in Loop: Header=BB6_5329 Depth=1
	s_waitcnt vmcnt(0) lgkmcnt(0)
	buffer_wbinvl1_vol
	s_barrier
.LBB6_5372:                             ;   in Loop: Header=BB6_5329 Depth=1
	s_or_b64 exec, exec, s[20:21]
.LBB6_5373:                             ;   in Loop: Header=BB6_5329 Depth=1
	s_or_b64 exec, exec, s[18:19]
	s_trap 2
	buffer_load_dword v1, off, s[0:3], s33 offset:76 ; 4-byte Folded Reload
	ds_read_b32 v0, v0
	s_waitcnt vmcnt(0)
	v_and_b32_e32 v1, 0x4000, v1
	v_cmp_ne_u32_e32 vcc, 0, v1
	s_and_b64 s[20:21], s[60:61], vcc
	s_and_saveexec_b64 s[18:19], s[20:21]
	s_cbranch_execz .LBB6_5392
; %bb.5374:                             ;   in Loop: Header=BB6_5329 Depth=1
	s_and_saveexec_b64 s[20:21], s[46:47]
	s_xor_b64 s[20:21], exec, s[20:21]
	s_cbranch_execz .LBB6_5389
; %bb.5375:                             ;   in Loop: Header=BB6_5329 Depth=1
	s_and_saveexec_b64 s[22:23], s[12:13]
	s_cbranch_execz .LBB6_5388
; %bb.5376:                             ;   in Loop: Header=BB6_5329 Depth=1
	s_mov_b64 s[26:27], exec
	v_mbcnt_lo_u32_b32 v1, s26, 0
	v_mbcnt_hi_u32_b32 v1, s27, v1
	v_cmp_eq_u32_e32 vcc, 0, v1
	s_waitcnt lgkmcnt(0)
	buffer_wbinvl1_vol
	s_and_saveexec_b64 s[24:25], vcc
	s_cbranch_execz .LBB6_5378
; %bb.5377:                             ;   in Loop: Header=BB6_5329 Depth=1
	s_bcnt1_i32_b64 s26, s[26:27]
	v_mov_b32_e32 v2, s26
	ds_add_u64 v0, v[2:3]
	s_trap 2
.LBB6_5378:                             ;   in Loop: Header=BB6_5329 Depth=1
	s_or_b64 exec, exec, s[24:25]
	s_trap 2
	ds_read_b64 v[1:2], v0
	s_waitcnt lgkmcnt(0)
	buffer_load_dword v6, off, s[0:3], s33 offset:80 ; 4-byte Folded Reload
	buffer_load_dword v7, off, s[0:3], s33 offset:84 ; 4-byte Folded Reload
	s_waitcnt vmcnt(1)
	v_add_co_u32_e32 v6, vcc, v6, v46
	s_waitcnt vmcnt(0)
	v_addc_co_u32_e32 v7, vcc, 0, v7, vcc
	buffer_store_dword v6, off, s[0:3], s33 offset:80 ; 4-byte Folded Spill
	s_nop 0
	buffer_store_dword v7, off, s[0:3], s33 offset:84 ; 4-byte Folded Spill
	v_cmp_lt_u64_e32 vcc, v[1:2], v[6:7]
	s_and_saveexec_b64 s[24:25], vcc
	s_cbranch_execz .LBB6_5387
; %bb.5379:                             ;   in Loop: Header=BB6_5329 Depth=1
	s_mov_b32 s34, 0
	s_mov_b64 s[26:27], 0
                                        ; implicit-def: $sgpr90_sgpr91
                                        ; implicit-def: $sgpr92_sgpr93
	s_branch .LBB6_5381
.LBB6_5380:                             ;   in Loop: Header=BB6_5381 Depth=2
	s_or_b64 exec, exec, s[30:31]
	s_and_b64 s[94:95], exec, vcc
	s_or_b64 s[26:27], s[94:95], s[26:27]
	s_andn2_b64 s[90:91], s[90:91], exec
	s_and_b64 s[94:95], s[92:93], exec
	s_or_b64 s[90:91], s[90:91], s[94:95]
	s_andn2_b64 exec, exec, s[26:27]
	s_cbranch_execz .LBB6_5385
.LBB6_5381:                             ;   Parent Loop BB6_5329 Depth=1
                                        ; =>  This Inner Loop Header: Depth=2
	s_add_i32 s34, s34, 1
	s_cmpk_lg_i32 s34, 0x2710
	s_cselect_b64 s[94:95], -1, 0
	s_and_b64 vcc, exec, s[94:95]
	s_cbranch_vccz .LBB6_5383
; %bb.5382:                             ;   in Loop: Header=BB6_5381 Depth=2
	s_mov_b64 vcc, -1
	s_or_b64 s[92:93], s[92:93], exec
	s_and_saveexec_b64 s[30:31], s[94:95]
	s_cbranch_execz .LBB6_5380
	s_branch .LBB6_5384
.LBB6_5383:                             ;   in Loop: Header=BB6_5381 Depth=2
	s_trap 2
	ds_read_b64 v[1:2], v0
	s_andn2_b64 s[94:95], s[94:95], exec
	s_mov_b32 s34, 0
	s_waitcnt vmcnt(0) lgkmcnt(0)
	flat_load_dword v1, v[1:2] glc
	s_waitcnt vmcnt(0) lgkmcnt(0)
	buffer_wbinvl1_vol
	v_cmp_eq_u32_e32 vcc, 0, v1
	s_and_b64 vcc, vcc, exec
	s_or_b64 s[94:95], s[94:95], vcc
	s_mov_b64 vcc, -1
	s_or_b64 s[92:93], s[92:93], exec
	s_and_saveexec_b64 s[30:31], s[94:95]
	s_cbranch_execz .LBB6_5380
.LBB6_5384:                             ;   in Loop: Header=BB6_5381 Depth=2
	s_sleep 1
	s_trap 2
	ds_read_b64 v[1:2], v0
	s_waitcnt lgkmcnt(0)
	buffer_load_dword v6, off, s[0:3], s33 offset:80 ; 4-byte Folded Reload
	buffer_load_dword v7, off, s[0:3], s33 offset:84 ; 4-byte Folded Reload
	s_andn2_b64 s[92:93], s[92:93], exec
	s_waitcnt vmcnt(0)
	v_cmp_ge_u64_e32 vcc, v[1:2], v[6:7]
	s_orn2_b64 vcc, vcc, exec
	s_branch .LBB6_5380
.LBB6_5385:                             ;   in Loop: Header=BB6_5329 Depth=1
	s_or_b64 exec, exec, s[26:27]
	s_and_saveexec_b64 s[26:27], s[90:91]
	s_xor_b64 s[26:27], exec, s[26:27]
	s_cbranch_execz .LBB6_5387
; %bb.5386:                             ;   in Loop: Header=BB6_5329 Depth=1
	v_mov_b32_e32 v1, 1
	ds_write_b32 v0, v1
	s_trap 2
.LBB6_5387:                             ;   in Loop: Header=BB6_5329 Depth=1
	s_or_b64 exec, exec, s[24:25]
	;;#ASMSTART
	s_wakeup
	;;#ASMEND
.LBB6_5388:                             ;   in Loop: Header=BB6_5329 Depth=1
	s_or_b64 exec, exec, s[22:23]
.LBB6_5389:                             ;   in Loop: Header=BB6_5329 Depth=1
	s_andn2_saveexec_b64 s[20:21], s[20:21]
	s_cbranch_execz .LBB6_5391
; %bb.5390:                             ;   in Loop: Header=BB6_5329 Depth=1
	s_waitcnt vmcnt(0) lgkmcnt(0)
	buffer_wbinvl1_vol
	s_barrier
.LBB6_5391:                             ;   in Loop: Header=BB6_5329 Depth=1
	s_or_b64 exec, exec, s[20:21]
.LBB6_5392:                             ;   in Loop: Header=BB6_5329 Depth=1
	s_or_b64 exec, exec, s[18:19]
	s_trap 2
	s_waitcnt lgkmcnt(0)
	ds_read_b64 v[52:53], v0
	buffer_load_dword v1, off, s[0:3], s33 offset:204 ; 4-byte Folded Reload
	buffer_load_dword v2, off, s[0:3], s33 offset:208 ; 4-byte Folded Reload
	s_waitcnt lgkmcnt(0)
	v_cmp_eq_u64_e32 vcc, 0, v[52:53]
	s_waitcnt vmcnt(1)
	v_min_u32_e32 v26, v26, v1
	s_cbranch_vccnz .LBB6_5400
; %bb.5393:                             ;   in Loop: Header=BB6_5329 Depth=1
	s_trap 2
	ds_read_b64 v[50:51], v0
	s_waitcnt lgkmcnt(0)
	v_cmp_eq_u64_e32 vcc, 0, v[50:51]
	s_cbranch_vccnz .LBB6_5400
; %bb.5394:                             ;   in Loop: Header=BB6_5329 Depth=1
	s_trap 2
	s_waitcnt vmcnt(0)
	ds_read_b64 v[1:2], v0
	s_mov_b64 s[20:21], -1
	s_waitcnt lgkmcnt(0)
	v_readfirstlane_b32 s64, v1
	s_and_saveexec_b64 s[18:19], s[14:15]
	s_cbranch_execz .LBB6_5396
; %bb.5395:                             ;   in Loop: Header=BB6_5329 Depth=1
	ds_read_b32 v1, v0 offset:720
	s_waitcnt lgkmcnt(0)
	v_and_b32_e32 v1, 15, v1
	v_cmp_eq_u32_e32 vcc, 0, v1
	s_orn2_b64 s[20:21], vcc, exec
.LBB6_5396:                             ;   in Loop: Header=BB6_5329 Depth=1
	s_or_b64 exec, exec, s[18:19]
	s_and_saveexec_b64 s[18:19], s[16:17]
	s_cbranch_execz .LBB6_5398
; %bb.5397:                             ;   in Loop: Header=BB6_5329 Depth=1
	ds_read_b32 v1, v0 offset:784
	s_waitcnt lgkmcnt(0)
	v_and_b32_e32 v1, 15, v1
	v_cmp_eq_u32_e32 vcc, 0, v1
	s_and_b64 s[22:23], s[20:21], vcc
	s_andn2_b64 s[20:21], s[20:21], exec
	s_and_b64 s[22:23], s[22:23], exec
	s_or_b64 s[20:21], s[20:21], s[22:23]
.LBB6_5398:                             ;   in Loop: Header=BB6_5329 Depth=1
	s_or_b64 exec, exec, s[18:19]
	buffer_store_dword v19, off, s[0:3], s33 offset:236 ; 4-byte Folded Spill
	s_nop 0
	buffer_store_dword v20, off, s[0:3], s33 offset:240 ; 4-byte Folded Spill
	buffer_store_dword v21, off, s[0:3], s33 offset:244 ; 4-byte Folded Spill
	;; [unrolled: 1-line block ×3, first 2 shown]
	buffer_load_dword v2, off, s[0:3], s33 offset:220 ; 4-byte Folded Reload
	v_cmp_eq_u32_e32 vcc, 0, v0
	s_xor_b64 s[20:21], s[20:21], -1
	v_cndmask_b32_e32 v19, 0, v26, vcc
	v_cndmask_b32_e64 v0, 0, 1, s[20:21]
	s_mov_b64 s[18:19], -1
	v_cmp_ne_u32_e32 vcc, 0, v0
	v_mov_b32_e32 v10, 0
	v_mov_b32_e32 v6, v19
	s_cbranch_vccz .LBB6_5401
; %bb.5399:                             ;   in Loop: Header=BB6_5329 Depth=1
	s_and_saveexec_b64 s[24:25], s[18:19]
	s_cbranch_execnz .LBB6_8932
; %bb.10812:                            ;   in Loop: Header=BB6_5329 Depth=1
	s_getpc_b64 s[68:69]
.Lpost_getpc5:
	s_add_u32 s68, s68, (.LBB6_10524-.Lpost_getpc5)&4294967295
	s_addc_u32 s69, s69, (.LBB6_10524-.Lpost_getpc5)>>32
	s_setpc_b64 s[68:69]
.LBB6_5400:                             ;   in Loop: Header=BB6_5329 Depth=1
	s_mov_b64 s[18:19], 0
	s_and_saveexec_b64 s[20:21], s[10:11]
	s_cbranch_execz .LBB6_10814
; %bb.10844:                            ;   in Loop: Header=BB6_5329 Depth=1
	s_getpc_b64 s[68:69]
.Lpost_getpc21:
	s_add_u32 s68, s68, (.LBB6_10525-.Lpost_getpc21)&4294967295
	s_addc_u32 s69, s69, (.LBB6_10525-.Lpost_getpc21)>>32
	s_setpc_b64 s[68:69]
.LBB6_10814:                            ;   in Loop: Header=BB6_5329 Depth=1
	s_getpc_b64 s[68:69]
.Lpost_getpc6:
	s_add_u32 s68, s68, (.LBB6_10543-.Lpost_getpc6)&4294967295
	s_addc_u32 s69, s69, (.LBB6_10543-.Lpost_getpc6)>>32
	s_setpc_b64 s[68:69]
.LBB6_5401:                             ;   in Loop: Header=BB6_5329 Depth=1
	buffer_store_dword v26, off, s[0:3], s33 offset:284 ; 4-byte Folded Spill
	buffer_store_dword v24, off, s[0:3], s33 offset:276 ; 4-byte Folded Spill
	s_nop 0
	buffer_store_dword v25, off, s[0:3], s33 offset:280 ; 4-byte Folded Spill
	buffer_store_dword v19, off, s[0:3], s33 offset:268 ; 4-byte Folded Spill
	buffer_load_dword v1, off, s[0:3], s33 offset:304 ; 4-byte Folded Reload
	v_lshrrev_b32_e32 v0, 12, v19
	s_waitcnt vmcnt(0)
	v_sub_u32_e32 v60, v0, v1
	v_cmp_lt_i32_e32 vcc, 0, v60
	s_and_saveexec_b64 s[22:23], vcc
	s_cbranch_execz .LBB6_8221
; %bb.5402:                             ;   in Loop: Header=BB6_5329 Depth=1
	s_trap 2
	buffer_load_dword v2, off, s[0:3], s33 offset:336 ; 4-byte Folded Reload
	ds_read_b64 v[6:7], v0
	s_bitcmp1_b32 s64, 0
	s_mov_b64 s[24:25], 0
	s_cselect_b64 s[26:27], -1, 0
	s_waitcnt vmcnt(0)
	v_add_co_u32_e32 v0, vcc, v52, v2
	buffer_store_dword v52, off, s[0:3], s33 offset:324 ; 4-byte Folded Spill
	s_nop 0
	buffer_store_dword v53, off, s[0:3], s33 offset:328 ; 4-byte Folded Spill
	v_addc_co_u32_e32 v1, vcc, 0, v53, vcc
	s_waitcnt lgkmcnt(0)
	v_add_co_u32_e32 v61, vcc, v6, v2
	v_addc_co_u32_e32 v62, vcc, 0, v7, vcc
	v_add_co_u32_e32 v52, vcc, v50, v2
	buffer_store_dword v50, off, s[0:3], s33 offset:316 ; 4-byte Folded Spill
	s_nop 0
	buffer_store_dword v51, off, s[0:3], s33 offset:320 ; 4-byte Folded Spill
	v_addc_co_u32_e32 v53, vcc, 0, v51, vcc
	s_branch .LBB6_5404
.LBB6_5403:                             ;   in Loop: Header=BB6_5404 Depth=2
	s_or_b64 exec, exec, s[18:19]
	v_lshl_or_b32 v10, v44, 8, v29
	v_lshl_or_b32 v12, v31, 8, v34
	v_lshlrev_b32_e32 v11, 16, v28
	v_lshlrev_b32_e32 v13, 24, v45
	;; [unrolled: 1-line block ×4, first 2 shown]
	v_or3_b32 v11, v10, v11, v13
	v_or3_b32 v10, v12, v15, v16
	v_lshl_or_b32 v12, v54, 8, v43
	v_lshlrev_b32_e32 v13, 16, v38
	v_lshlrev_b32_e32 v4, 24, v4
	v_or3_b32 v12, v12, v13, v4
	v_lshl_or_b32 v4, v7, 8, v6
	v_lshlrev_b32_e32 v6, 24, v9
	v_lshlrev_b32_e32 v7, 16, v8
	v_or3_b32 v13, v4, v7, v6
	buffer_load_dword v4, off, s[0:3], s33 offset:128 ; 4-byte Folded Reload
	buffer_load_dword v6, off, s[0:3], s33 offset:132 ; 4-byte Folded Reload
	v_lshl_or_b32 v15, v51, 8, v50
	v_lshlrev_b32_e32 v16, 24, v42
	v_lshlrev_b32_e32 v2, 24, v2
	buffer_load_dword v7, off, s[0:3], s33 offset:196 ; 4-byte Folded Reload
	s_waitcnt vmcnt(1)
	v_lshl_or_b32 v4, v6, 8, v4
	buffer_load_dword v6, off, s[0:3], s33 offset:136 ; 4-byte Folded Reload
	buffer_load_dword v8, off, s[0:3], s33 offset:116 ; 4-byte Folded Reload
	;; [unrolled: 1-line block ×3, first 2 shown]
	s_waitcnt vmcnt(3)
	v_lshlrev_b32_e32 v7, 24, v7
	s_waitcnt vmcnt(2)
	v_lshlrev_b32_e32 v6, 16, v6
	v_or3_b32 v7, v4, v6, v7
	buffer_load_dword v4, off, s[0:3], s33 offset:120 ; 4-byte Folded Reload
	buffer_load_dword v6, off, s[0:3], s33 offset:124 ; 4-byte Folded Reload
	s_waitcnt vmcnt(2)
	v_lshl_or_b32 v8, v8, 8, v9
	s_waitcnt vmcnt(1)
	v_lshlrev_b32_e32 v4, 16, v4
	s_waitcnt vmcnt(0)
	v_lshlrev_b32_e32 v6, 24, v6
	v_or3_b32 v6, v8, v4, v6
	buffer_load_dword v4, off, s[0:3], s33 offset:140 ; 4-byte Folded Reload
	buffer_load_dword v8, off, s[0:3], s33 offset:144 ; 4-byte Folded Reload
	;; [unrolled: 1-line block ×3, first 2 shown]
	s_waitcnt vmcnt(1)
	v_lshl_or_b32 v4, v8, 8, v4
	buffer_load_dword v8, off, s[0:3], s33 offset:148 ; 4-byte Folded Reload
	s_waitcnt vmcnt(1)
	v_lshlrev_b32_e32 v9, 24, v9
	s_waitcnt vmcnt(0)
	v_lshlrev_b32_e32 v8, 16, v8
	v_or3_b32 v8, v4, v8, v9
	buffer_load_dword v4, off, s[0:3], s33 offset:164 ; 4-byte Folded Reload
	v_lshlrev_b32_e32 v9, 16, v33
	s_waitcnt vmcnt(0)
	v_lshlrev_b32_e32 v4, 24, v4
	v_or3_b32 v9, v15, v9, v4
	v_lshl_or_b32 v4, v32, 8, v47
	v_lshlrev_b32_e32 v15, 16, v39
	v_or3_b32 v29, v4, v15, v16
	buffer_load_dword v15, off, s[0:3], s33 offset:200 ; 4-byte Folded Reload
	v_lshl_or_b32 v4, v49, 8, v46
	v_lshlrev_b32_e32 v16, 24, v30
	s_waitcnt vmcnt(0)
	v_lshlrev_b32_e32 v15, 16, v15
	v_or3_b32 v28, v4, v15, v16
	buffer_load_dword v4, off, s[0:3], s33 offset:88 ; 4-byte Folded Reload
	buffer_load_dword v15, off, s[0:3], s33 offset:100 ; 4-byte Folded Reload
	buffer_load_dword v16, off, s[0:3], s33 offset:108 ; 4-byte Folded Reload
	s_waitcnt vmcnt(1)
	v_lshl_or_b32 v4, v15, 8, v4
	buffer_load_dword v15, off, s[0:3], s33 offset:104 ; 4-byte Folded Reload
	s_waitcnt vmcnt(1)
	v_lshlrev_b32_e32 v16, 24, v16
	s_waitcnt vmcnt(0)
	v_lshlrev_b32_e32 v15, 16, v15
	v_or3_b32 v30, v4, v15, v16
	buffer_load_dword v4, off, s[0:3], s33 offset:156 ; 4-byte Folded Reload
	buffer_load_dword v15, off, s[0:3], s33 offset:112 ; 4-byte Folded Reload
	;; [unrolled: 1-line block ×4, first 2 shown]
	s_waitcnt vmcnt(3)
	v_lshlrev_b32_e32 v4, 24, v4
	s_waitcnt vmcnt(2)
	v_lshlrev_b32_e32 v15, 16, v15
	s_waitcnt vmcnt(0)
	v_lshl_or_b32 v16, v16, 8, v17
	v_or3_b32 v31, v16, v15, v4
	v_lshl_or_b32 v4, v26, 8, v21
	v_lshlrev_b32_e32 v15, 16, v20
	v_lshlrev_b32_e32 v16, 24, v27
	v_or3_b32 v16, v4, v15, v16
	v_lshl_or_b32 v4, v23, 8, v22
	v_lshlrev_b32_e32 v15, 16, v24
	v_lshlrev_b32_e32 v17, 24, v25
	;; [unrolled: 4-line block ×3, first 2 shown]
	v_or3_b32 v17, v4, v17, v20
	v_lshlrev_b32_e32 v4, 16, v14
	v_lshl_or_b32 v14, v19, 8, v18
	v_or3_b32 v18, v14, v4, v2
	global_store_dwordx4 v[52:53], v[28:31], off glc slc
	global_store_dwordx4 v[52:53], v[6:9], off offset:1024 glc slc
	global_store_dwordx4 v[52:53], v[10:13], off offset:2048 glc slc
	;; [unrolled: 1-line block ×3, first 2 shown]
	buffer_load_dword v46, off, s[0:3], s33 offset:168 ; 4-byte Folded Reload
	s_waitcnt vmcnt(0)
	v_lshlrev_b32_e32 v2, 12, v46
	v_add_co_u32_e32 v0, vcc, v0, v2
	v_addc_co_u32_e32 v1, vcc, 0, v1, vcc
	v_add_co_u32_e32 v61, vcc, v61, v2
	v_addc_co_u32_e32 v62, vcc, 0, v62, vcc
	v_sub_u32_e32 v60, v60, v46
	v_cmp_gt_i32_e32 vcc, 1, v60
	s_or_b64 s[24:25], vcc, s[24:25]
	v_add_co_u32_e32 v52, vcc, v52, v2
	v_addc_co_u32_e32 v53, vcc, 0, v53, vcc
	s_andn2_b64 exec, exec, s[24:25]
	s_cbranch_execz .LBB6_8220
.LBB6_5404:                             ;   Parent Loop BB6_5329 Depth=1
                                        ; =>  This Inner Loop Header: Depth=2
	global_load_dwordx4 v[48:51], v[0:1], off glc slc
	global_load_dwordx4 v[32:35], v[0:1], off offset:1024 glc slc
	global_load_dwordx4 v[22:25], v[0:1], off offset:2048 glc slc
	global_load_dwordx4 v[14:17], v[0:1], off offset:3072 glc slc
	global_load_dwordx4 v[36:39], v[61:62], off glc slc
	global_load_dwordx4 v[26:29], v[61:62], off offset:1024 glc slc
	global_load_dwordx4 v[18:21], v[61:62], off offset:2048 glc slc
	;; [unrolled: 1-line block ×3, first 2 shown]
	s_mov_b64 s[20:21], -1
	s_and_b64 vcc, exec, s[26:27]
                                        ; implicit-def: $vgpr6
	s_waitcnt vmcnt(7)
	v_cmp_ne_u16_sdwa s[18:19], v48, v3 src0_sel:BYTE_0 src1_sel:DWORD
	s_cbranch_vccz .LBB6_5418
; %bb.5405:                             ;   in Loop: Header=BB6_5404 Depth=2
	v_mov_b32_e32 v4, 0
	v_mov_b32_e32 v2, 0
	s_and_saveexec_b64 s[20:21], s[18:19]
	s_cbranch_execz .LBB6_5411
; %bb.5406:                             ;   in Loop: Header=BB6_5404 Depth=2
	v_cmp_ne_u16_sdwa s[92:93], v48, s49 src0_sel:BYTE_0 src1_sel:DWORD
	v_bfrev_b32_e32 v2, 1
	s_and_saveexec_b64 s[90:91], s[92:93]
	s_cbranch_execz .LBB6_5410
; %bb.5407:                             ;   in Loop: Header=BB6_5404 Depth=2
	v_and_b32_e32 v6, 0x7f, v48
	v_cmp_ne_u32_e32 vcc, s51, v6
	v_mov_b32_e32 v2, 0x7f800001
	s_and_saveexec_b64 s[92:93], vcc
	s_cbranch_execz .LBB6_5409
; %bb.5408:                             ;   in Loop: Header=BB6_5404 Depth=2
	v_and_b32_e32 v2, 7, v48
	v_ffbh_u32_e32 v2, v2
	v_min_u32_e32 v2, 32, v2
	v_lshrrev_b32_e32 v7, 3, v6
	v_cmp_gt_u32_e32 vcc, 8, v6
	v_subrev_u32_e32 v6, 28, v2
	v_sub_u32_e32 v2, 29, v2
	v_cndmask_b32_e32 v6, 0, v6, vcc
	v_cndmask_b32_e32 v2, v7, v2, vcc
	v_lshlrev_b64 v[6:7], v6, v[48:49]
	v_lshlrev_b32_e32 v7, 24, v48
	v_lshlrev_b32_e32 v6, 20, v6
	v_and_b32_e32 v6, 0x700000, v6
	v_and_b32_e32 v7, 0x80000000, v7
	v_lshl_add_u32 v2, v2, 23, v5
	v_or3_b32 v2, v7, v2, v6
.LBB6_5409:                             ;   in Loop: Header=BB6_5404 Depth=2
	s_or_b64 exec, exec, s[92:93]
.LBB6_5410:                             ;   in Loop: Header=BB6_5404 Depth=2
	s_or_b64 exec, exec, s[90:91]
.LBB6_5411:                             ;   in Loop: Header=BB6_5404 Depth=2
	s_or_b64 exec, exec, s[20:21]
	s_waitcnt vmcnt(3)
	v_cmp_ne_u16_sdwa s[90:91], v36, v3 src0_sel:BYTE_0 src1_sel:DWORD
	s_and_saveexec_b64 s[20:21], s[90:91]
	s_cbranch_execz .LBB6_5417
; %bb.5412:                             ;   in Loop: Header=BB6_5404 Depth=2
	v_cmp_ne_u16_sdwa s[92:93], v36, s49 src0_sel:BYTE_0 src1_sel:DWORD
	v_bfrev_b32_e32 v4, 1
	s_and_saveexec_b64 s[90:91], s[92:93]
	s_cbranch_execz .LBB6_5416
; %bb.5413:                             ;   in Loop: Header=BB6_5404 Depth=2
	v_and_b32_e32 v6, 0x7f, v36
	v_cmp_ne_u32_e32 vcc, s51, v6
	v_mov_b32_e32 v4, 0x7f800001
	s_and_saveexec_b64 s[92:93], vcc
	s_cbranch_execz .LBB6_5415
; %bb.5414:                             ;   in Loop: Header=BB6_5404 Depth=2
	v_and_b32_e32 v4, 7, v36
	v_ffbh_u32_e32 v4, v4
	v_min_u32_e32 v4, 32, v4
	v_lshrrev_b32_e32 v7, 3, v6
	v_cmp_gt_u32_e32 vcc, 8, v6
	v_subrev_u32_e32 v6, 28, v4
	v_sub_u32_e32 v4, 29, v4
	v_cndmask_b32_e32 v6, 0, v6, vcc
	v_cndmask_b32_e32 v4, v7, v4, vcc
	v_lshlrev_b64 v[6:7], v6, v[36:37]
	v_lshlrev_b32_e32 v7, 24, v36
	v_lshlrev_b32_e32 v6, 20, v6
	v_and_b32_e32 v6, 0x700000, v6
	v_and_b32_e32 v7, 0x80000000, v7
	v_lshl_add_u32 v4, v4, 23, v5
	v_or3_b32 v4, v7, v4, v6
.LBB6_5415:                             ;   in Loop: Header=BB6_5404 Depth=2
	s_or_b64 exec, exec, s[92:93]
.LBB6_5416:                             ;   in Loop: Header=BB6_5404 Depth=2
	s_or_b64 exec, exec, s[90:91]
.LBB6_5417:                             ;   in Loop: Header=BB6_5404 Depth=2
	s_or_b64 exec, exec, s[20:21]
	v_max_f32_e32 v4, v4, v4
	v_max_f32_e32 v2, v2, v2
	;; [unrolled: 1-line block ×3, first 2 shown]
	s_mov_b64 s[20:21], 0
.LBB6_5418:                             ;   in Loop: Header=BB6_5404 Depth=2
	s_and_b64 vcc, exec, s[20:21]
	s_cbranch_vccz .LBB6_5432
; %bb.5419:                             ;   in Loop: Header=BB6_5404 Depth=2
	v_mov_b32_e32 v4, 0
	v_mov_b32_e32 v2, 0
	s_and_saveexec_b64 s[20:21], s[18:19]
	s_cbranch_execz .LBB6_5425
; %bb.5420:                             ;   in Loop: Header=BB6_5404 Depth=2
	v_cmp_ne_u16_sdwa s[90:91], v48, s49 src0_sel:BYTE_0 src1_sel:DWORD
	v_bfrev_b32_e32 v2, 1
	s_and_saveexec_b64 s[18:19], s[90:91]
	s_cbranch_execz .LBB6_5424
; %bb.5421:                             ;   in Loop: Header=BB6_5404 Depth=2
	v_and_b32_e32 v6, 0x7f, v48
	v_cmp_ne_u32_e32 vcc, s51, v6
	v_mov_b32_e32 v2, 0x7f800001
	s_and_saveexec_b64 s[90:91], vcc
	s_cbranch_execz .LBB6_5423
; %bb.5422:                             ;   in Loop: Header=BB6_5404 Depth=2
	v_and_b32_e32 v2, 7, v48
	v_ffbh_u32_e32 v2, v2
	v_min_u32_e32 v2, 32, v2
	v_lshrrev_b32_e32 v7, 3, v6
	v_cmp_gt_u32_e32 vcc, 8, v6
	v_subrev_u32_e32 v6, 28, v2
	v_sub_u32_e32 v2, 29, v2
	v_cndmask_b32_e32 v6, 0, v6, vcc
	v_cndmask_b32_e32 v2, v7, v2, vcc
	v_lshlrev_b64 v[6:7], v6, v[48:49]
	v_lshlrev_b32_e32 v7, 24, v48
	v_lshlrev_b32_e32 v6, 20, v6
	v_and_b32_e32 v6, 0x700000, v6
	v_and_b32_e32 v7, 0x80000000, v7
	v_lshl_add_u32 v2, v2, 23, v5
	v_or3_b32 v2, v7, v2, v6
.LBB6_5423:                             ;   in Loop: Header=BB6_5404 Depth=2
	s_or_b64 exec, exec, s[90:91]
.LBB6_5424:                             ;   in Loop: Header=BB6_5404 Depth=2
	s_or_b64 exec, exec, s[18:19]
.LBB6_5425:                             ;   in Loop: Header=BB6_5404 Depth=2
	s_or_b64 exec, exec, s[20:21]
	s_waitcnt vmcnt(3)
	v_cmp_ne_u16_sdwa s[20:21], v36, v3 src0_sel:BYTE_0 src1_sel:DWORD
	s_and_saveexec_b64 s[18:19], s[20:21]
	s_cbranch_execz .LBB6_5431
; %bb.5426:                             ;   in Loop: Header=BB6_5404 Depth=2
	v_cmp_ne_u16_sdwa s[90:91], v36, s49 src0_sel:BYTE_0 src1_sel:DWORD
	v_bfrev_b32_e32 v4, 1
	s_and_saveexec_b64 s[20:21], s[90:91]
	s_cbranch_execz .LBB6_5430
; %bb.5427:                             ;   in Loop: Header=BB6_5404 Depth=2
	v_and_b32_e32 v6, 0x7f, v36
	v_cmp_ne_u32_e32 vcc, s51, v6
	v_mov_b32_e32 v4, 0x7f800001
	s_and_saveexec_b64 s[90:91], vcc
	s_cbranch_execz .LBB6_5429
; %bb.5428:                             ;   in Loop: Header=BB6_5404 Depth=2
	v_and_b32_e32 v4, 7, v36
	v_ffbh_u32_e32 v4, v4
	v_min_u32_e32 v4, 32, v4
	v_lshrrev_b32_e32 v7, 3, v6
	v_cmp_gt_u32_e32 vcc, 8, v6
	v_subrev_u32_e32 v6, 28, v4
	v_sub_u32_e32 v4, 29, v4
	v_cndmask_b32_e32 v6, 0, v6, vcc
	v_cndmask_b32_e32 v4, v7, v4, vcc
	v_lshlrev_b64 v[6:7], v6, v[36:37]
	v_lshlrev_b32_e32 v7, 24, v36
	v_lshlrev_b32_e32 v6, 20, v6
	v_and_b32_e32 v6, 0x700000, v6
	v_and_b32_e32 v7, 0x80000000, v7
	v_lshl_add_u32 v4, v4, 23, v5
	v_or3_b32 v4, v7, v4, v6
.LBB6_5429:                             ;   in Loop: Header=BB6_5404 Depth=2
	s_or_b64 exec, exec, s[90:91]
.LBB6_5430:                             ;   in Loop: Header=BB6_5404 Depth=2
	s_or_b64 exec, exec, s[20:21]
.LBB6_5431:                             ;   in Loop: Header=BB6_5404 Depth=2
	s_or_b64 exec, exec, s[18:19]
	v_max_f32_e32 v4, v4, v4
	v_max_f32_e32 v2, v2, v2
	v_min_f32_e32 v6, v2, v4
.LBB6_5432:                             ;   in Loop: Header=BB6_5404 Depth=2
	v_and_b32_e32 v2, 0x7f800000, v6
	v_cmp_ne_u64_e32 vcc, s[62:63], v[2:3]
                                        ; implicit-def: $vgpr40
	s_and_saveexec_b64 s[18:19], vcc
	s_xor_b64 s[20:21], exec, s[18:19]
	s_cbranch_execz .LBB6_5446
; %bb.5433:                             ;   in Loop: Header=BB6_5404 Depth=2
	v_and_b32_e32 v2, 0x7fffffff, v6
	v_cmp_gt_u64_e32 vcc, s[72:73], v[2:3]
	v_and_b32_sdwa v4, v6, s49 dst_sel:DWORD dst_unused:UNUSED_PAD src0_sel:BYTE_3 src1_sel:DWORD
                                        ; implicit-def: $vgpr40
	s_and_saveexec_b64 s[18:19], vcc
	s_xor_b64 s[90:91], exec, s[18:19]
	s_cbranch_execz .LBB6_5443
; %bb.5434:                             ;   in Loop: Header=BB6_5404 Depth=2
	v_mov_b32_e32 v40, 0
	v_cmp_ne_u32_e32 vcc, 0, v6
	s_and_saveexec_b64 s[92:93], vcc
	s_cbranch_execz .LBB6_5442
; %bb.5435:                             ;   in Loop: Header=BB6_5404 Depth=2
	v_and_b32_e32 v2, 0x7fffff, v6
	v_bfe_u32 v6, v6, 23, 8
	v_cmp_gt_u32_e64 s[18:19], s53, v6
	v_sub_u32_e32 v7, 0x79, v6
	v_cmp_eq_u32_e32 vcc, 0, v6
	v_cndmask_b32_e64 v7, 0, v7, s[18:19]
	v_mov_b32_e32 v9, 0x78
	v_or_b32_e32 v8, 0x800000, v2
	v_cndmask_b32_e32 v7, v7, v9, vcc
	v_cndmask_b32_e32 v2, v8, v2, vcc
	v_add_u32_e32 v8, 20, v7
	v_lshlrev_b64 v[8:9], v8, -1
	v_add_u32_e32 v30, 19, v7
	v_lshlrev_b64 v[30:31], v30, 1
	v_bfi_b32 v9, v9, 0, 0
	v_bfi_b32 v8, v8, 0, v2
	v_cmp_eq_u64_e64 s[18:19], v[8:9], v[30:31]
	v_lshrrev_b64 v[30:31], v7, v[2:3]
	v_mov_b32_e32 v43, v31
	v_mov_b32_e32 v42, v30
	s_and_saveexec_b64 s[94:95], s[18:19]
; %bb.5436:                             ;   in Loop: Header=BB6_5404 Depth=2
	v_bfe_u32 v2, v30, 20, 1
	v_add_co_u32_e64 v2, s[18:19], v30, v2
	v_add_co_u32_e64 v42, s[18:19], -1, v2
; %bb.5437:                             ;   in Loop: Header=BB6_5404 Depth=2
	s_or_b64 exec, exec, s[94:95]
	v_add_u32_e32 v2, 0xffffff81, v6
	v_cndmask_b32_e32 v2, v2, v59, vcc
	v_lshrrev_b32_e32 v6, 23, v30
	v_add3_u32 v8, v7, v2, v6
	v_add_u32_e32 v7, 6, v8
	v_and_b32_e32 v2, 0xfffff, v42
	v_add_u32_e32 v2, v2, v30
	v_cmp_ne_u32_e32 vcc, 0, v7
                                        ; implicit-def: $vgpr30_vgpr31
                                        ; implicit-def: $vgpr6
	s_and_saveexec_b64 s[18:19], vcc
	s_xor_b64 s[18:19], exec, s[18:19]
; %bb.5438:                             ;   in Loop: Header=BB6_5404 Depth=2
	v_cmp_lt_u64_e32 vcc, s[74:75], v[2:3]
	v_add_u32_e32 v6, 7, v8
	v_cndmask_b32_e32 v6, v7, v6, vcc
	v_cndmask_b32_e64 v7, 0, 1, vcc
	v_lshrrev_b64 v[30:31], v7, v[2:3]
; %bb.5439:                             ;   in Loop: Header=BB6_5404 Depth=2
	s_andn2_saveexec_b64 s[18:19], s[18:19]
; %bb.5440:                             ;   in Loop: Header=BB6_5404 Depth=2
	v_mov_b32_e32 v31, v3
	v_bfe_u32 v6, v2, 23, 1
	v_mov_b32_e32 v30, v2
; %bb.5441:                             ;   in Loop: Header=BB6_5404 Depth=2
	s_or_b64 exec, exec, s[18:19]
	v_lshrrev_b64 v[7:8], 20, v[30:31]
	v_cmp_gt_i32_e32 vcc, 16, v6
	v_cndmask_b32_e32 v8, 0, v8, vcc
	v_cndmask_b32_e32 v7, 7, v7, vcc
	v_min_i32_e32 v2, 15, v6
	v_cmp_eq_u64_e64 s[18:19], 0, v[7:8]
	v_lshlrev_b32_e32 v2, 3, v2
	v_cmp_eq_u32_e32 vcc, 0, v6
	v_and_b32_e32 v2, 0xf8, v2
	v_and_or_b32 v2, v7, 7, v2
	s_and_b64 s[18:19], vcc, s[18:19]
	v_cndmask_b32_e64 v2, v2, 0, s[18:19]
	v_or_b32_e32 v40, v2, v4
.LBB6_5442:                             ;   in Loop: Header=BB6_5404 Depth=2
	s_or_b64 exec, exec, s[92:93]
                                        ; implicit-def: $vgpr4
.LBB6_5443:                             ;   in Loop: Header=BB6_5404 Depth=2
	s_andn2_saveexec_b64 s[18:19], s[90:91]
; %bb.5444:                             ;   in Loop: Header=BB6_5404 Depth=2
	v_or_b32_e32 v40, 0x7e, v4
; %bb.5445:                             ;   in Loop: Header=BB6_5404 Depth=2
	s_or_b64 exec, exec, s[18:19]
                                        ; implicit-def: $vgpr6
.LBB6_5446:                             ;   in Loop: Header=BB6_5404 Depth=2
	s_andn2_saveexec_b64 s[18:19], s[20:21]
; %bb.5447:                             ;   in Loop: Header=BB6_5404 Depth=2
	v_or_b32_sdwa v40, v6, s51 dst_sel:DWORD dst_unused:UNUSED_PAD src0_sel:BYTE_3 src1_sel:DWORD
; %bb.5448:                             ;   in Loop: Header=BB6_5404 Depth=2
	s_or_b64 exec, exec, s[18:19]
	v_lshrrev_b16_e32 v30, 8, v48
	s_waitcnt vmcnt(3)
	v_lshrrev_b16_e32 v2, 8, v36
	v_cmp_ne_u16_e64 s[18:19], 0, v30
	s_mov_b64 s[20:21], -1
	s_and_b64 vcc, exec, s[26:27]
                                        ; implicit-def: $vgpr6
	s_cbranch_vccz .LBB6_5462
; %bb.5449:                             ;   in Loop: Header=BB6_5404 Depth=2
	v_mov_b32_e32 v6, 0
	v_mov_b32_e32 v4, 0
	s_and_saveexec_b64 s[20:21], s[18:19]
	s_cbranch_execz .LBB6_5455
; %bb.5450:                             ;   in Loop: Header=BB6_5404 Depth=2
	v_cmp_ne_u16_e32 vcc, s49, v30
	v_bfrev_b32_e32 v4, 1
	s_and_saveexec_b64 s[90:91], vcc
	s_cbranch_execz .LBB6_5454
; %bb.5451:                             ;   in Loop: Header=BB6_5404 Depth=2
	v_and_b32_e32 v7, 0x7f, v30
	v_cmp_ne_u32_e32 vcc, s51, v7
	v_mov_b32_e32 v4, 0x7f800001
	s_and_saveexec_b64 s[92:93], vcc
	s_cbranch_execz .LBB6_5453
; %bb.5452:                             ;   in Loop: Header=BB6_5404 Depth=2
	v_and_b32_e32 v4, 7, v30
	v_lshrrev_b32_e32 v9, 3, v7
	v_cmp_gt_u32_e32 vcc, 8, v7
	v_ffbh_u32_e32 v7, v4
	v_min_u32_e32 v31, 32, v7
	v_subrev_u32_e32 v7, 28, v31
	v_lshlrev_b64 v[7:8], v7, v[30:31]
	v_sub_u32_e32 v8, 29, v31
	v_and_b32_e32 v7, 7, v7
	v_cndmask_b32_e32 v8, v9, v8, vcc
	v_cndmask_b32_e32 v4, v4, v7, vcc
	v_lshlrev_b32_e32 v7, 16, v48
	v_lshlrev_b32_e32 v4, 20, v4
	v_and_b32_e32 v7, 0x80000000, v7
	v_lshl_add_u32 v8, v8, 23, v5
	v_or3_b32 v4, v7, v8, v4
.LBB6_5453:                             ;   in Loop: Header=BB6_5404 Depth=2
	s_or_b64 exec, exec, s[92:93]
.LBB6_5454:                             ;   in Loop: Header=BB6_5404 Depth=2
	s_or_b64 exec, exec, s[90:91]
.LBB6_5455:                             ;   in Loop: Header=BB6_5404 Depth=2
	s_or_b64 exec, exec, s[20:21]
	v_cmp_ne_u16_e32 vcc, 0, v2
	s_and_saveexec_b64 s[20:21], vcc
	s_cbranch_execz .LBB6_5461
; %bb.5456:                             ;   in Loop: Header=BB6_5404 Depth=2
	v_cmp_ne_u16_e32 vcc, s49, v2
	v_bfrev_b32_e32 v6, 1
	s_and_saveexec_b64 s[90:91], vcc
	s_cbranch_execz .LBB6_5460
; %bb.5457:                             ;   in Loop: Header=BB6_5404 Depth=2
	v_and_b32_e32 v7, 0x7f, v2
	v_cmp_ne_u32_e32 vcc, s51, v7
	v_mov_b32_e32 v6, 0x7f800001
	s_and_saveexec_b64 s[92:93], vcc
	s_cbranch_execz .LBB6_5459
; %bb.5458:                             ;   in Loop: Header=BB6_5404 Depth=2
	v_and_b32_e32 v8, 7, v2
	v_ffbh_u32_e32 v6, v8
	v_min_u32_e32 v31, 32, v6
	v_subrev_u32_e32 v6, 28, v31
	v_lshrrev_b32_e32 v9, 3, v7
	v_cmp_gt_u32_e32 vcc, 8, v7
	v_lshlrev_b64 v[6:7], v6, v[2:3]
	v_sub_u32_e32 v7, 29, v31
	v_and_b32_e32 v6, 7, v6
	v_cndmask_b32_e32 v7, v9, v7, vcc
	v_cndmask_b32_e32 v6, v8, v6, vcc
	v_lshlrev_b32_e32 v8, 16, v36
	v_lshlrev_b32_e32 v6, 20, v6
	v_and_b32_e32 v8, 0x80000000, v8
	v_lshl_add_u32 v7, v7, 23, v5
	v_or3_b32 v6, v8, v7, v6
.LBB6_5459:                             ;   in Loop: Header=BB6_5404 Depth=2
	s_or_b64 exec, exec, s[92:93]
.LBB6_5460:                             ;   in Loop: Header=BB6_5404 Depth=2
	s_or_b64 exec, exec, s[90:91]
.LBB6_5461:                             ;   in Loop: Header=BB6_5404 Depth=2
	s_or_b64 exec, exec, s[20:21]
	v_max_f32_e32 v6, v6, v6
	v_max_f32_e32 v4, v4, v4
	;; [unrolled: 1-line block ×3, first 2 shown]
	s_mov_b64 s[20:21], 0
.LBB6_5462:                             ;   in Loop: Header=BB6_5404 Depth=2
	s_and_b64 vcc, exec, s[20:21]
	s_cbranch_vccz .LBB6_5476
; %bb.5463:                             ;   in Loop: Header=BB6_5404 Depth=2
	v_mov_b32_e32 v6, 0
	v_mov_b32_e32 v4, 0
	s_and_saveexec_b64 s[20:21], s[18:19]
	s_cbranch_execz .LBB6_5469
; %bb.5464:                             ;   in Loop: Header=BB6_5404 Depth=2
	v_cmp_ne_u16_e32 vcc, s49, v30
	v_bfrev_b32_e32 v4, 1
	s_and_saveexec_b64 s[18:19], vcc
	s_cbranch_execz .LBB6_5468
; %bb.5465:                             ;   in Loop: Header=BB6_5404 Depth=2
	v_and_b32_e32 v7, 0x7f, v30
	v_cmp_ne_u32_e32 vcc, s51, v7
	v_mov_b32_e32 v4, 0x7f800001
	s_and_saveexec_b64 s[90:91], vcc
	s_cbranch_execz .LBB6_5467
; %bb.5466:                             ;   in Loop: Header=BB6_5404 Depth=2
	v_and_b32_e32 v4, 7, v30
	v_lshrrev_b32_e32 v9, 3, v7
	v_cmp_gt_u32_e32 vcc, 8, v7
	v_ffbh_u32_e32 v7, v4
	v_min_u32_e32 v31, 32, v7
	v_subrev_u32_e32 v7, 28, v31
	v_lshlrev_b64 v[7:8], v7, v[30:31]
	v_sub_u32_e32 v8, 29, v31
	v_and_b32_e32 v7, 7, v7
	v_cndmask_b32_e32 v8, v9, v8, vcc
	v_cndmask_b32_e32 v4, v4, v7, vcc
	v_lshlrev_b32_e32 v7, 16, v48
	v_lshlrev_b32_e32 v4, 20, v4
	v_and_b32_e32 v7, 0x80000000, v7
	v_lshl_add_u32 v8, v8, 23, v5
	v_or3_b32 v4, v7, v8, v4
.LBB6_5467:                             ;   in Loop: Header=BB6_5404 Depth=2
	s_or_b64 exec, exec, s[90:91]
.LBB6_5468:                             ;   in Loop: Header=BB6_5404 Depth=2
	s_or_b64 exec, exec, s[18:19]
.LBB6_5469:                             ;   in Loop: Header=BB6_5404 Depth=2
	s_or_b64 exec, exec, s[20:21]
	v_cmp_ne_u16_e32 vcc, 0, v2
	s_and_saveexec_b64 s[18:19], vcc
	s_cbranch_execz .LBB6_5475
; %bb.5470:                             ;   in Loop: Header=BB6_5404 Depth=2
	v_cmp_ne_u16_e32 vcc, s49, v2
	v_bfrev_b32_e32 v6, 1
	s_and_saveexec_b64 s[20:21], vcc
	s_cbranch_execz .LBB6_5474
; %bb.5471:                             ;   in Loop: Header=BB6_5404 Depth=2
	v_and_b32_e32 v7, 0x7f, v2
	v_cmp_ne_u32_e32 vcc, s51, v7
	v_mov_b32_e32 v6, 0x7f800001
	s_and_saveexec_b64 s[90:91], vcc
	s_cbranch_execz .LBB6_5473
; %bb.5472:                             ;   in Loop: Header=BB6_5404 Depth=2
	v_and_b32_e32 v8, 7, v2
	v_ffbh_u32_e32 v6, v8
	v_min_u32_e32 v30, 32, v6
	v_subrev_u32_e32 v6, 28, v30
	v_lshrrev_b32_e32 v9, 3, v7
	v_cmp_gt_u32_e32 vcc, 8, v7
	v_lshlrev_b64 v[6:7], v6, v[2:3]
	v_sub_u32_e32 v2, 29, v30
	v_and_b32_e32 v6, 7, v6
	v_cndmask_b32_e32 v2, v9, v2, vcc
	v_cndmask_b32_e32 v6, v8, v6, vcc
	v_lshlrev_b32_e32 v7, 16, v36
	v_lshlrev_b32_e32 v6, 20, v6
	v_and_b32_e32 v7, 0x80000000, v7
	v_lshl_add_u32 v2, v2, 23, v5
	v_or3_b32 v6, v7, v2, v6
.LBB6_5473:                             ;   in Loop: Header=BB6_5404 Depth=2
	s_or_b64 exec, exec, s[90:91]
.LBB6_5474:                             ;   in Loop: Header=BB6_5404 Depth=2
	s_or_b64 exec, exec, s[20:21]
.LBB6_5475:                             ;   in Loop: Header=BB6_5404 Depth=2
	s_or_b64 exec, exec, s[18:19]
	v_max_f32_e32 v2, v6, v6
	v_max_f32_e32 v4, v4, v4
	v_min_f32_e32 v6, v4, v2
.LBB6_5476:                             ;   in Loop: Header=BB6_5404 Depth=2
	v_and_b32_e32 v2, 0x7f800000, v6
	v_cmp_ne_u64_e32 vcc, s[62:63], v[2:3]
                                        ; implicit-def: $vgpr41
	s_and_saveexec_b64 s[18:19], vcc
	s_xor_b64 s[20:21], exec, s[18:19]
	s_cbranch_execz .LBB6_5490
; %bb.5477:                             ;   in Loop: Header=BB6_5404 Depth=2
	v_and_b32_e32 v2, 0x7fffffff, v6
	v_cmp_gt_u64_e32 vcc, s[72:73], v[2:3]
	v_and_b32_sdwa v4, v6, s49 dst_sel:DWORD dst_unused:UNUSED_PAD src0_sel:BYTE_3 src1_sel:DWORD
                                        ; implicit-def: $vgpr41
	s_and_saveexec_b64 s[18:19], vcc
	s_xor_b64 s[90:91], exec, s[18:19]
	s_cbranch_execz .LBB6_5487
; %bb.5478:                             ;   in Loop: Header=BB6_5404 Depth=2
	v_mov_b32_e32 v41, 0
	v_cmp_ne_u32_e32 vcc, 0, v6
	s_and_saveexec_b64 s[92:93], vcc
	s_cbranch_execz .LBB6_5486
; %bb.5479:                             ;   in Loop: Header=BB6_5404 Depth=2
	v_and_b32_e32 v2, 0x7fffff, v6
	v_bfe_u32 v6, v6, 23, 8
	v_cmp_gt_u32_e64 s[18:19], s53, v6
	v_sub_u32_e32 v7, 0x79, v6
	v_cmp_eq_u32_e32 vcc, 0, v6
	v_cndmask_b32_e64 v7, 0, v7, s[18:19]
	v_mov_b32_e32 v9, 0x78
	v_or_b32_e32 v8, 0x800000, v2
	v_cndmask_b32_e32 v7, v7, v9, vcc
	v_cndmask_b32_e32 v2, v8, v2, vcc
	v_add_u32_e32 v8, 20, v7
	v_lshlrev_b64 v[8:9], v8, -1
	v_add_u32_e32 v30, 19, v7
	v_lshlrev_b64 v[30:31], v30, 1
	v_bfi_b32 v9, v9, 0, 0
	v_bfi_b32 v8, v8, 0, v2
	v_cmp_eq_u64_e64 s[18:19], v[8:9], v[30:31]
	v_lshrrev_b64 v[30:31], v7, v[2:3]
	v_mov_b32_e32 v43, v31
	v_mov_b32_e32 v42, v30
	s_and_saveexec_b64 s[94:95], s[18:19]
; %bb.5480:                             ;   in Loop: Header=BB6_5404 Depth=2
	v_bfe_u32 v2, v30, 20, 1
	v_add_co_u32_e64 v2, s[18:19], v30, v2
	v_add_co_u32_e64 v42, s[18:19], -1, v2
; %bb.5481:                             ;   in Loop: Header=BB6_5404 Depth=2
	s_or_b64 exec, exec, s[94:95]
	v_add_u32_e32 v2, 0xffffff81, v6
	v_cndmask_b32_e32 v2, v2, v59, vcc
	v_lshrrev_b32_e32 v6, 23, v30
	v_add3_u32 v8, v7, v2, v6
	v_add_u32_e32 v7, 6, v8
	v_and_b32_e32 v2, 0xfffff, v42
	v_add_u32_e32 v2, v2, v30
	v_cmp_ne_u32_e32 vcc, 0, v7
                                        ; implicit-def: $vgpr30_vgpr31
                                        ; implicit-def: $vgpr6
	s_and_saveexec_b64 s[18:19], vcc
	s_xor_b64 s[18:19], exec, s[18:19]
; %bb.5482:                             ;   in Loop: Header=BB6_5404 Depth=2
	v_cmp_lt_u64_e32 vcc, s[74:75], v[2:3]
	v_add_u32_e32 v6, 7, v8
	v_cndmask_b32_e32 v6, v7, v6, vcc
	v_cndmask_b32_e64 v7, 0, 1, vcc
	v_lshrrev_b64 v[30:31], v7, v[2:3]
; %bb.5483:                             ;   in Loop: Header=BB6_5404 Depth=2
	s_andn2_saveexec_b64 s[18:19], s[18:19]
; %bb.5484:                             ;   in Loop: Header=BB6_5404 Depth=2
	v_mov_b32_e32 v31, v3
	v_bfe_u32 v6, v2, 23, 1
	v_mov_b32_e32 v30, v2
; %bb.5485:                             ;   in Loop: Header=BB6_5404 Depth=2
	s_or_b64 exec, exec, s[18:19]
	v_lshrrev_b64 v[7:8], 20, v[30:31]
	v_cmp_gt_i32_e32 vcc, 16, v6
	v_cndmask_b32_e32 v8, 0, v8, vcc
	v_cndmask_b32_e32 v7, 7, v7, vcc
	v_min_i32_e32 v2, 15, v6
	v_cmp_eq_u64_e64 s[18:19], 0, v[7:8]
	v_lshlrev_b32_e32 v2, 3, v2
	v_cmp_eq_u32_e32 vcc, 0, v6
	v_and_b32_e32 v2, 0xf8, v2
	v_and_or_b32 v2, v7, 7, v2
	s_and_b64 s[18:19], vcc, s[18:19]
	v_cndmask_b32_e64 v2, v2, 0, s[18:19]
	v_or_b32_e32 v41, v2, v4
.LBB6_5486:                             ;   in Loop: Header=BB6_5404 Depth=2
	s_or_b64 exec, exec, s[92:93]
                                        ; implicit-def: $vgpr4
.LBB6_5487:                             ;   in Loop: Header=BB6_5404 Depth=2
	s_andn2_saveexec_b64 s[18:19], s[90:91]
; %bb.5488:                             ;   in Loop: Header=BB6_5404 Depth=2
	v_or_b32_e32 v41, 0x7e, v4
; %bb.5489:                             ;   in Loop: Header=BB6_5404 Depth=2
	s_or_b64 exec, exec, s[18:19]
                                        ; implicit-def: $vgpr6
.LBB6_5490:                             ;   in Loop: Header=BB6_5404 Depth=2
	s_andn2_saveexec_b64 s[18:19], s[20:21]
; %bb.5491:                             ;   in Loop: Header=BB6_5404 Depth=2
	v_or_b32_sdwa v41, v6, s51 dst_sel:DWORD dst_unused:UNUSED_PAD src0_sel:BYTE_3 src1_sel:DWORD
; %bb.5492:                             ;   in Loop: Header=BB6_5404 Depth=2
	s_or_b64 exec, exec, s[18:19]
	v_lshrrev_b32_e32 v42, 16, v48
	v_lshrrev_b32_e32 v2, 16, v36
	v_cmp_ne_u16_sdwa s[18:19], v42, v3 src0_sel:BYTE_0 src1_sel:DWORD
	s_mov_b64 s[20:21], -1
	s_and_b64 vcc, exec, s[26:27]
                                        ; implicit-def: $vgpr6
	s_cbranch_vccz .LBB6_5506
; %bb.5493:                             ;   in Loop: Header=BB6_5404 Depth=2
	v_mov_b32_e32 v6, 0
	v_mov_b32_e32 v4, 0
	s_and_saveexec_b64 s[20:21], s[18:19]
	s_cbranch_execz .LBB6_5499
; %bb.5494:                             ;   in Loop: Header=BB6_5404 Depth=2
	v_cmp_ne_u16_sdwa s[92:93], v42, s49 src0_sel:BYTE_0 src1_sel:DWORD
	v_bfrev_b32_e32 v4, 1
	s_and_saveexec_b64 s[90:91], s[92:93]
	s_cbranch_execz .LBB6_5498
; %bb.5495:                             ;   in Loop: Header=BB6_5404 Depth=2
	v_bfe_u32 v7, v48, 16, 7
	v_cmp_ne_u32_e32 vcc, s51, v7
	v_mov_b32_e32 v4, 0x7f800001
	s_and_saveexec_b64 s[92:93], vcc
	s_cbranch_execz .LBB6_5497
; %bb.5496:                             ;   in Loop: Header=BB6_5404 Depth=2
	v_and_b32_e32 v4, 7, v42
	v_lshrrev_b32_e32 v9, 3, v7
	v_cmp_gt_u32_e32 vcc, 8, v7
	v_ffbh_u32_e32 v7, v4
	v_min_u32_e32 v30, 32, v7
	v_subrev_u32_e32 v7, 28, v30
	v_lshlrev_b64 v[7:8], v7, v[42:43]
	v_sub_u32_e32 v8, 29, v30
	v_and_b32_e32 v7, 7, v7
	v_cndmask_b32_e32 v8, v9, v8, vcc
	v_cndmask_b32_e32 v4, v4, v7, vcc
	v_lshlrev_b32_e32 v7, 24, v42
	v_lshlrev_b32_e32 v4, 20, v4
	v_and_b32_e32 v7, 0x80000000, v7
	v_lshl_add_u32 v8, v8, 23, v5
	v_or3_b32 v4, v7, v8, v4
.LBB6_5497:                             ;   in Loop: Header=BB6_5404 Depth=2
	s_or_b64 exec, exec, s[92:93]
.LBB6_5498:                             ;   in Loop: Header=BB6_5404 Depth=2
	s_or_b64 exec, exec, s[90:91]
.LBB6_5499:                             ;   in Loop: Header=BB6_5404 Depth=2
	s_or_b64 exec, exec, s[20:21]
	v_cmp_ne_u16_sdwa s[90:91], v2, v3 src0_sel:BYTE_0 src1_sel:DWORD
	s_and_saveexec_b64 s[20:21], s[90:91]
	s_cbranch_execz .LBB6_5505
; %bb.5500:                             ;   in Loop: Header=BB6_5404 Depth=2
	v_cmp_ne_u16_sdwa s[92:93], v2, s49 src0_sel:BYTE_0 src1_sel:DWORD
	v_bfrev_b32_e32 v6, 1
	s_and_saveexec_b64 s[90:91], s[92:93]
	s_cbranch_execz .LBB6_5504
; %bb.5501:                             ;   in Loop: Header=BB6_5404 Depth=2
	v_bfe_u32 v7, v36, 16, 7
	v_cmp_ne_u32_e32 vcc, s51, v7
	v_mov_b32_e32 v6, 0x7f800001
	s_and_saveexec_b64 s[92:93], vcc
	s_cbranch_execz .LBB6_5503
; %bb.5502:                             ;   in Loop: Header=BB6_5404 Depth=2
	v_and_b32_e32 v8, 7, v2
	v_ffbh_u32_e32 v6, v8
	v_min_u32_e32 v30, 32, v6
	v_subrev_u32_e32 v6, 28, v30
	v_lshrrev_b32_e32 v9, 3, v7
	v_cmp_gt_u32_e32 vcc, 8, v7
	v_lshlrev_b64 v[6:7], v6, v[2:3]
	v_sub_u32_e32 v7, 29, v30
	v_and_b32_e32 v6, 7, v6
	v_cndmask_b32_e32 v7, v9, v7, vcc
	v_cndmask_b32_e32 v6, v8, v6, vcc
	v_lshlrev_b32_e32 v8, 24, v2
	v_lshlrev_b32_e32 v6, 20, v6
	v_and_b32_e32 v8, 0x80000000, v8
	v_lshl_add_u32 v7, v7, 23, v5
	v_or3_b32 v6, v8, v7, v6
.LBB6_5503:                             ;   in Loop: Header=BB6_5404 Depth=2
	s_or_b64 exec, exec, s[92:93]
.LBB6_5504:                             ;   in Loop: Header=BB6_5404 Depth=2
	s_or_b64 exec, exec, s[90:91]
.LBB6_5505:                             ;   in Loop: Header=BB6_5404 Depth=2
	s_or_b64 exec, exec, s[20:21]
	v_max_f32_e32 v6, v6, v6
	v_max_f32_e32 v4, v4, v4
	;; [unrolled: 1-line block ×3, first 2 shown]
	s_mov_b64 s[20:21], 0
.LBB6_5506:                             ;   in Loop: Header=BB6_5404 Depth=2
	s_and_b64 vcc, exec, s[20:21]
	s_cbranch_vccz .LBB6_5520
; %bb.5507:                             ;   in Loop: Header=BB6_5404 Depth=2
	v_mov_b32_e32 v6, 0
	v_mov_b32_e32 v4, 0
	s_and_saveexec_b64 s[20:21], s[18:19]
	s_cbranch_execz .LBB6_5513
; %bb.5508:                             ;   in Loop: Header=BB6_5404 Depth=2
	v_cmp_ne_u16_sdwa s[90:91], v42, s49 src0_sel:BYTE_0 src1_sel:DWORD
	v_bfrev_b32_e32 v4, 1
	s_and_saveexec_b64 s[18:19], s[90:91]
	s_cbranch_execz .LBB6_5512
; %bb.5509:                             ;   in Loop: Header=BB6_5404 Depth=2
	v_bfe_u32 v7, v48, 16, 7
	v_cmp_ne_u32_e32 vcc, s51, v7
	v_mov_b32_e32 v4, 0x7f800001
	s_and_saveexec_b64 s[90:91], vcc
	s_cbranch_execz .LBB6_5511
; %bb.5510:                             ;   in Loop: Header=BB6_5404 Depth=2
	v_and_b32_e32 v4, 7, v42
	v_lshrrev_b32_e32 v9, 3, v7
	v_cmp_gt_u32_e32 vcc, 8, v7
	v_ffbh_u32_e32 v7, v4
	v_min_u32_e32 v30, 32, v7
	v_subrev_u32_e32 v7, 28, v30
	v_lshlrev_b64 v[7:8], v7, v[42:43]
	v_sub_u32_e32 v8, 29, v30
	v_and_b32_e32 v7, 7, v7
	v_cndmask_b32_e32 v8, v9, v8, vcc
	v_cndmask_b32_e32 v4, v4, v7, vcc
	v_lshlrev_b32_e32 v7, 24, v42
	v_lshlrev_b32_e32 v4, 20, v4
	v_and_b32_e32 v7, 0x80000000, v7
	v_lshl_add_u32 v8, v8, 23, v5
	v_or3_b32 v4, v7, v8, v4
.LBB6_5511:                             ;   in Loop: Header=BB6_5404 Depth=2
	s_or_b64 exec, exec, s[90:91]
.LBB6_5512:                             ;   in Loop: Header=BB6_5404 Depth=2
	s_or_b64 exec, exec, s[18:19]
.LBB6_5513:                             ;   in Loop: Header=BB6_5404 Depth=2
	s_or_b64 exec, exec, s[20:21]
	v_cmp_ne_u16_sdwa s[20:21], v2, v3 src0_sel:BYTE_0 src1_sel:DWORD
	s_and_saveexec_b64 s[18:19], s[20:21]
	s_cbranch_execz .LBB6_5519
; %bb.5514:                             ;   in Loop: Header=BB6_5404 Depth=2
	v_cmp_ne_u16_sdwa s[90:91], v2, s49 src0_sel:BYTE_0 src1_sel:DWORD
	v_bfrev_b32_e32 v6, 1
	s_and_saveexec_b64 s[20:21], s[90:91]
	s_cbranch_execz .LBB6_5518
; %bb.5515:                             ;   in Loop: Header=BB6_5404 Depth=2
	v_bfe_u32 v7, v36, 16, 7
	v_cmp_ne_u32_e32 vcc, s51, v7
	v_mov_b32_e32 v6, 0x7f800001
	s_and_saveexec_b64 s[90:91], vcc
	s_cbranch_execz .LBB6_5517
; %bb.5516:                             ;   in Loop: Header=BB6_5404 Depth=2
	v_and_b32_e32 v8, 7, v2
	v_ffbh_u32_e32 v6, v8
	v_min_u32_e32 v30, 32, v6
	v_subrev_u32_e32 v6, 28, v30
	v_lshrrev_b32_e32 v9, 3, v7
	v_cmp_gt_u32_e32 vcc, 8, v7
	v_lshlrev_b64 v[6:7], v6, v[2:3]
	v_sub_u32_e32 v7, 29, v30
	v_and_b32_e32 v6, 7, v6
	v_cndmask_b32_e32 v7, v9, v7, vcc
	v_cndmask_b32_e32 v6, v8, v6, vcc
	v_lshlrev_b32_e32 v2, 24, v2
	v_lshlrev_b32_e32 v6, 20, v6
	v_and_b32_e32 v2, 0x80000000, v2
	v_lshl_add_u32 v7, v7, 23, v5
	v_or3_b32 v6, v2, v7, v6
.LBB6_5517:                             ;   in Loop: Header=BB6_5404 Depth=2
	s_or_b64 exec, exec, s[90:91]
.LBB6_5518:                             ;   in Loop: Header=BB6_5404 Depth=2
	s_or_b64 exec, exec, s[20:21]
.LBB6_5519:                             ;   in Loop: Header=BB6_5404 Depth=2
	s_or_b64 exec, exec, s[18:19]
	v_max_f32_e32 v2, v6, v6
	v_max_f32_e32 v4, v4, v4
	v_min_f32_e32 v6, v4, v2
.LBB6_5520:                             ;   in Loop: Header=BB6_5404 Depth=2
	v_and_b32_e32 v2, 0x7f800000, v6
	v_cmp_ne_u64_e32 vcc, s[62:63], v[2:3]
                                        ; implicit-def: $vgpr44
	s_and_saveexec_b64 s[18:19], vcc
	s_xor_b64 s[20:21], exec, s[18:19]
	s_cbranch_execz .LBB6_5534
; %bb.5521:                             ;   in Loop: Header=BB6_5404 Depth=2
	v_and_b32_e32 v2, 0x7fffffff, v6
	v_cmp_gt_u64_e32 vcc, s[72:73], v[2:3]
	v_and_b32_sdwa v4, v6, s49 dst_sel:DWORD dst_unused:UNUSED_PAD src0_sel:BYTE_3 src1_sel:DWORD
                                        ; implicit-def: $vgpr44
	s_and_saveexec_b64 s[18:19], vcc
	s_xor_b64 s[90:91], exec, s[18:19]
	s_cbranch_execz .LBB6_5531
; %bb.5522:                             ;   in Loop: Header=BB6_5404 Depth=2
	v_mov_b32_e32 v44, 0
	v_cmp_ne_u32_e32 vcc, 0, v6
	s_and_saveexec_b64 s[92:93], vcc
	s_cbranch_execz .LBB6_5530
; %bb.5523:                             ;   in Loop: Header=BB6_5404 Depth=2
	v_and_b32_e32 v2, 0x7fffff, v6
	v_bfe_u32 v6, v6, 23, 8
	v_cmp_gt_u32_e64 s[18:19], s53, v6
	v_sub_u32_e32 v7, 0x79, v6
	v_cmp_eq_u32_e32 vcc, 0, v6
	v_cndmask_b32_e64 v7, 0, v7, s[18:19]
	v_mov_b32_e32 v9, 0x78
	v_or_b32_e32 v8, 0x800000, v2
	v_cndmask_b32_e32 v7, v7, v9, vcc
	v_cndmask_b32_e32 v2, v8, v2, vcc
	v_add_u32_e32 v8, 20, v7
	v_lshlrev_b64 v[8:9], v8, -1
	v_add_u32_e32 v30, 19, v7
	v_lshlrev_b64 v[30:31], v30, 1
	v_bfi_b32 v9, v9, 0, 0
	v_bfi_b32 v8, v8, 0, v2
	v_cmp_eq_u64_e64 s[18:19], v[8:9], v[30:31]
	v_lshrrev_b64 v[30:31], v7, v[2:3]
	v_mov_b32_e32 v43, v31
	v_mov_b32_e32 v42, v30
	s_and_saveexec_b64 s[94:95], s[18:19]
; %bb.5524:                             ;   in Loop: Header=BB6_5404 Depth=2
	v_bfe_u32 v2, v30, 20, 1
	v_add_co_u32_e64 v2, s[18:19], v30, v2
	v_add_co_u32_e64 v42, s[18:19], -1, v2
; %bb.5525:                             ;   in Loop: Header=BB6_5404 Depth=2
	s_or_b64 exec, exec, s[94:95]
	v_add_u32_e32 v2, 0xffffff81, v6
	v_cndmask_b32_e32 v2, v2, v59, vcc
	v_lshrrev_b32_e32 v6, 23, v30
	v_add3_u32 v8, v7, v2, v6
	v_add_u32_e32 v7, 6, v8
	v_and_b32_e32 v2, 0xfffff, v42
	v_add_u32_e32 v2, v2, v30
	v_cmp_ne_u32_e32 vcc, 0, v7
                                        ; implicit-def: $vgpr30_vgpr31
                                        ; implicit-def: $vgpr6
	s_and_saveexec_b64 s[18:19], vcc
	s_xor_b64 s[18:19], exec, s[18:19]
; %bb.5526:                             ;   in Loop: Header=BB6_5404 Depth=2
	v_cmp_lt_u64_e32 vcc, s[74:75], v[2:3]
	v_add_u32_e32 v6, 7, v8
	v_cndmask_b32_e32 v6, v7, v6, vcc
	v_cndmask_b32_e64 v7, 0, 1, vcc
	v_lshrrev_b64 v[30:31], v7, v[2:3]
; %bb.5527:                             ;   in Loop: Header=BB6_5404 Depth=2
	s_andn2_saveexec_b64 s[18:19], s[18:19]
; %bb.5528:                             ;   in Loop: Header=BB6_5404 Depth=2
	v_mov_b32_e32 v31, v3
	v_bfe_u32 v6, v2, 23, 1
	v_mov_b32_e32 v30, v2
; %bb.5529:                             ;   in Loop: Header=BB6_5404 Depth=2
	s_or_b64 exec, exec, s[18:19]
	v_lshrrev_b64 v[7:8], 20, v[30:31]
	v_cmp_gt_i32_e32 vcc, 16, v6
	v_cndmask_b32_e32 v8, 0, v8, vcc
	v_cndmask_b32_e32 v7, 7, v7, vcc
	v_min_i32_e32 v2, 15, v6
	v_cmp_eq_u64_e64 s[18:19], 0, v[7:8]
	v_lshlrev_b32_e32 v2, 3, v2
	v_cmp_eq_u32_e32 vcc, 0, v6
	v_and_b32_e32 v2, 0xf8, v2
	v_and_or_b32 v2, v7, 7, v2
	s_and_b64 s[18:19], vcc, s[18:19]
	v_cndmask_b32_e64 v2, v2, 0, s[18:19]
	v_or_b32_e32 v44, v2, v4
.LBB6_5530:                             ;   in Loop: Header=BB6_5404 Depth=2
	s_or_b64 exec, exec, s[92:93]
                                        ; implicit-def: $vgpr4
.LBB6_5531:                             ;   in Loop: Header=BB6_5404 Depth=2
	s_andn2_saveexec_b64 s[18:19], s[90:91]
; %bb.5532:                             ;   in Loop: Header=BB6_5404 Depth=2
	v_or_b32_e32 v44, 0x7e, v4
; %bb.5533:                             ;   in Loop: Header=BB6_5404 Depth=2
	s_or_b64 exec, exec, s[18:19]
                                        ; implicit-def: $vgpr6
.LBB6_5534:                             ;   in Loop: Header=BB6_5404 Depth=2
	s_andn2_saveexec_b64 s[18:19], s[20:21]
; %bb.5535:                             ;   in Loop: Header=BB6_5404 Depth=2
	v_or_b32_sdwa v44, v6, s51 dst_sel:DWORD dst_unused:UNUSED_PAD src0_sel:BYTE_3 src1_sel:DWORD
; %bb.5536:                             ;   in Loop: Header=BB6_5404 Depth=2
	s_or_b64 exec, exec, s[18:19]
	v_lshrrev_b32_e32 v42, 24, v48
	v_lshrrev_b32_e32 v2, 24, v36
	v_cmp_lt_u32_e64 s[18:19], s77, v48
	s_mov_b64 s[20:21], -1
	s_and_b64 vcc, exec, s[26:27]
                                        ; implicit-def: $vgpr6
	s_cbranch_vccz .LBB6_5550
; %bb.5537:                             ;   in Loop: Header=BB6_5404 Depth=2
	v_mov_b32_e32 v6, 0
	v_mov_b32_e32 v4, 0
	s_and_saveexec_b64 s[20:21], s[18:19]
	s_cbranch_execz .LBB6_5543
; %bb.5538:                             ;   in Loop: Header=BB6_5404 Depth=2
	v_cmp_ne_u32_e32 vcc, s49, v42
	v_bfrev_b32_e32 v4, 1
	s_and_saveexec_b64 s[90:91], vcc
	s_cbranch_execz .LBB6_5542
; %bb.5539:                             ;   in Loop: Header=BB6_5404 Depth=2
	v_bfe_u32 v7, v48, 24, 7
	v_cmp_ne_u32_e32 vcc, s51, v7
	v_mov_b32_e32 v4, 0x7f800001
	s_and_saveexec_b64 s[92:93], vcc
	s_cbranch_execz .LBB6_5541
; %bb.5540:                             ;   in Loop: Header=BB6_5404 Depth=2
	v_and_b32_e32 v4, 7, v42
	v_lshrrev_b32_e32 v9, 3, v7
	v_cmp_gt_u32_e32 vcc, 8, v7
	v_ffbh_u32_e32 v7, v4
	v_min_u32_e32 v30, 32, v7
	v_subrev_u32_e32 v7, 28, v30
	v_lshlrev_b64 v[7:8], v7, v[42:43]
	v_sub_u32_e32 v8, 29, v30
	v_and_b32_e32 v7, 7, v7
	v_cndmask_b32_e32 v8, v9, v8, vcc
	v_cndmask_b32_e32 v4, v4, v7, vcc
	v_lshlrev_b32_e32 v7, 24, v42
	v_lshlrev_b32_e32 v4, 20, v4
	v_and_b32_e32 v7, 0x80000000, v7
	v_lshl_add_u32 v8, v8, 23, v5
	v_or3_b32 v4, v7, v8, v4
.LBB6_5541:                             ;   in Loop: Header=BB6_5404 Depth=2
	s_or_b64 exec, exec, s[92:93]
.LBB6_5542:                             ;   in Loop: Header=BB6_5404 Depth=2
	s_or_b64 exec, exec, s[90:91]
.LBB6_5543:                             ;   in Loop: Header=BB6_5404 Depth=2
	s_or_b64 exec, exec, s[20:21]
	v_cmp_lt_u32_e32 vcc, s77, v36
	s_and_saveexec_b64 s[20:21], vcc
	s_cbranch_execz .LBB6_5549
; %bb.5544:                             ;   in Loop: Header=BB6_5404 Depth=2
	v_cmp_ne_u32_e32 vcc, s49, v2
	v_bfrev_b32_e32 v6, 1
	s_and_saveexec_b64 s[90:91], vcc
	s_cbranch_execz .LBB6_5548
; %bb.5545:                             ;   in Loop: Header=BB6_5404 Depth=2
	v_bfe_u32 v7, v36, 24, 7
	v_cmp_ne_u32_e32 vcc, s51, v7
	v_mov_b32_e32 v6, 0x7f800001
	s_and_saveexec_b64 s[92:93], vcc
	s_cbranch_execz .LBB6_5547
; %bb.5546:                             ;   in Loop: Header=BB6_5404 Depth=2
	v_and_b32_e32 v8, 7, v2
	v_ffbh_u32_e32 v6, v8
	v_min_u32_e32 v30, 32, v6
	v_subrev_u32_e32 v6, 28, v30
	v_lshrrev_b32_e32 v9, 3, v7
	v_cmp_gt_u32_e32 vcc, 8, v7
	v_lshlrev_b64 v[6:7], v6, v[2:3]
	v_sub_u32_e32 v7, 29, v30
	v_and_b32_e32 v6, 7, v6
	v_cndmask_b32_e32 v7, v9, v7, vcc
	v_cndmask_b32_e32 v6, v8, v6, vcc
	v_lshlrev_b32_e32 v8, 24, v2
	v_lshlrev_b32_e32 v6, 20, v6
	v_and_b32_e32 v8, 0x80000000, v8
	v_lshl_add_u32 v7, v7, 23, v5
	v_or3_b32 v6, v8, v7, v6
.LBB6_5547:                             ;   in Loop: Header=BB6_5404 Depth=2
	s_or_b64 exec, exec, s[92:93]
.LBB6_5548:                             ;   in Loop: Header=BB6_5404 Depth=2
	s_or_b64 exec, exec, s[90:91]
.LBB6_5549:                             ;   in Loop: Header=BB6_5404 Depth=2
	s_or_b64 exec, exec, s[20:21]
	v_max_f32_e32 v6, v6, v6
	v_max_f32_e32 v4, v4, v4
	v_max_f32_e32 v6, v4, v6
	s_mov_b64 s[20:21], 0
.LBB6_5550:                             ;   in Loop: Header=BB6_5404 Depth=2
	s_and_b64 vcc, exec, s[20:21]
	s_cbranch_vccz .LBB6_5564
; %bb.5551:                             ;   in Loop: Header=BB6_5404 Depth=2
	v_mov_b32_e32 v6, 0
	v_mov_b32_e32 v4, 0
	s_and_saveexec_b64 s[20:21], s[18:19]
	s_cbranch_execz .LBB6_5557
; %bb.5552:                             ;   in Loop: Header=BB6_5404 Depth=2
	v_cmp_ne_u32_e32 vcc, s49, v42
	v_bfrev_b32_e32 v4, 1
	s_and_saveexec_b64 s[18:19], vcc
	s_cbranch_execz .LBB6_5556
; %bb.5553:                             ;   in Loop: Header=BB6_5404 Depth=2
	v_bfe_u32 v7, v48, 24, 7
	v_cmp_ne_u32_e32 vcc, s51, v7
	v_mov_b32_e32 v4, 0x7f800001
	s_and_saveexec_b64 s[90:91], vcc
	s_cbranch_execz .LBB6_5555
; %bb.5554:                             ;   in Loop: Header=BB6_5404 Depth=2
	v_and_b32_e32 v4, 7, v42
	v_lshrrev_b32_e32 v9, 3, v7
	v_cmp_gt_u32_e32 vcc, 8, v7
	v_ffbh_u32_e32 v7, v4
	v_min_u32_e32 v30, 32, v7
	v_subrev_u32_e32 v7, 28, v30
	v_lshlrev_b64 v[7:8], v7, v[42:43]
	v_sub_u32_e32 v8, 29, v30
	v_and_b32_e32 v7, 7, v7
	v_cndmask_b32_e32 v8, v9, v8, vcc
	v_cndmask_b32_e32 v4, v4, v7, vcc
	v_lshlrev_b32_e32 v7, 24, v42
	v_lshlrev_b32_e32 v4, 20, v4
	v_and_b32_e32 v7, 0x80000000, v7
	v_lshl_add_u32 v8, v8, 23, v5
	v_or3_b32 v4, v7, v8, v4
.LBB6_5555:                             ;   in Loop: Header=BB6_5404 Depth=2
	s_or_b64 exec, exec, s[90:91]
.LBB6_5556:                             ;   in Loop: Header=BB6_5404 Depth=2
	s_or_b64 exec, exec, s[18:19]
.LBB6_5557:                             ;   in Loop: Header=BB6_5404 Depth=2
	s_or_b64 exec, exec, s[20:21]
	v_cmp_lt_u32_e32 vcc, s77, v36
	s_and_saveexec_b64 s[18:19], vcc
	s_cbranch_execz .LBB6_5563
; %bb.5558:                             ;   in Loop: Header=BB6_5404 Depth=2
	v_cmp_ne_u32_e32 vcc, s49, v2
	v_bfrev_b32_e32 v6, 1
	s_and_saveexec_b64 s[20:21], vcc
	s_cbranch_execz .LBB6_5562
; %bb.5559:                             ;   in Loop: Header=BB6_5404 Depth=2
	v_bfe_u32 v7, v36, 24, 7
	v_cmp_ne_u32_e32 vcc, s51, v7
	v_mov_b32_e32 v6, 0x7f800001
	s_and_saveexec_b64 s[90:91], vcc
	s_cbranch_execz .LBB6_5561
; %bb.5560:                             ;   in Loop: Header=BB6_5404 Depth=2
	v_and_b32_e32 v8, 7, v2
	v_ffbh_u32_e32 v6, v8
	v_min_u32_e32 v30, 32, v6
	v_subrev_u32_e32 v6, 28, v30
	v_lshrrev_b32_e32 v9, 3, v7
	v_cmp_gt_u32_e32 vcc, 8, v7
	v_lshlrev_b64 v[6:7], v6, v[2:3]
	v_sub_u32_e32 v7, 29, v30
	v_and_b32_e32 v6, 7, v6
	v_cndmask_b32_e32 v7, v9, v7, vcc
	v_cndmask_b32_e32 v6, v8, v6, vcc
	v_lshlrev_b32_e32 v2, 24, v2
	v_lshlrev_b32_e32 v6, 20, v6
	v_and_b32_e32 v2, 0x80000000, v2
	v_lshl_add_u32 v7, v7, 23, v5
	v_or3_b32 v6, v2, v7, v6
.LBB6_5561:                             ;   in Loop: Header=BB6_5404 Depth=2
	s_or_b64 exec, exec, s[90:91]
.LBB6_5562:                             ;   in Loop: Header=BB6_5404 Depth=2
	s_or_b64 exec, exec, s[20:21]
.LBB6_5563:                             ;   in Loop: Header=BB6_5404 Depth=2
	s_or_b64 exec, exec, s[18:19]
	v_max_f32_e32 v2, v6, v6
	v_max_f32_e32 v4, v4, v4
	v_min_f32_e32 v6, v4, v2
.LBB6_5564:                             ;   in Loop: Header=BB6_5404 Depth=2
	v_and_b32_e32 v2, 0x7f800000, v6
	v_cmp_ne_u64_e32 vcc, s[62:63], v[2:3]
                                        ; implicit-def: $vgpr45
	s_and_saveexec_b64 s[18:19], vcc
	s_xor_b64 s[20:21], exec, s[18:19]
	s_cbranch_execz .LBB6_5578
; %bb.5565:                             ;   in Loop: Header=BB6_5404 Depth=2
	v_and_b32_e32 v2, 0x7fffffff, v6
	v_cmp_gt_u64_e32 vcc, s[72:73], v[2:3]
	v_and_b32_sdwa v4, v6, s49 dst_sel:DWORD dst_unused:UNUSED_PAD src0_sel:BYTE_3 src1_sel:DWORD
                                        ; implicit-def: $vgpr45
	s_and_saveexec_b64 s[18:19], vcc
	s_xor_b64 s[90:91], exec, s[18:19]
	s_cbranch_execz .LBB6_5575
; %bb.5566:                             ;   in Loop: Header=BB6_5404 Depth=2
	v_mov_b32_e32 v45, 0
	v_cmp_ne_u32_e32 vcc, 0, v6
	s_and_saveexec_b64 s[92:93], vcc
	s_cbranch_execz .LBB6_5574
; %bb.5567:                             ;   in Loop: Header=BB6_5404 Depth=2
	v_and_b32_e32 v2, 0x7fffff, v6
	v_bfe_u32 v6, v6, 23, 8
	v_cmp_gt_u32_e64 s[18:19], s53, v6
	v_sub_u32_e32 v7, 0x79, v6
	v_cmp_eq_u32_e32 vcc, 0, v6
	v_cndmask_b32_e64 v7, 0, v7, s[18:19]
	v_mov_b32_e32 v9, 0x78
	v_or_b32_e32 v8, 0x800000, v2
	v_cndmask_b32_e32 v7, v7, v9, vcc
	v_cndmask_b32_e32 v2, v8, v2, vcc
	v_add_u32_e32 v8, 20, v7
	v_lshlrev_b64 v[8:9], v8, -1
	v_add_u32_e32 v30, 19, v7
	v_lshlrev_b64 v[30:31], v30, 1
	v_bfi_b32 v9, v9, 0, 0
	v_bfi_b32 v8, v8, 0, v2
	v_cmp_eq_u64_e64 s[18:19], v[8:9], v[30:31]
	v_lshrrev_b64 v[30:31], v7, v[2:3]
	v_mov_b32_e32 v43, v31
	v_mov_b32_e32 v42, v30
	s_and_saveexec_b64 s[94:95], s[18:19]
; %bb.5568:                             ;   in Loop: Header=BB6_5404 Depth=2
	v_bfe_u32 v2, v30, 20, 1
	v_add_co_u32_e64 v2, s[18:19], v30, v2
	v_add_co_u32_e64 v42, s[18:19], -1, v2
; %bb.5569:                             ;   in Loop: Header=BB6_5404 Depth=2
	s_or_b64 exec, exec, s[94:95]
	v_add_u32_e32 v2, 0xffffff81, v6
	v_cndmask_b32_e32 v2, v2, v59, vcc
	v_lshrrev_b32_e32 v6, 23, v30
	v_add3_u32 v8, v7, v2, v6
	v_add_u32_e32 v7, 6, v8
	v_and_b32_e32 v2, 0xfffff, v42
	v_add_u32_e32 v2, v2, v30
	v_cmp_ne_u32_e32 vcc, 0, v7
                                        ; implicit-def: $vgpr30_vgpr31
                                        ; implicit-def: $vgpr6
	s_and_saveexec_b64 s[18:19], vcc
	s_xor_b64 s[18:19], exec, s[18:19]
; %bb.5570:                             ;   in Loop: Header=BB6_5404 Depth=2
	v_cmp_lt_u64_e32 vcc, s[74:75], v[2:3]
	v_add_u32_e32 v6, 7, v8
	v_cndmask_b32_e32 v6, v7, v6, vcc
	v_cndmask_b32_e64 v7, 0, 1, vcc
	v_lshrrev_b64 v[30:31], v7, v[2:3]
; %bb.5571:                             ;   in Loop: Header=BB6_5404 Depth=2
	s_andn2_saveexec_b64 s[18:19], s[18:19]
; %bb.5572:                             ;   in Loop: Header=BB6_5404 Depth=2
	v_mov_b32_e32 v31, v3
	v_bfe_u32 v6, v2, 23, 1
	v_mov_b32_e32 v30, v2
; %bb.5573:                             ;   in Loop: Header=BB6_5404 Depth=2
	s_or_b64 exec, exec, s[18:19]
	v_lshrrev_b64 v[7:8], 20, v[30:31]
	v_cmp_gt_i32_e32 vcc, 16, v6
	v_cndmask_b32_e32 v8, 0, v8, vcc
	v_cndmask_b32_e32 v7, 7, v7, vcc
	v_min_i32_e32 v2, 15, v6
	v_cmp_eq_u64_e64 s[18:19], 0, v[7:8]
	v_lshlrev_b32_e32 v2, 3, v2
	v_cmp_eq_u32_e32 vcc, 0, v6
	v_and_b32_e32 v2, 0xf8, v2
	v_and_or_b32 v2, v7, 7, v2
	s_and_b64 s[18:19], vcc, s[18:19]
	v_cndmask_b32_e64 v2, v2, 0, s[18:19]
	v_or_b32_e32 v45, v2, v4
.LBB6_5574:                             ;   in Loop: Header=BB6_5404 Depth=2
	s_or_b64 exec, exec, s[92:93]
                                        ; implicit-def: $vgpr4
.LBB6_5575:                             ;   in Loop: Header=BB6_5404 Depth=2
	s_andn2_saveexec_b64 s[18:19], s[90:91]
; %bb.5576:                             ;   in Loop: Header=BB6_5404 Depth=2
	v_or_b32_e32 v45, 0x7e, v4
; %bb.5577:                             ;   in Loop: Header=BB6_5404 Depth=2
	s_or_b64 exec, exec, s[18:19]
                                        ; implicit-def: $vgpr6
.LBB6_5578:                             ;   in Loop: Header=BB6_5404 Depth=2
	s_andn2_saveexec_b64 s[18:19], s[20:21]
; %bb.5579:                             ;   in Loop: Header=BB6_5404 Depth=2
	v_or_b32_sdwa v45, v6, s51 dst_sel:DWORD dst_unused:UNUSED_PAD src0_sel:BYTE_3 src1_sel:DWORD
; %bb.5580:                             ;   in Loop: Header=BB6_5404 Depth=2
	s_or_b64 exec, exec, s[18:19]
	v_mov_b32_e32 v2, v49
	v_mov_b32_e32 v42, v37
	;; [unrolled: 1-line block ×3, first 2 shown]
	v_cmp_ne_u16_sdwa s[18:19], v49, v3 src0_sel:BYTE_0 src1_sel:DWORD
	s_mov_b64 s[20:21], -1
	s_and_b64 vcc, exec, s[26:27]
                                        ; implicit-def: $vgpr6
	s_cbranch_vccz .LBB6_5594
; %bb.5581:                             ;   in Loop: Header=BB6_5404 Depth=2
	v_mov_b32_e32 v6, 0
	v_mov_b32_e32 v4, 0
	s_and_saveexec_b64 s[20:21], s[18:19]
	s_cbranch_execz .LBB6_5587
; %bb.5582:                             ;   in Loop: Header=BB6_5404 Depth=2
	v_cmp_ne_u16_sdwa s[92:93], v49, s49 src0_sel:BYTE_0 src1_sel:DWORD
	v_bfrev_b32_e32 v4, 1
	s_and_saveexec_b64 s[90:91], s[92:93]
	s_cbranch_execz .LBB6_5586
; %bb.5583:                             ;   in Loop: Header=BB6_5404 Depth=2
	v_and_b32_e32 v7, 0x7f, v49
	v_cmp_ne_u32_e32 vcc, s51, v7
	v_mov_b32_e32 v4, 0x7f800001
	s_and_saveexec_b64 s[92:93], vcc
	s_cbranch_execz .LBB6_5585
; %bb.5584:                             ;   in Loop: Header=BB6_5404 Depth=2
	v_and_b32_e32 v4, 7, v49
	v_ffbh_u32_e32 v4, v4
	v_min_u32_e32 v4, 32, v4
	v_lshrrev_b32_e32 v8, 3, v7
	v_cmp_gt_u32_e32 vcc, 8, v7
	v_subrev_u32_e32 v7, 28, v4
	v_sub_u32_e32 v4, 29, v4
	v_cndmask_b32_e32 v7, 0, v7, vcc
	v_cndmask_b32_e32 v4, v8, v4, vcc
	v_lshlrev_b64 v[7:8], v7, v[2:3]
	v_lshlrev_b32_e32 v8, 24, v2
	v_lshlrev_b32_e32 v7, 20, v7
	v_and_b32_e32 v7, 0x700000, v7
	v_and_b32_e32 v8, 0x80000000, v8
	v_lshl_add_u32 v4, v4, 23, v5
	v_or3_b32 v4, v8, v4, v7
.LBB6_5585:                             ;   in Loop: Header=BB6_5404 Depth=2
	s_or_b64 exec, exec, s[92:93]
.LBB6_5586:                             ;   in Loop: Header=BB6_5404 Depth=2
	s_or_b64 exec, exec, s[90:91]
.LBB6_5587:                             ;   in Loop: Header=BB6_5404 Depth=2
	s_or_b64 exec, exec, s[20:21]
	v_cmp_ne_u16_sdwa s[90:91], v37, v3 src0_sel:BYTE_0 src1_sel:DWORD
	s_and_saveexec_b64 s[20:21], s[90:91]
	s_cbranch_execz .LBB6_5593
; %bb.5588:                             ;   in Loop: Header=BB6_5404 Depth=2
	v_cmp_ne_u16_sdwa s[92:93], v37, s49 src0_sel:BYTE_0 src1_sel:DWORD
	v_bfrev_b32_e32 v6, 1
	s_and_saveexec_b64 s[90:91], s[92:93]
	s_cbranch_execz .LBB6_5592
; %bb.5589:                             ;   in Loop: Header=BB6_5404 Depth=2
	v_and_b32_e32 v7, 0x7f, v37
	v_cmp_ne_u32_e32 vcc, s51, v7
	v_mov_b32_e32 v6, 0x7f800001
	s_and_saveexec_b64 s[92:93], vcc
	s_cbranch_execz .LBB6_5591
; %bb.5590:                             ;   in Loop: Header=BB6_5404 Depth=2
	v_and_b32_e32 v6, 7, v37
	v_ffbh_u32_e32 v6, v6
	v_min_u32_e32 v6, 32, v6
	v_lshrrev_b32_e32 v8, 3, v7
	v_cmp_gt_u32_e32 vcc, 8, v7
	v_subrev_u32_e32 v7, 28, v6
	v_sub_u32_e32 v6, 29, v6
	v_cndmask_b32_e32 v8, v8, v6, vcc
	v_cndmask_b32_e32 v6, 0, v7, vcc
	v_lshlrev_b64 v[6:7], v6, v[42:43]
	v_lshlrev_b32_e32 v7, 24, v42
	v_lshlrev_b32_e32 v6, 20, v6
	v_and_b32_e32 v6, 0x700000, v6
	v_and_b32_e32 v7, 0x80000000, v7
	v_lshl_add_u32 v8, v8, 23, v5
	v_or3_b32 v6, v7, v8, v6
.LBB6_5591:                             ;   in Loop: Header=BB6_5404 Depth=2
	s_or_b64 exec, exec, s[92:93]
.LBB6_5592:                             ;   in Loop: Header=BB6_5404 Depth=2
	s_or_b64 exec, exec, s[90:91]
.LBB6_5593:                             ;   in Loop: Header=BB6_5404 Depth=2
	s_or_b64 exec, exec, s[20:21]
	v_max_f32_e32 v6, v6, v6
	v_max_f32_e32 v4, v4, v4
	;; [unrolled: 1-line block ×3, first 2 shown]
	s_mov_b64 s[20:21], 0
.LBB6_5594:                             ;   in Loop: Header=BB6_5404 Depth=2
	s_and_b64 vcc, exec, s[20:21]
	s_cbranch_vccz .LBB6_5608
; %bb.5595:                             ;   in Loop: Header=BB6_5404 Depth=2
	v_mov_b32_e32 v6, 0
	v_mov_b32_e32 v4, 0
	s_and_saveexec_b64 s[20:21], s[18:19]
	s_cbranch_execz .LBB6_5601
; %bb.5596:                             ;   in Loop: Header=BB6_5404 Depth=2
	v_cmp_ne_u16_sdwa s[90:91], v49, s49 src0_sel:BYTE_0 src1_sel:DWORD
	v_bfrev_b32_e32 v4, 1
	s_and_saveexec_b64 s[18:19], s[90:91]
	s_cbranch_execz .LBB6_5600
; %bb.5597:                             ;   in Loop: Header=BB6_5404 Depth=2
	v_and_b32_e32 v7, 0x7f, v49
	v_cmp_ne_u32_e32 vcc, s51, v7
	v_mov_b32_e32 v4, 0x7f800001
	s_and_saveexec_b64 s[90:91], vcc
	s_cbranch_execz .LBB6_5599
; %bb.5598:                             ;   in Loop: Header=BB6_5404 Depth=2
	v_and_b32_e32 v4, 7, v49
	v_ffbh_u32_e32 v4, v4
	v_min_u32_e32 v4, 32, v4
	v_lshrrev_b32_e32 v8, 3, v7
	v_cmp_gt_u32_e32 vcc, 8, v7
	v_subrev_u32_e32 v7, 28, v4
	v_sub_u32_e32 v4, 29, v4
	v_cndmask_b32_e32 v7, 0, v7, vcc
	v_cndmask_b32_e32 v4, v8, v4, vcc
	v_lshlrev_b64 v[7:8], v7, v[2:3]
	v_lshlrev_b32_e32 v8, 24, v2
	v_lshlrev_b32_e32 v7, 20, v7
	v_and_b32_e32 v7, 0x700000, v7
	v_and_b32_e32 v8, 0x80000000, v8
	v_lshl_add_u32 v4, v4, 23, v5
	v_or3_b32 v4, v8, v4, v7
.LBB6_5599:                             ;   in Loop: Header=BB6_5404 Depth=2
	s_or_b64 exec, exec, s[90:91]
.LBB6_5600:                             ;   in Loop: Header=BB6_5404 Depth=2
	s_or_b64 exec, exec, s[18:19]
.LBB6_5601:                             ;   in Loop: Header=BB6_5404 Depth=2
	s_or_b64 exec, exec, s[20:21]
	v_cmp_ne_u16_sdwa s[20:21], v37, v3 src0_sel:BYTE_0 src1_sel:DWORD
	s_and_saveexec_b64 s[18:19], s[20:21]
	s_cbranch_execz .LBB6_5607
; %bb.5602:                             ;   in Loop: Header=BB6_5404 Depth=2
	v_cmp_ne_u16_sdwa s[90:91], v37, s49 src0_sel:BYTE_0 src1_sel:DWORD
	v_bfrev_b32_e32 v6, 1
	s_and_saveexec_b64 s[20:21], s[90:91]
	s_cbranch_execz .LBB6_5606
; %bb.5603:                             ;   in Loop: Header=BB6_5404 Depth=2
	v_and_b32_e32 v7, 0x7f, v37
	v_cmp_ne_u32_e32 vcc, s51, v7
	v_mov_b32_e32 v6, 0x7f800001
	s_and_saveexec_b64 s[90:91], vcc
	s_cbranch_execz .LBB6_5605
; %bb.5604:                             ;   in Loop: Header=BB6_5404 Depth=2
	v_and_b32_e32 v6, 7, v37
	v_ffbh_u32_e32 v6, v6
	v_min_u32_e32 v6, 32, v6
	v_lshrrev_b32_e32 v8, 3, v7
	v_cmp_gt_u32_e32 vcc, 8, v7
	v_subrev_u32_e32 v7, 28, v6
	v_sub_u32_e32 v6, 29, v6
	v_cndmask_b32_e32 v8, v8, v6, vcc
	v_cndmask_b32_e32 v6, 0, v7, vcc
	v_lshlrev_b64 v[6:7], v6, v[42:43]
	v_lshlrev_b32_e32 v7, 24, v42
	v_lshlrev_b32_e32 v6, 20, v6
	v_and_b32_e32 v6, 0x700000, v6
	v_and_b32_e32 v7, 0x80000000, v7
	v_lshl_add_u32 v8, v8, 23, v5
	v_or3_b32 v6, v7, v8, v6
.LBB6_5605:                             ;   in Loop: Header=BB6_5404 Depth=2
	s_or_b64 exec, exec, s[90:91]
.LBB6_5606:                             ;   in Loop: Header=BB6_5404 Depth=2
	s_or_b64 exec, exec, s[20:21]
.LBB6_5607:                             ;   in Loop: Header=BB6_5404 Depth=2
	s_or_b64 exec, exec, s[18:19]
	v_max_f32_e32 v6, v6, v6
	v_max_f32_e32 v4, v4, v4
	v_min_f32_e32 v6, v4, v6
.LBB6_5608:                             ;   in Loop: Header=BB6_5404 Depth=2
	v_and_b32_e32 v7, 0x7f800000, v6
	v_mov_b32_e32 v8, v3
	v_cmp_ne_u64_e32 vcc, s[62:63], v[7:8]
                                        ; implicit-def: $vgpr58
	s_and_saveexec_b64 s[18:19], vcc
	s_xor_b64 s[20:21], exec, s[18:19]
	s_cbranch_execz .LBB6_5622
; %bb.5609:                             ;   in Loop: Header=BB6_5404 Depth=2
	v_and_b32_e32 v7, 0x7fffffff, v6
	v_mov_b32_e32 v8, v3
	v_cmp_gt_u64_e32 vcc, s[72:73], v[7:8]
	v_and_b32_sdwa v4, v6, s49 dst_sel:DWORD dst_unused:UNUSED_PAD src0_sel:BYTE_3 src1_sel:DWORD
                                        ; implicit-def: $vgpr58
	s_and_saveexec_b64 s[18:19], vcc
	s_xor_b64 s[90:91], exec, s[18:19]
	s_cbranch_execz .LBB6_5619
; %bb.5610:                             ;   in Loop: Header=BB6_5404 Depth=2
	v_mov_b32_e32 v58, 0
	v_cmp_ne_u32_e32 vcc, 0, v6
	s_and_saveexec_b64 s[92:93], vcc
	s_cbranch_execz .LBB6_5618
; %bb.5611:                             ;   in Loop: Header=BB6_5404 Depth=2
	v_and_b32_e32 v8, 0x7fffff, v6
	v_bfe_u32 v6, v6, 23, 8
	v_cmp_gt_u32_e64 s[18:19], s53, v6
	v_sub_u32_e32 v7, 0x79, v6
	v_cmp_eq_u32_e32 vcc, 0, v6
	v_cndmask_b32_e64 v7, 0, v7, s[18:19]
	v_mov_b32_e32 v30, 0x78
	v_cndmask_b32_e32 v7, v7, v30, vcc
	v_add_u32_e32 v30, 20, v7
	v_or_b32_e32 v9, 0x800000, v8
	v_lshlrev_b64 v[30:31], v30, -1
	v_add_u32_e32 v54, 19, v7
	v_cndmask_b32_e32 v8, v9, v8, vcc
	v_lshlrev_b64 v[54:55], v54, 1
	v_mov_b32_e32 v9, v3
	v_bfi_b32 v31, v31, 0, 0
	v_bfi_b32 v30, v30, 0, v8
	v_cmp_eq_u64_e64 s[18:19], v[30:31], v[54:55]
	v_lshrrev_b64 v[30:31], v7, v[8:9]
	v_mov_b32_e32 v55, v31
	v_mov_b32_e32 v54, v30
	s_and_saveexec_b64 s[94:95], s[18:19]
; %bb.5612:                             ;   in Loop: Header=BB6_5404 Depth=2
	v_bfe_u32 v8, v30, 20, 1
	v_add_co_u32_e64 v8, s[18:19], v30, v8
	v_add_co_u32_e64 v54, s[18:19], -1, v8
; %bb.5613:                             ;   in Loop: Header=BB6_5404 Depth=2
	s_or_b64 exec, exec, s[94:95]
	v_add_u32_e32 v6, 0xffffff81, v6
	v_cndmask_b32_e32 v6, v6, v59, vcc
	v_lshrrev_b32_e32 v8, 23, v30
	v_add3_u32 v8, v7, v6, v8
	v_add_u32_e32 v7, 6, v8
	v_and_b32_e32 v6, 0xfffff, v54
	v_add_u32_e32 v30, v6, v30
	v_mov_b32_e32 v31, v3
	v_cmp_ne_u32_e32 vcc, 0, v7
                                        ; implicit-def: $vgpr6
	s_and_saveexec_b64 s[18:19], vcc
	s_xor_b64 s[18:19], exec, s[18:19]
; %bb.5614:                             ;   in Loop: Header=BB6_5404 Depth=2
	v_cmp_lt_u64_e32 vcc, s[74:75], v[30:31]
	v_add_u32_e32 v6, 7, v8
	v_cndmask_b32_e32 v6, v7, v6, vcc
	v_cndmask_b32_e64 v7, 0, 1, vcc
	v_lshrrev_b64 v[30:31], v7, v[30:31]
; %bb.5615:                             ;   in Loop: Header=BB6_5404 Depth=2
	s_andn2_saveexec_b64 s[18:19], s[18:19]
; %bb.5616:                             ;   in Loop: Header=BB6_5404 Depth=2
	v_bfe_u32 v6, v30, 23, 1
; %bb.5617:                             ;   in Loop: Header=BB6_5404 Depth=2
	s_or_b64 exec, exec, s[18:19]
	v_lshrrev_b64 v[7:8], 20, v[30:31]
	v_cmp_gt_i32_e32 vcc, 16, v6
	v_cndmask_b32_e32 v8, 0, v8, vcc
	v_cndmask_b32_e32 v7, 7, v7, vcc
	v_cmp_eq_u32_e32 vcc, 0, v6
	v_min_i32_e32 v6, 15, v6
	v_cmp_eq_u64_e64 s[18:19], 0, v[7:8]
	v_lshlrev_b32_e32 v6, 3, v6
	v_and_b32_e32 v6, 0xf8, v6
	v_and_or_b32 v6, v7, 7, v6
	s_and_b64 s[18:19], vcc, s[18:19]
	v_cndmask_b32_e64 v6, v6, 0, s[18:19]
	v_or_b32_e32 v58, v6, v4
.LBB6_5618:                             ;   in Loop: Header=BB6_5404 Depth=2
	s_or_b64 exec, exec, s[92:93]
                                        ; implicit-def: $vgpr4
.LBB6_5619:                             ;   in Loop: Header=BB6_5404 Depth=2
	s_andn2_saveexec_b64 s[18:19], s[90:91]
; %bb.5620:                             ;   in Loop: Header=BB6_5404 Depth=2
	v_or_b32_e32 v58, 0x7e, v4
; %bb.5621:                             ;   in Loop: Header=BB6_5404 Depth=2
	s_or_b64 exec, exec, s[18:19]
                                        ; implicit-def: $vgpr6
.LBB6_5622:                             ;   in Loop: Header=BB6_5404 Depth=2
	s_andn2_saveexec_b64 s[18:19], s[20:21]
; %bb.5623:                             ;   in Loop: Header=BB6_5404 Depth=2
	v_or_b32_sdwa v58, v6, s51 dst_sel:DWORD dst_unused:UNUSED_PAD src0_sel:BYTE_3 src1_sel:DWORD
; %bb.5624:                             ;   in Loop: Header=BB6_5404 Depth=2
	s_or_b64 exec, exec, s[18:19]
	v_lshrrev_b16_e32 v30, 8, v2
	v_lshrrev_b16_e32 v43, 8, v42
	v_cmp_ne_u16_e64 s[18:19], 0, v30
	s_mov_b64 s[20:21], -1
	s_and_b64 vcc, exec, s[26:27]
                                        ; implicit-def: $vgpr6
	s_cbranch_vccz .LBB6_5638
; %bb.5625:                             ;   in Loop: Header=BB6_5404 Depth=2
	v_mov_b32_e32 v6, 0
	v_mov_b32_e32 v4, 0
	s_and_saveexec_b64 s[20:21], s[18:19]
	s_cbranch_execz .LBB6_5631
; %bb.5626:                             ;   in Loop: Header=BB6_5404 Depth=2
	v_cmp_ne_u16_e32 vcc, s49, v30
	v_bfrev_b32_e32 v4, 1
	s_and_saveexec_b64 s[90:91], vcc
	s_cbranch_execz .LBB6_5630
; %bb.5627:                             ;   in Loop: Header=BB6_5404 Depth=2
	v_and_b32_e32 v7, 0x7f, v30
	v_cmp_ne_u32_e32 vcc, s51, v7
	v_mov_b32_e32 v4, 0x7f800001
	s_and_saveexec_b64 s[92:93], vcc
	s_cbranch_execz .LBB6_5629
; %bb.5628:                             ;   in Loop: Header=BB6_5404 Depth=2
	v_and_b32_e32 v4, 7, v30
	v_lshrrev_b32_e32 v9, 3, v7
	v_cmp_gt_u32_e32 vcc, 8, v7
	v_ffbh_u32_e32 v7, v4
	v_min_u32_e32 v31, 32, v7
	v_subrev_u32_e32 v7, 28, v31
	v_lshlrev_b64 v[7:8], v7, v[30:31]
	v_sub_u32_e32 v8, 29, v31
	v_and_b32_e32 v7, 7, v7
	v_cndmask_b32_e32 v8, v9, v8, vcc
	v_cndmask_b32_e32 v4, v4, v7, vcc
	v_lshlrev_b32_e32 v7, 16, v2
	v_lshlrev_b32_e32 v4, 20, v4
	v_and_b32_e32 v7, 0x80000000, v7
	v_lshl_add_u32 v8, v8, 23, v5
	v_or3_b32 v4, v7, v8, v4
.LBB6_5629:                             ;   in Loop: Header=BB6_5404 Depth=2
	s_or_b64 exec, exec, s[92:93]
.LBB6_5630:                             ;   in Loop: Header=BB6_5404 Depth=2
	s_or_b64 exec, exec, s[90:91]
.LBB6_5631:                             ;   in Loop: Header=BB6_5404 Depth=2
	s_or_b64 exec, exec, s[20:21]
	v_cmp_ne_u16_e32 vcc, 0, v43
	s_and_saveexec_b64 s[20:21], vcc
	s_cbranch_execz .LBB6_5637
; %bb.5632:                             ;   in Loop: Header=BB6_5404 Depth=2
	v_cmp_ne_u16_e32 vcc, s49, v43
	v_bfrev_b32_e32 v6, 1
	s_and_saveexec_b64 s[90:91], vcc
	s_cbranch_execz .LBB6_5636
; %bb.5633:                             ;   in Loop: Header=BB6_5404 Depth=2
	v_and_b32_e32 v7, 0x7f, v43
	v_cmp_ne_u32_e32 vcc, s51, v7
	v_mov_b32_e32 v6, 0x7f800001
	s_and_saveexec_b64 s[92:93], vcc
	s_cbranch_execz .LBB6_5635
; %bb.5634:                             ;   in Loop: Header=BB6_5404 Depth=2
	v_and_b32_e32 v8, 7, v43
	v_ffbh_u32_e32 v6, v8
	v_min_u32_e32 v31, 32, v6
	v_subrev_u32_e32 v6, 28, v31
	v_lshrrev_b32_e32 v9, 3, v7
	v_cmp_gt_u32_e32 vcc, 8, v7
	v_lshlrev_b64 v[6:7], v6, v[43:44]
	v_sub_u32_e32 v7, 29, v31
	v_and_b32_e32 v6, 7, v6
	v_cndmask_b32_e32 v7, v9, v7, vcc
	v_cndmask_b32_e32 v6, v8, v6, vcc
	v_lshlrev_b32_e32 v8, 16, v42
	v_lshlrev_b32_e32 v6, 20, v6
	v_and_b32_e32 v8, 0x80000000, v8
	v_lshl_add_u32 v7, v7, 23, v5
	v_or3_b32 v6, v8, v7, v6
.LBB6_5635:                             ;   in Loop: Header=BB6_5404 Depth=2
	s_or_b64 exec, exec, s[92:93]
.LBB6_5636:                             ;   in Loop: Header=BB6_5404 Depth=2
	s_or_b64 exec, exec, s[90:91]
.LBB6_5637:                             ;   in Loop: Header=BB6_5404 Depth=2
	s_or_b64 exec, exec, s[20:21]
	v_max_f32_e32 v6, v6, v6
	v_max_f32_e32 v4, v4, v4
	;; [unrolled: 1-line block ×3, first 2 shown]
	s_mov_b64 s[20:21], 0
.LBB6_5638:                             ;   in Loop: Header=BB6_5404 Depth=2
	s_and_b64 vcc, exec, s[20:21]
	s_cbranch_vccz .LBB6_5652
; %bb.5639:                             ;   in Loop: Header=BB6_5404 Depth=2
	v_mov_b32_e32 v6, 0
	v_mov_b32_e32 v4, 0
	s_and_saveexec_b64 s[20:21], s[18:19]
	s_cbranch_execz .LBB6_5645
; %bb.5640:                             ;   in Loop: Header=BB6_5404 Depth=2
	v_cmp_ne_u16_e32 vcc, s49, v30
	v_bfrev_b32_e32 v4, 1
	s_and_saveexec_b64 s[18:19], vcc
	s_cbranch_execz .LBB6_5644
; %bb.5641:                             ;   in Loop: Header=BB6_5404 Depth=2
	v_and_b32_e32 v7, 0x7f, v30
	v_cmp_ne_u32_e32 vcc, s51, v7
	v_mov_b32_e32 v4, 0x7f800001
	s_and_saveexec_b64 s[90:91], vcc
	s_cbranch_execz .LBB6_5643
; %bb.5642:                             ;   in Loop: Header=BB6_5404 Depth=2
	v_and_b32_e32 v4, 7, v30
	v_lshrrev_b32_e32 v9, 3, v7
	v_cmp_gt_u32_e32 vcc, 8, v7
	v_ffbh_u32_e32 v7, v4
	v_min_u32_e32 v31, 32, v7
	v_subrev_u32_e32 v7, 28, v31
	v_lshlrev_b64 v[7:8], v7, v[30:31]
	v_sub_u32_e32 v8, 29, v31
	v_and_b32_e32 v7, 7, v7
	v_cndmask_b32_e32 v8, v9, v8, vcc
	v_cndmask_b32_e32 v4, v4, v7, vcc
	v_lshlrev_b32_e32 v2, 16, v2
	v_lshlrev_b32_e32 v4, 20, v4
	v_and_b32_e32 v2, 0x80000000, v2
	v_lshl_add_u32 v7, v8, 23, v5
	v_or3_b32 v4, v2, v7, v4
.LBB6_5643:                             ;   in Loop: Header=BB6_5404 Depth=2
	s_or_b64 exec, exec, s[90:91]
.LBB6_5644:                             ;   in Loop: Header=BB6_5404 Depth=2
	s_or_b64 exec, exec, s[18:19]
.LBB6_5645:                             ;   in Loop: Header=BB6_5404 Depth=2
	s_or_b64 exec, exec, s[20:21]
	v_cmp_ne_u16_e32 vcc, 0, v43
	s_and_saveexec_b64 s[18:19], vcc
	s_cbranch_execz .LBB6_5651
; %bb.5646:                             ;   in Loop: Header=BB6_5404 Depth=2
	v_cmp_ne_u16_e32 vcc, s49, v43
	v_bfrev_b32_e32 v6, 1
	s_and_saveexec_b64 s[20:21], vcc
	s_cbranch_execz .LBB6_5650
; %bb.5647:                             ;   in Loop: Header=BB6_5404 Depth=2
	v_and_b32_e32 v2, 0x7f, v43
	v_cmp_ne_u32_e32 vcc, s51, v2
	v_mov_b32_e32 v6, 0x7f800001
	s_and_saveexec_b64 s[90:91], vcc
	s_cbranch_execz .LBB6_5649
; %bb.5648:                             ;   in Loop: Header=BB6_5404 Depth=2
	v_and_b32_e32 v8, 7, v43
	v_lshrrev_b32_e32 v9, 3, v2
	v_cmp_gt_u32_e32 vcc, 8, v2
	v_ffbh_u32_e32 v2, v8
	v_min_u32_e32 v2, 32, v2
	v_subrev_u32_e32 v6, 28, v2
	v_lshlrev_b64 v[6:7], v6, v[43:44]
	v_sub_u32_e32 v2, 29, v2
	v_and_b32_e32 v6, 7, v6
	v_cndmask_b32_e32 v2, v9, v2, vcc
	v_cndmask_b32_e32 v6, v8, v6, vcc
	v_lshlrev_b32_e32 v7, 16, v42
	v_lshlrev_b32_e32 v6, 20, v6
	v_and_b32_e32 v7, 0x80000000, v7
	v_lshl_add_u32 v2, v2, 23, v5
	v_or3_b32 v6, v7, v2, v6
.LBB6_5649:                             ;   in Loop: Header=BB6_5404 Depth=2
	s_or_b64 exec, exec, s[90:91]
.LBB6_5650:                             ;   in Loop: Header=BB6_5404 Depth=2
	s_or_b64 exec, exec, s[20:21]
.LBB6_5651:                             ;   in Loop: Header=BB6_5404 Depth=2
	s_or_b64 exec, exec, s[18:19]
	v_max_f32_e32 v2, v6, v6
	v_max_f32_e32 v4, v4, v4
	v_min_f32_e32 v6, v4, v2
.LBB6_5652:                             ;   in Loop: Header=BB6_5404 Depth=2
	v_and_b32_e32 v2, 0x7f800000, v6
	v_cmp_ne_u64_e32 vcc, s[62:63], v[2:3]
                                        ; implicit-def: $vgpr43
	s_and_saveexec_b64 s[18:19], vcc
	s_xor_b64 s[20:21], exec, s[18:19]
	s_cbranch_execz .LBB6_5666
; %bb.5653:                             ;   in Loop: Header=BB6_5404 Depth=2
	v_and_b32_e32 v2, 0x7fffffff, v6
	v_cmp_gt_u64_e32 vcc, s[72:73], v[2:3]
	v_and_b32_sdwa v4, v6, s49 dst_sel:DWORD dst_unused:UNUSED_PAD src0_sel:BYTE_3 src1_sel:DWORD
                                        ; implicit-def: $vgpr43
	s_and_saveexec_b64 s[18:19], vcc
	s_xor_b64 s[90:91], exec, s[18:19]
	s_cbranch_execz .LBB6_5663
; %bb.5654:                             ;   in Loop: Header=BB6_5404 Depth=2
	v_mov_b32_e32 v43, 0
	v_cmp_ne_u32_e32 vcc, 0, v6
	s_and_saveexec_b64 s[92:93], vcc
	s_cbranch_execz .LBB6_5662
; %bb.5655:                             ;   in Loop: Header=BB6_5404 Depth=2
	v_and_b32_e32 v2, 0x7fffff, v6
	v_bfe_u32 v6, v6, 23, 8
	v_cmp_gt_u32_e64 s[18:19], s53, v6
	v_sub_u32_e32 v7, 0x79, v6
	v_cmp_eq_u32_e32 vcc, 0, v6
	v_cndmask_b32_e64 v7, 0, v7, s[18:19]
	v_mov_b32_e32 v9, 0x78
	v_or_b32_e32 v8, 0x800000, v2
	v_cndmask_b32_e32 v7, v7, v9, vcc
	v_cndmask_b32_e32 v2, v8, v2, vcc
	v_add_u32_e32 v8, 20, v7
	v_lshlrev_b64 v[8:9], v8, -1
	v_add_u32_e32 v30, 19, v7
	v_lshlrev_b64 v[30:31], v30, 1
	v_bfi_b32 v9, v9, 0, 0
	v_bfi_b32 v8, v8, 0, v2
	v_cmp_eq_u64_e64 s[18:19], v[8:9], v[30:31]
	v_lshrrev_b64 v[30:31], v7, v[2:3]
	v_mov_b32_e32 v55, v31
	v_mov_b32_e32 v54, v30
	s_and_saveexec_b64 s[94:95], s[18:19]
; %bb.5656:                             ;   in Loop: Header=BB6_5404 Depth=2
	v_bfe_u32 v2, v30, 20, 1
	v_add_co_u32_e64 v2, s[18:19], v30, v2
	v_add_co_u32_e64 v54, s[18:19], -1, v2
; %bb.5657:                             ;   in Loop: Header=BB6_5404 Depth=2
	s_or_b64 exec, exec, s[94:95]
	v_add_u32_e32 v2, 0xffffff81, v6
	v_cndmask_b32_e32 v2, v2, v59, vcc
	v_lshrrev_b32_e32 v6, 23, v30
	v_add3_u32 v8, v7, v2, v6
	v_add_u32_e32 v7, 6, v8
	v_and_b32_e32 v2, 0xfffff, v54
	v_add_u32_e32 v2, v2, v30
	v_cmp_ne_u32_e32 vcc, 0, v7
                                        ; implicit-def: $vgpr30_vgpr31
                                        ; implicit-def: $vgpr6
	s_and_saveexec_b64 s[18:19], vcc
	s_xor_b64 s[18:19], exec, s[18:19]
; %bb.5658:                             ;   in Loop: Header=BB6_5404 Depth=2
	v_cmp_lt_u64_e32 vcc, s[74:75], v[2:3]
	v_add_u32_e32 v6, 7, v8
	v_cndmask_b32_e32 v6, v7, v6, vcc
	v_cndmask_b32_e64 v7, 0, 1, vcc
	v_lshrrev_b64 v[30:31], v7, v[2:3]
; %bb.5659:                             ;   in Loop: Header=BB6_5404 Depth=2
	s_andn2_saveexec_b64 s[18:19], s[18:19]
; %bb.5660:                             ;   in Loop: Header=BB6_5404 Depth=2
	v_mov_b32_e32 v31, v3
	v_bfe_u32 v6, v2, 23, 1
	v_mov_b32_e32 v30, v2
; %bb.5661:                             ;   in Loop: Header=BB6_5404 Depth=2
	s_or_b64 exec, exec, s[18:19]
	v_lshrrev_b64 v[7:8], 20, v[30:31]
	v_cmp_gt_i32_e32 vcc, 16, v6
	v_cndmask_b32_e32 v8, 0, v8, vcc
	v_cndmask_b32_e32 v7, 7, v7, vcc
	v_min_i32_e32 v2, 15, v6
	v_cmp_eq_u64_e64 s[18:19], 0, v[7:8]
	v_lshlrev_b32_e32 v2, 3, v2
	v_cmp_eq_u32_e32 vcc, 0, v6
	v_and_b32_e32 v2, 0xf8, v2
	v_and_or_b32 v2, v7, 7, v2
	s_and_b64 s[18:19], vcc, s[18:19]
	v_cndmask_b32_e64 v2, v2, 0, s[18:19]
	v_or_b32_e32 v43, v2, v4
.LBB6_5662:                             ;   in Loop: Header=BB6_5404 Depth=2
	s_or_b64 exec, exec, s[92:93]
                                        ; implicit-def: $vgpr4
.LBB6_5663:                             ;   in Loop: Header=BB6_5404 Depth=2
	s_andn2_saveexec_b64 s[18:19], s[90:91]
; %bb.5664:                             ;   in Loop: Header=BB6_5404 Depth=2
	v_or_b32_e32 v43, 0x7e, v4
; %bb.5665:                             ;   in Loop: Header=BB6_5404 Depth=2
	s_or_b64 exec, exec, s[18:19]
                                        ; implicit-def: $vgpr6
.LBB6_5666:                             ;   in Loop: Header=BB6_5404 Depth=2
	s_andn2_saveexec_b64 s[18:19], s[20:21]
; %bb.5667:                             ;   in Loop: Header=BB6_5404 Depth=2
	v_or_b32_sdwa v43, v6, s51 dst_sel:DWORD dst_unused:UNUSED_PAD src0_sel:BYTE_3 src1_sel:DWORD
; %bb.5668:                             ;   in Loop: Header=BB6_5404 Depth=2
	s_or_b64 exec, exec, s[18:19]
	v_lshrrev_b32_e32 v42, 16, v49
	v_lshrrev_b32_e32 v2, 16, v37
	v_cmp_ne_u16_sdwa s[18:19], v42, v3 src0_sel:BYTE_0 src1_sel:DWORD
	s_mov_b64 s[20:21], -1
	s_and_b64 vcc, exec, s[26:27]
                                        ; implicit-def: $vgpr6
	s_cbranch_vccz .LBB6_5682
; %bb.5669:                             ;   in Loop: Header=BB6_5404 Depth=2
	v_mov_b32_e32 v6, 0
	v_mov_b32_e32 v4, 0
	s_and_saveexec_b64 s[20:21], s[18:19]
	s_cbranch_execz .LBB6_5675
; %bb.5670:                             ;   in Loop: Header=BB6_5404 Depth=2
	v_cmp_ne_u16_sdwa s[92:93], v42, s49 src0_sel:BYTE_0 src1_sel:DWORD
	v_bfrev_b32_e32 v4, 1
	s_and_saveexec_b64 s[90:91], s[92:93]
	s_cbranch_execz .LBB6_5674
; %bb.5671:                             ;   in Loop: Header=BB6_5404 Depth=2
	v_bfe_u32 v7, v49, 16, 7
	v_cmp_ne_u32_e32 vcc, s51, v7
	v_mov_b32_e32 v4, 0x7f800001
	s_and_saveexec_b64 s[92:93], vcc
	s_cbranch_execz .LBB6_5673
; %bb.5672:                             ;   in Loop: Header=BB6_5404 Depth=2
	v_and_b32_e32 v4, 7, v42
	v_lshrrev_b32_e32 v9, 3, v7
	v_cmp_gt_u32_e32 vcc, 8, v7
	v_ffbh_u32_e32 v7, v4
	v_min_u32_e32 v30, 32, v7
	v_subrev_u32_e32 v7, 28, v30
	v_lshlrev_b64 v[7:8], v7, v[42:43]
	v_sub_u32_e32 v8, 29, v30
	v_and_b32_e32 v7, 7, v7
	v_cndmask_b32_e32 v8, v9, v8, vcc
	v_cndmask_b32_e32 v4, v4, v7, vcc
	v_lshlrev_b32_e32 v7, 24, v42
	v_lshlrev_b32_e32 v4, 20, v4
	v_and_b32_e32 v7, 0x80000000, v7
	v_lshl_add_u32 v8, v8, 23, v5
	v_or3_b32 v4, v7, v8, v4
.LBB6_5673:                             ;   in Loop: Header=BB6_5404 Depth=2
	s_or_b64 exec, exec, s[92:93]
.LBB6_5674:                             ;   in Loop: Header=BB6_5404 Depth=2
	s_or_b64 exec, exec, s[90:91]
.LBB6_5675:                             ;   in Loop: Header=BB6_5404 Depth=2
	s_or_b64 exec, exec, s[20:21]
	v_cmp_ne_u16_sdwa s[90:91], v2, v3 src0_sel:BYTE_0 src1_sel:DWORD
	s_and_saveexec_b64 s[20:21], s[90:91]
	s_cbranch_execz .LBB6_5681
; %bb.5676:                             ;   in Loop: Header=BB6_5404 Depth=2
	v_cmp_ne_u16_sdwa s[92:93], v2, s49 src0_sel:BYTE_0 src1_sel:DWORD
	v_bfrev_b32_e32 v6, 1
	s_and_saveexec_b64 s[90:91], s[92:93]
	s_cbranch_execz .LBB6_5680
; %bb.5677:                             ;   in Loop: Header=BB6_5404 Depth=2
	v_bfe_u32 v7, v37, 16, 7
	v_cmp_ne_u32_e32 vcc, s51, v7
	v_mov_b32_e32 v6, 0x7f800001
	s_and_saveexec_b64 s[92:93], vcc
	s_cbranch_execz .LBB6_5679
; %bb.5678:                             ;   in Loop: Header=BB6_5404 Depth=2
	v_and_b32_e32 v8, 7, v2
	v_ffbh_u32_e32 v6, v8
	v_min_u32_e32 v30, 32, v6
	v_subrev_u32_e32 v6, 28, v30
	v_lshrrev_b32_e32 v9, 3, v7
	v_cmp_gt_u32_e32 vcc, 8, v7
	v_lshlrev_b64 v[6:7], v6, v[2:3]
	v_sub_u32_e32 v7, 29, v30
	v_and_b32_e32 v6, 7, v6
	v_cndmask_b32_e32 v7, v9, v7, vcc
	v_cndmask_b32_e32 v6, v8, v6, vcc
	v_lshlrev_b32_e32 v8, 24, v2
	v_lshlrev_b32_e32 v6, 20, v6
	v_and_b32_e32 v8, 0x80000000, v8
	v_lshl_add_u32 v7, v7, 23, v5
	v_or3_b32 v6, v8, v7, v6
.LBB6_5679:                             ;   in Loop: Header=BB6_5404 Depth=2
	s_or_b64 exec, exec, s[92:93]
.LBB6_5680:                             ;   in Loop: Header=BB6_5404 Depth=2
	s_or_b64 exec, exec, s[90:91]
.LBB6_5681:                             ;   in Loop: Header=BB6_5404 Depth=2
	s_or_b64 exec, exec, s[20:21]
	v_max_f32_e32 v6, v6, v6
	v_max_f32_e32 v4, v4, v4
	;; [unrolled: 1-line block ×3, first 2 shown]
	s_mov_b64 s[20:21], 0
.LBB6_5682:                             ;   in Loop: Header=BB6_5404 Depth=2
	s_and_b64 vcc, exec, s[20:21]
	s_cbranch_vccz .LBB6_5696
; %bb.5683:                             ;   in Loop: Header=BB6_5404 Depth=2
	v_mov_b32_e32 v6, 0
	v_mov_b32_e32 v4, 0
	s_and_saveexec_b64 s[20:21], s[18:19]
	s_cbranch_execz .LBB6_5689
; %bb.5684:                             ;   in Loop: Header=BB6_5404 Depth=2
	v_cmp_ne_u16_sdwa s[90:91], v42, s49 src0_sel:BYTE_0 src1_sel:DWORD
	v_bfrev_b32_e32 v4, 1
	s_and_saveexec_b64 s[18:19], s[90:91]
	s_cbranch_execz .LBB6_5688
; %bb.5685:                             ;   in Loop: Header=BB6_5404 Depth=2
	v_bfe_u32 v7, v49, 16, 7
	v_cmp_ne_u32_e32 vcc, s51, v7
	v_mov_b32_e32 v4, 0x7f800001
	s_and_saveexec_b64 s[90:91], vcc
	s_cbranch_execz .LBB6_5687
; %bb.5686:                             ;   in Loop: Header=BB6_5404 Depth=2
	v_and_b32_e32 v4, 7, v42
	v_lshrrev_b32_e32 v9, 3, v7
	v_cmp_gt_u32_e32 vcc, 8, v7
	v_ffbh_u32_e32 v7, v4
	v_min_u32_e32 v30, 32, v7
	v_subrev_u32_e32 v7, 28, v30
	v_lshlrev_b64 v[7:8], v7, v[42:43]
	v_sub_u32_e32 v8, 29, v30
	v_and_b32_e32 v7, 7, v7
	v_cndmask_b32_e32 v8, v9, v8, vcc
	v_cndmask_b32_e32 v4, v4, v7, vcc
	v_lshlrev_b32_e32 v7, 24, v42
	v_lshlrev_b32_e32 v4, 20, v4
	v_and_b32_e32 v7, 0x80000000, v7
	v_lshl_add_u32 v8, v8, 23, v5
	v_or3_b32 v4, v7, v8, v4
.LBB6_5687:                             ;   in Loop: Header=BB6_5404 Depth=2
	s_or_b64 exec, exec, s[90:91]
.LBB6_5688:                             ;   in Loop: Header=BB6_5404 Depth=2
	s_or_b64 exec, exec, s[18:19]
.LBB6_5689:                             ;   in Loop: Header=BB6_5404 Depth=2
	s_or_b64 exec, exec, s[20:21]
	v_cmp_ne_u16_sdwa s[20:21], v2, v3 src0_sel:BYTE_0 src1_sel:DWORD
	s_and_saveexec_b64 s[18:19], s[20:21]
	s_cbranch_execz .LBB6_5695
; %bb.5690:                             ;   in Loop: Header=BB6_5404 Depth=2
	v_cmp_ne_u16_sdwa s[90:91], v2, s49 src0_sel:BYTE_0 src1_sel:DWORD
	v_bfrev_b32_e32 v6, 1
	s_and_saveexec_b64 s[20:21], s[90:91]
	s_cbranch_execz .LBB6_5694
; %bb.5691:                             ;   in Loop: Header=BB6_5404 Depth=2
	v_bfe_u32 v7, v37, 16, 7
	v_cmp_ne_u32_e32 vcc, s51, v7
	v_mov_b32_e32 v6, 0x7f800001
	s_and_saveexec_b64 s[90:91], vcc
	s_cbranch_execz .LBB6_5693
; %bb.5692:                             ;   in Loop: Header=BB6_5404 Depth=2
	v_and_b32_e32 v8, 7, v2
	v_ffbh_u32_e32 v6, v8
	v_min_u32_e32 v30, 32, v6
	v_subrev_u32_e32 v6, 28, v30
	v_lshrrev_b32_e32 v9, 3, v7
	v_cmp_gt_u32_e32 vcc, 8, v7
	v_lshlrev_b64 v[6:7], v6, v[2:3]
	v_sub_u32_e32 v7, 29, v30
	v_and_b32_e32 v6, 7, v6
	v_cndmask_b32_e32 v7, v9, v7, vcc
	v_cndmask_b32_e32 v6, v8, v6, vcc
	v_lshlrev_b32_e32 v2, 24, v2
	v_lshlrev_b32_e32 v6, 20, v6
	v_and_b32_e32 v2, 0x80000000, v2
	v_lshl_add_u32 v7, v7, 23, v5
	v_or3_b32 v6, v2, v7, v6
.LBB6_5693:                             ;   in Loop: Header=BB6_5404 Depth=2
	s_or_b64 exec, exec, s[90:91]
.LBB6_5694:                             ;   in Loop: Header=BB6_5404 Depth=2
	s_or_b64 exec, exec, s[20:21]
.LBB6_5695:                             ;   in Loop: Header=BB6_5404 Depth=2
	s_or_b64 exec, exec, s[18:19]
	v_max_f32_e32 v2, v6, v6
	v_max_f32_e32 v4, v4, v4
	v_min_f32_e32 v6, v4, v2
.LBB6_5696:                             ;   in Loop: Header=BB6_5404 Depth=2
	v_and_b32_e32 v2, 0x7f800000, v6
	v_cmp_ne_u64_e32 vcc, s[62:63], v[2:3]
                                        ; implicit-def: $vgpr47
	s_and_saveexec_b64 s[18:19], vcc
	s_xor_b64 s[20:21], exec, s[18:19]
	s_cbranch_execz .LBB6_5710
; %bb.5697:                             ;   in Loop: Header=BB6_5404 Depth=2
	v_and_b32_e32 v2, 0x7fffffff, v6
	v_cmp_gt_u64_e32 vcc, s[72:73], v[2:3]
	v_and_b32_sdwa v4, v6, s49 dst_sel:DWORD dst_unused:UNUSED_PAD src0_sel:BYTE_3 src1_sel:DWORD
                                        ; implicit-def: $vgpr47
	s_and_saveexec_b64 s[18:19], vcc
	s_xor_b64 s[90:91], exec, s[18:19]
	s_cbranch_execz .LBB6_5707
; %bb.5698:                             ;   in Loop: Header=BB6_5404 Depth=2
	v_mov_b32_e32 v47, 0
	v_cmp_ne_u32_e32 vcc, 0, v6
	s_and_saveexec_b64 s[92:93], vcc
	s_cbranch_execz .LBB6_5706
; %bb.5699:                             ;   in Loop: Header=BB6_5404 Depth=2
	v_and_b32_e32 v2, 0x7fffff, v6
	v_bfe_u32 v6, v6, 23, 8
	v_cmp_gt_u32_e64 s[18:19], s53, v6
	v_sub_u32_e32 v7, 0x79, v6
	v_cmp_eq_u32_e32 vcc, 0, v6
	v_cndmask_b32_e64 v7, 0, v7, s[18:19]
	v_mov_b32_e32 v9, 0x78
	v_or_b32_e32 v8, 0x800000, v2
	v_cndmask_b32_e32 v7, v7, v9, vcc
	v_cndmask_b32_e32 v2, v8, v2, vcc
	v_add_u32_e32 v8, 20, v7
	v_lshlrev_b64 v[8:9], v8, -1
	v_add_u32_e32 v30, 19, v7
	v_lshlrev_b64 v[30:31], v30, 1
	v_bfi_b32 v9, v9, 0, 0
	v_bfi_b32 v8, v8, 0, v2
	v_cmp_eq_u64_e64 s[18:19], v[8:9], v[30:31]
	v_lshrrev_b64 v[30:31], v7, v[2:3]
	v_mov_b32_e32 v55, v31
	v_mov_b32_e32 v54, v30
	s_and_saveexec_b64 s[94:95], s[18:19]
; %bb.5700:                             ;   in Loop: Header=BB6_5404 Depth=2
	v_bfe_u32 v2, v30, 20, 1
	v_add_co_u32_e64 v2, s[18:19], v30, v2
	v_add_co_u32_e64 v54, s[18:19], -1, v2
; %bb.5701:                             ;   in Loop: Header=BB6_5404 Depth=2
	s_or_b64 exec, exec, s[94:95]
	v_add_u32_e32 v2, 0xffffff81, v6
	v_cndmask_b32_e32 v2, v2, v59, vcc
	v_lshrrev_b32_e32 v6, 23, v30
	v_add3_u32 v8, v7, v2, v6
	v_add_u32_e32 v7, 6, v8
	v_and_b32_e32 v2, 0xfffff, v54
	v_add_u32_e32 v2, v2, v30
	v_cmp_ne_u32_e32 vcc, 0, v7
                                        ; implicit-def: $vgpr30_vgpr31
                                        ; implicit-def: $vgpr6
	s_and_saveexec_b64 s[18:19], vcc
	s_xor_b64 s[18:19], exec, s[18:19]
; %bb.5702:                             ;   in Loop: Header=BB6_5404 Depth=2
	v_cmp_lt_u64_e32 vcc, s[74:75], v[2:3]
	v_add_u32_e32 v6, 7, v8
	v_cndmask_b32_e32 v6, v7, v6, vcc
	v_cndmask_b32_e64 v7, 0, 1, vcc
	v_lshrrev_b64 v[30:31], v7, v[2:3]
; %bb.5703:                             ;   in Loop: Header=BB6_5404 Depth=2
	s_andn2_saveexec_b64 s[18:19], s[18:19]
; %bb.5704:                             ;   in Loop: Header=BB6_5404 Depth=2
	v_mov_b32_e32 v31, v3
	v_bfe_u32 v6, v2, 23, 1
	v_mov_b32_e32 v30, v2
; %bb.5705:                             ;   in Loop: Header=BB6_5404 Depth=2
	s_or_b64 exec, exec, s[18:19]
	v_lshrrev_b64 v[7:8], 20, v[30:31]
	v_cmp_gt_i32_e32 vcc, 16, v6
	v_cndmask_b32_e32 v8, 0, v8, vcc
	v_cndmask_b32_e32 v7, 7, v7, vcc
	v_min_i32_e32 v2, 15, v6
	v_cmp_eq_u64_e64 s[18:19], 0, v[7:8]
	v_lshlrev_b32_e32 v2, 3, v2
	v_cmp_eq_u32_e32 vcc, 0, v6
	v_and_b32_e32 v2, 0xf8, v2
	v_and_or_b32 v2, v7, 7, v2
	s_and_b64 s[18:19], vcc, s[18:19]
	v_cndmask_b32_e64 v2, v2, 0, s[18:19]
	v_or_b32_e32 v47, v2, v4
.LBB6_5706:                             ;   in Loop: Header=BB6_5404 Depth=2
	s_or_b64 exec, exec, s[92:93]
                                        ; implicit-def: $vgpr4
.LBB6_5707:                             ;   in Loop: Header=BB6_5404 Depth=2
	s_andn2_saveexec_b64 s[18:19], s[90:91]
; %bb.5708:                             ;   in Loop: Header=BB6_5404 Depth=2
	v_or_b32_e32 v47, 0x7e, v4
; %bb.5709:                             ;   in Loop: Header=BB6_5404 Depth=2
	s_or_b64 exec, exec, s[18:19]
                                        ; implicit-def: $vgpr6
.LBB6_5710:                             ;   in Loop: Header=BB6_5404 Depth=2
	s_andn2_saveexec_b64 s[18:19], s[20:21]
; %bb.5711:                             ;   in Loop: Header=BB6_5404 Depth=2
	v_or_b32_sdwa v47, v6, s51 dst_sel:DWORD dst_unused:UNUSED_PAD src0_sel:BYTE_3 src1_sel:DWORD
; %bb.5712:                             ;   in Loop: Header=BB6_5404 Depth=2
	s_or_b64 exec, exec, s[18:19]
	v_cmp_lt_u64_e64 s[18:19], s[76:77], v[48:49]
	v_lshrrev_b32_e32 v42, 24, v49
	v_lshrrev_b32_e32 v2, 24, v37
	s_mov_b64 s[20:21], -1
	s_and_b64 vcc, exec, s[26:27]
                                        ; implicit-def: $vgpr6
	s_cbranch_vccz .LBB6_5726
; %bb.5713:                             ;   in Loop: Header=BB6_5404 Depth=2
	v_mov_b32_e32 v6, 0
	v_mov_b32_e32 v4, 0
	s_and_saveexec_b64 s[20:21], s[18:19]
	s_cbranch_execz .LBB6_5719
; %bb.5714:                             ;   in Loop: Header=BB6_5404 Depth=2
	v_cmp_ne_u32_e32 vcc, s49, v42
	v_bfrev_b32_e32 v4, 1
	s_and_saveexec_b64 s[90:91], vcc
	s_cbranch_execz .LBB6_5718
; %bb.5715:                             ;   in Loop: Header=BB6_5404 Depth=2
	v_bfe_u32 v7, v49, 24, 7
	v_cmp_ne_u32_e32 vcc, s51, v7
	v_mov_b32_e32 v4, 0x7f800001
	s_and_saveexec_b64 s[92:93], vcc
	s_cbranch_execz .LBB6_5717
; %bb.5716:                             ;   in Loop: Header=BB6_5404 Depth=2
	v_and_b32_e32 v4, 7, v42
	v_lshrrev_b32_e32 v9, 3, v7
	v_cmp_gt_u32_e32 vcc, 8, v7
	v_ffbh_u32_e32 v7, v4
	v_min_u32_e32 v30, 32, v7
	v_subrev_u32_e32 v7, 28, v30
	v_lshlrev_b64 v[7:8], v7, v[42:43]
	v_sub_u32_e32 v8, 29, v30
	v_and_b32_e32 v7, 7, v7
	v_cndmask_b32_e32 v8, v9, v8, vcc
	v_cndmask_b32_e32 v4, v4, v7, vcc
	v_lshlrev_b32_e32 v7, 24, v42
	v_lshlrev_b32_e32 v4, 20, v4
	v_and_b32_e32 v7, 0x80000000, v7
	v_lshl_add_u32 v8, v8, 23, v5
	v_or3_b32 v4, v7, v8, v4
.LBB6_5717:                             ;   in Loop: Header=BB6_5404 Depth=2
	s_or_b64 exec, exec, s[92:93]
.LBB6_5718:                             ;   in Loop: Header=BB6_5404 Depth=2
	s_or_b64 exec, exec, s[90:91]
.LBB6_5719:                             ;   in Loop: Header=BB6_5404 Depth=2
	s_or_b64 exec, exec, s[20:21]
	v_cmp_lt_u64_e32 vcc, s[76:77], v[36:37]
	s_and_saveexec_b64 s[20:21], vcc
	s_cbranch_execz .LBB6_5725
; %bb.5720:                             ;   in Loop: Header=BB6_5404 Depth=2
	v_cmp_ne_u32_e32 vcc, s49, v2
	v_bfrev_b32_e32 v6, 1
	s_and_saveexec_b64 s[90:91], vcc
	s_cbranch_execz .LBB6_5724
; %bb.5721:                             ;   in Loop: Header=BB6_5404 Depth=2
	v_bfe_u32 v7, v37, 24, 7
	v_cmp_ne_u32_e32 vcc, s51, v7
	v_mov_b32_e32 v6, 0x7f800001
	s_and_saveexec_b64 s[92:93], vcc
	s_cbranch_execz .LBB6_5723
; %bb.5722:                             ;   in Loop: Header=BB6_5404 Depth=2
	v_and_b32_e32 v8, 7, v2
	v_ffbh_u32_e32 v6, v8
	v_min_u32_e32 v30, 32, v6
	v_subrev_u32_e32 v6, 28, v30
	v_lshrrev_b32_e32 v9, 3, v7
	v_cmp_gt_u32_e32 vcc, 8, v7
	v_lshlrev_b64 v[6:7], v6, v[2:3]
	v_sub_u32_e32 v7, 29, v30
	v_and_b32_e32 v6, 7, v6
	v_cndmask_b32_e32 v7, v9, v7, vcc
	v_cndmask_b32_e32 v6, v8, v6, vcc
	v_lshlrev_b32_e32 v8, 24, v2
	v_lshlrev_b32_e32 v6, 20, v6
	v_and_b32_e32 v8, 0x80000000, v8
	v_lshl_add_u32 v7, v7, 23, v5
	v_or3_b32 v6, v8, v7, v6
.LBB6_5723:                             ;   in Loop: Header=BB6_5404 Depth=2
	s_or_b64 exec, exec, s[92:93]
.LBB6_5724:                             ;   in Loop: Header=BB6_5404 Depth=2
	s_or_b64 exec, exec, s[90:91]
.LBB6_5725:                             ;   in Loop: Header=BB6_5404 Depth=2
	s_or_b64 exec, exec, s[20:21]
	v_max_f32_e32 v6, v6, v6
	v_max_f32_e32 v4, v4, v4
	;; [unrolled: 1-line block ×3, first 2 shown]
	s_mov_b64 s[20:21], 0
.LBB6_5726:                             ;   in Loop: Header=BB6_5404 Depth=2
	s_and_b64 vcc, exec, s[20:21]
	s_cbranch_vccz .LBB6_5740
; %bb.5727:                             ;   in Loop: Header=BB6_5404 Depth=2
	v_mov_b32_e32 v6, 0
	v_mov_b32_e32 v4, 0
	s_and_saveexec_b64 s[20:21], s[18:19]
	s_cbranch_execz .LBB6_5733
; %bb.5728:                             ;   in Loop: Header=BB6_5404 Depth=2
	v_cmp_ne_u32_e32 vcc, s49, v42
	v_bfrev_b32_e32 v4, 1
	s_and_saveexec_b64 s[18:19], vcc
	s_cbranch_execz .LBB6_5732
; %bb.5729:                             ;   in Loop: Header=BB6_5404 Depth=2
	v_bfe_u32 v7, v49, 24, 7
	v_cmp_ne_u32_e32 vcc, s51, v7
	v_mov_b32_e32 v4, 0x7f800001
	s_and_saveexec_b64 s[90:91], vcc
	s_cbranch_execz .LBB6_5731
; %bb.5730:                             ;   in Loop: Header=BB6_5404 Depth=2
	v_and_b32_e32 v4, 7, v42
	v_lshrrev_b32_e32 v9, 3, v7
	v_cmp_gt_u32_e32 vcc, 8, v7
	v_ffbh_u32_e32 v7, v4
	v_min_u32_e32 v30, 32, v7
	v_subrev_u32_e32 v7, 28, v30
	v_lshlrev_b64 v[7:8], v7, v[42:43]
	v_sub_u32_e32 v8, 29, v30
	v_and_b32_e32 v7, 7, v7
	v_cndmask_b32_e32 v8, v9, v8, vcc
	v_cndmask_b32_e32 v4, v4, v7, vcc
	v_lshlrev_b32_e32 v7, 24, v42
	v_lshlrev_b32_e32 v4, 20, v4
	v_and_b32_e32 v7, 0x80000000, v7
	v_lshl_add_u32 v8, v8, 23, v5
	v_or3_b32 v4, v7, v8, v4
.LBB6_5731:                             ;   in Loop: Header=BB6_5404 Depth=2
	s_or_b64 exec, exec, s[90:91]
.LBB6_5732:                             ;   in Loop: Header=BB6_5404 Depth=2
	s_or_b64 exec, exec, s[18:19]
.LBB6_5733:                             ;   in Loop: Header=BB6_5404 Depth=2
	s_or_b64 exec, exec, s[20:21]
	v_cmp_lt_u64_e32 vcc, s[76:77], v[36:37]
	s_and_saveexec_b64 s[18:19], vcc
	s_cbranch_execz .LBB6_5739
; %bb.5734:                             ;   in Loop: Header=BB6_5404 Depth=2
	v_cmp_ne_u32_e32 vcc, s49, v2
	v_bfrev_b32_e32 v6, 1
	s_and_saveexec_b64 s[20:21], vcc
	s_cbranch_execz .LBB6_5738
; %bb.5735:                             ;   in Loop: Header=BB6_5404 Depth=2
	v_bfe_u32 v7, v37, 24, 7
	v_cmp_ne_u32_e32 vcc, s51, v7
	v_mov_b32_e32 v6, 0x7f800001
	s_and_saveexec_b64 s[90:91], vcc
	s_cbranch_execz .LBB6_5737
; %bb.5736:                             ;   in Loop: Header=BB6_5404 Depth=2
	v_and_b32_e32 v8, 7, v2
	v_ffbh_u32_e32 v6, v8
	v_min_u32_e32 v30, 32, v6
	v_subrev_u32_e32 v6, 28, v30
	v_lshrrev_b32_e32 v9, 3, v7
	v_cmp_gt_u32_e32 vcc, 8, v7
	v_lshlrev_b64 v[6:7], v6, v[2:3]
	v_sub_u32_e32 v7, 29, v30
	v_and_b32_e32 v6, 7, v6
	v_cndmask_b32_e32 v7, v9, v7, vcc
	v_cndmask_b32_e32 v6, v8, v6, vcc
	v_lshlrev_b32_e32 v2, 24, v2
	v_lshlrev_b32_e32 v6, 20, v6
	v_and_b32_e32 v2, 0x80000000, v2
	v_lshl_add_u32 v7, v7, 23, v5
	v_or3_b32 v6, v2, v7, v6
.LBB6_5737:                             ;   in Loop: Header=BB6_5404 Depth=2
	s_or_b64 exec, exec, s[90:91]
.LBB6_5738:                             ;   in Loop: Header=BB6_5404 Depth=2
	s_or_b64 exec, exec, s[20:21]
.LBB6_5739:                             ;   in Loop: Header=BB6_5404 Depth=2
	s_or_b64 exec, exec, s[18:19]
	v_max_f32_e32 v2, v6, v6
	v_max_f32_e32 v4, v4, v4
	v_min_f32_e32 v6, v4, v2
.LBB6_5740:                             ;   in Loop: Header=BB6_5404 Depth=2
	v_and_b32_e32 v2, 0x7f800000, v6
	v_cmp_ne_u64_e32 vcc, s[62:63], v[2:3]
                                        ; implicit-def: $vgpr42
	s_and_saveexec_b64 s[18:19], vcc
	s_xor_b64 s[20:21], exec, s[18:19]
	s_cbranch_execz .LBB6_5754
; %bb.5741:                             ;   in Loop: Header=BB6_5404 Depth=2
	v_and_b32_e32 v2, 0x7fffffff, v6
	v_cmp_gt_u64_e32 vcc, s[72:73], v[2:3]
	v_and_b32_sdwa v4, v6, s49 dst_sel:DWORD dst_unused:UNUSED_PAD src0_sel:BYTE_3 src1_sel:DWORD
                                        ; implicit-def: $vgpr42
	s_and_saveexec_b64 s[18:19], vcc
	s_xor_b64 s[90:91], exec, s[18:19]
	s_cbranch_execz .LBB6_5751
; %bb.5742:                             ;   in Loop: Header=BB6_5404 Depth=2
	v_mov_b32_e32 v42, 0
	v_cmp_ne_u32_e32 vcc, 0, v6
	s_and_saveexec_b64 s[92:93], vcc
	s_cbranch_execz .LBB6_5750
; %bb.5743:                             ;   in Loop: Header=BB6_5404 Depth=2
	v_and_b32_e32 v2, 0x7fffff, v6
	v_bfe_u32 v6, v6, 23, 8
	v_cmp_gt_u32_e64 s[18:19], s53, v6
	v_sub_u32_e32 v7, 0x79, v6
	v_cmp_eq_u32_e32 vcc, 0, v6
	v_cndmask_b32_e64 v7, 0, v7, s[18:19]
	v_mov_b32_e32 v9, 0x78
	v_or_b32_e32 v8, 0x800000, v2
	v_cndmask_b32_e32 v7, v7, v9, vcc
	v_cndmask_b32_e32 v2, v8, v2, vcc
	v_add_u32_e32 v8, 20, v7
	v_lshlrev_b64 v[8:9], v8, -1
	v_add_u32_e32 v30, 19, v7
	v_lshlrev_b64 v[30:31], v30, 1
	v_bfi_b32 v9, v9, 0, 0
	v_bfi_b32 v8, v8, 0, v2
	v_cmp_eq_u64_e64 s[18:19], v[8:9], v[30:31]
	v_lshrrev_b64 v[30:31], v7, v[2:3]
	v_mov_b32_e32 v37, v31
	v_mov_b32_e32 v36, v30
	s_and_saveexec_b64 s[94:95], s[18:19]
; %bb.5744:                             ;   in Loop: Header=BB6_5404 Depth=2
	v_bfe_u32 v2, v30, 20, 1
	v_add_co_u32_e64 v2, s[18:19], v30, v2
	v_add_co_u32_e64 v36, s[18:19], -1, v2
; %bb.5745:                             ;   in Loop: Header=BB6_5404 Depth=2
	s_or_b64 exec, exec, s[94:95]
	v_add_u32_e32 v2, 0xffffff81, v6
	v_cndmask_b32_e32 v2, v2, v59, vcc
	v_lshrrev_b32_e32 v6, 23, v30
	v_add3_u32 v8, v7, v2, v6
	v_add_u32_e32 v7, 6, v8
	v_and_b32_e32 v2, 0xfffff, v36
	v_add_u32_e32 v2, v2, v30
	v_cmp_ne_u32_e32 vcc, 0, v7
                                        ; implicit-def: $vgpr30_vgpr31
                                        ; implicit-def: $vgpr6
	s_and_saveexec_b64 s[18:19], vcc
	s_xor_b64 s[18:19], exec, s[18:19]
; %bb.5746:                             ;   in Loop: Header=BB6_5404 Depth=2
	v_cmp_lt_u64_e32 vcc, s[74:75], v[2:3]
	v_add_u32_e32 v6, 7, v8
	v_cndmask_b32_e32 v6, v7, v6, vcc
	v_cndmask_b32_e64 v7, 0, 1, vcc
	v_lshrrev_b64 v[30:31], v7, v[2:3]
; %bb.5747:                             ;   in Loop: Header=BB6_5404 Depth=2
	s_andn2_saveexec_b64 s[18:19], s[18:19]
; %bb.5748:                             ;   in Loop: Header=BB6_5404 Depth=2
	v_mov_b32_e32 v31, v3
	v_bfe_u32 v6, v2, 23, 1
	v_mov_b32_e32 v30, v2
; %bb.5749:                             ;   in Loop: Header=BB6_5404 Depth=2
	s_or_b64 exec, exec, s[18:19]
	v_lshrrev_b64 v[7:8], 20, v[30:31]
	v_cmp_gt_i32_e32 vcc, 16, v6
	v_cndmask_b32_e32 v8, 0, v8, vcc
	v_cndmask_b32_e32 v7, 7, v7, vcc
	v_min_i32_e32 v2, 15, v6
	v_cmp_eq_u64_e64 s[18:19], 0, v[7:8]
	v_lshlrev_b32_e32 v2, 3, v2
	v_cmp_eq_u32_e32 vcc, 0, v6
	v_and_b32_e32 v2, 0xf8, v2
	v_and_or_b32 v2, v7, 7, v2
	s_and_b64 s[18:19], vcc, s[18:19]
	v_cndmask_b32_e64 v2, v2, 0, s[18:19]
	v_or_b32_e32 v42, v2, v4
.LBB6_5750:                             ;   in Loop: Header=BB6_5404 Depth=2
	s_or_b64 exec, exec, s[92:93]
                                        ; implicit-def: $vgpr4
.LBB6_5751:                             ;   in Loop: Header=BB6_5404 Depth=2
	s_andn2_saveexec_b64 s[18:19], s[90:91]
; %bb.5752:                             ;   in Loop: Header=BB6_5404 Depth=2
	v_or_b32_e32 v42, 0x7e, v4
; %bb.5753:                             ;   in Loop: Header=BB6_5404 Depth=2
	s_or_b64 exec, exec, s[18:19]
                                        ; implicit-def: $vgpr6
.LBB6_5754:                             ;   in Loop: Header=BB6_5404 Depth=2
	s_andn2_saveexec_b64 s[18:19], s[20:21]
; %bb.5755:                             ;   in Loop: Header=BB6_5404 Depth=2
	v_or_b32_sdwa v42, v6, s51 dst_sel:DWORD dst_unused:UNUSED_PAD src0_sel:BYTE_3 src1_sel:DWORD
; %bb.5756:                             ;   in Loop: Header=BB6_5404 Depth=2
	s_or_b64 exec, exec, s[18:19]
	v_cmp_ne_u16_sdwa s[18:19], v50, v3 src0_sel:BYTE_0 src1_sel:DWORD
	s_mov_b64 s[20:21], -1
	s_and_b64 vcc, exec, s[26:27]
                                        ; implicit-def: $vgpr6
	s_cbranch_vccz .LBB6_5770
; %bb.5757:                             ;   in Loop: Header=BB6_5404 Depth=2
	v_mov_b32_e32 v4, 0
	v_mov_b32_e32 v2, 0
	s_and_saveexec_b64 s[20:21], s[18:19]
	s_cbranch_execz .LBB6_5763
; %bb.5758:                             ;   in Loop: Header=BB6_5404 Depth=2
	v_cmp_ne_u16_sdwa s[92:93], v50, s49 src0_sel:BYTE_0 src1_sel:DWORD
	v_bfrev_b32_e32 v2, 1
	s_and_saveexec_b64 s[90:91], s[92:93]
	s_cbranch_execz .LBB6_5762
; %bb.5759:                             ;   in Loop: Header=BB6_5404 Depth=2
	v_and_b32_e32 v6, 0x7f, v50
	v_cmp_ne_u32_e32 vcc, s51, v6
	v_mov_b32_e32 v2, 0x7f800001
	s_and_saveexec_b64 s[92:93], vcc
	s_cbranch_execz .LBB6_5761
; %bb.5760:                             ;   in Loop: Header=BB6_5404 Depth=2
	v_and_b32_e32 v2, 7, v50
	v_ffbh_u32_e32 v2, v2
	v_min_u32_e32 v2, 32, v2
	v_lshrrev_b32_e32 v7, 3, v6
	v_cmp_gt_u32_e32 vcc, 8, v6
	v_subrev_u32_e32 v6, 28, v2
	v_sub_u32_e32 v2, 29, v2
	v_cndmask_b32_e32 v6, 0, v6, vcc
	v_cndmask_b32_e32 v2, v7, v2, vcc
	v_lshlrev_b64 v[6:7], v6, v[50:51]
	v_lshlrev_b32_e32 v7, 24, v50
	v_lshlrev_b32_e32 v6, 20, v6
	v_and_b32_e32 v6, 0x700000, v6
	v_and_b32_e32 v7, 0x80000000, v7
	v_lshl_add_u32 v2, v2, 23, v5
	v_or3_b32 v2, v7, v2, v6
.LBB6_5761:                             ;   in Loop: Header=BB6_5404 Depth=2
	s_or_b64 exec, exec, s[92:93]
.LBB6_5762:                             ;   in Loop: Header=BB6_5404 Depth=2
	s_or_b64 exec, exec, s[90:91]
.LBB6_5763:                             ;   in Loop: Header=BB6_5404 Depth=2
	s_or_b64 exec, exec, s[20:21]
	v_cmp_ne_u16_sdwa s[90:91], v38, v3 src0_sel:BYTE_0 src1_sel:DWORD
	s_and_saveexec_b64 s[20:21], s[90:91]
	s_cbranch_execz .LBB6_5769
; %bb.5764:                             ;   in Loop: Header=BB6_5404 Depth=2
	v_cmp_ne_u16_sdwa s[92:93], v38, s49 src0_sel:BYTE_0 src1_sel:DWORD
	v_bfrev_b32_e32 v4, 1
	s_and_saveexec_b64 s[90:91], s[92:93]
	s_cbranch_execz .LBB6_5768
; %bb.5765:                             ;   in Loop: Header=BB6_5404 Depth=2
	v_and_b32_e32 v6, 0x7f, v38
	v_cmp_ne_u32_e32 vcc, s51, v6
	v_mov_b32_e32 v4, 0x7f800001
	s_and_saveexec_b64 s[92:93], vcc
	s_cbranch_execz .LBB6_5767
; %bb.5766:                             ;   in Loop: Header=BB6_5404 Depth=2
	v_and_b32_e32 v4, 7, v38
	v_ffbh_u32_e32 v4, v4
	v_min_u32_e32 v4, 32, v4
	v_lshrrev_b32_e32 v7, 3, v6
	v_cmp_gt_u32_e32 vcc, 8, v6
	v_subrev_u32_e32 v6, 28, v4
	v_sub_u32_e32 v4, 29, v4
	v_cndmask_b32_e32 v6, 0, v6, vcc
	v_cndmask_b32_e32 v4, v7, v4, vcc
	v_lshlrev_b64 v[6:7], v6, v[38:39]
	v_lshlrev_b32_e32 v7, 24, v38
	v_lshlrev_b32_e32 v6, 20, v6
	v_and_b32_e32 v6, 0x700000, v6
	v_and_b32_e32 v7, 0x80000000, v7
	v_lshl_add_u32 v4, v4, 23, v5
	v_or3_b32 v4, v7, v4, v6
.LBB6_5767:                             ;   in Loop: Header=BB6_5404 Depth=2
	s_or_b64 exec, exec, s[92:93]
.LBB6_5768:                             ;   in Loop: Header=BB6_5404 Depth=2
	s_or_b64 exec, exec, s[90:91]
.LBB6_5769:                             ;   in Loop: Header=BB6_5404 Depth=2
	s_or_b64 exec, exec, s[20:21]
	v_max_f32_e32 v4, v4, v4
	v_max_f32_e32 v2, v2, v2
	;; [unrolled: 1-line block ×3, first 2 shown]
	s_mov_b64 s[20:21], 0
.LBB6_5770:                             ;   in Loop: Header=BB6_5404 Depth=2
	s_and_b64 vcc, exec, s[20:21]
	s_cbranch_vccz .LBB6_5784
; %bb.5771:                             ;   in Loop: Header=BB6_5404 Depth=2
	v_mov_b32_e32 v4, 0
	v_mov_b32_e32 v2, 0
	s_and_saveexec_b64 s[20:21], s[18:19]
	s_cbranch_execz .LBB6_5777
; %bb.5772:                             ;   in Loop: Header=BB6_5404 Depth=2
	v_cmp_ne_u16_sdwa s[90:91], v50, s49 src0_sel:BYTE_0 src1_sel:DWORD
	v_bfrev_b32_e32 v2, 1
	s_and_saveexec_b64 s[18:19], s[90:91]
	s_cbranch_execz .LBB6_5776
; %bb.5773:                             ;   in Loop: Header=BB6_5404 Depth=2
	v_and_b32_e32 v6, 0x7f, v50
	v_cmp_ne_u32_e32 vcc, s51, v6
	v_mov_b32_e32 v2, 0x7f800001
	s_and_saveexec_b64 s[90:91], vcc
	s_cbranch_execz .LBB6_5775
; %bb.5774:                             ;   in Loop: Header=BB6_5404 Depth=2
	v_and_b32_e32 v2, 7, v50
	v_ffbh_u32_e32 v2, v2
	v_min_u32_e32 v2, 32, v2
	v_lshrrev_b32_e32 v7, 3, v6
	v_cmp_gt_u32_e32 vcc, 8, v6
	v_subrev_u32_e32 v6, 28, v2
	v_sub_u32_e32 v2, 29, v2
	v_cndmask_b32_e32 v6, 0, v6, vcc
	v_cndmask_b32_e32 v2, v7, v2, vcc
	v_lshlrev_b64 v[6:7], v6, v[50:51]
	v_lshlrev_b32_e32 v7, 24, v50
	v_lshlrev_b32_e32 v6, 20, v6
	v_and_b32_e32 v6, 0x700000, v6
	v_and_b32_e32 v7, 0x80000000, v7
	v_lshl_add_u32 v2, v2, 23, v5
	v_or3_b32 v2, v7, v2, v6
.LBB6_5775:                             ;   in Loop: Header=BB6_5404 Depth=2
	s_or_b64 exec, exec, s[90:91]
.LBB6_5776:                             ;   in Loop: Header=BB6_5404 Depth=2
	s_or_b64 exec, exec, s[18:19]
.LBB6_5777:                             ;   in Loop: Header=BB6_5404 Depth=2
	s_or_b64 exec, exec, s[20:21]
	v_cmp_ne_u16_sdwa s[20:21], v38, v3 src0_sel:BYTE_0 src1_sel:DWORD
	s_and_saveexec_b64 s[18:19], s[20:21]
	s_cbranch_execz .LBB6_5783
; %bb.5778:                             ;   in Loop: Header=BB6_5404 Depth=2
	v_cmp_ne_u16_sdwa s[90:91], v38, s49 src0_sel:BYTE_0 src1_sel:DWORD
	v_bfrev_b32_e32 v4, 1
	s_and_saveexec_b64 s[20:21], s[90:91]
	s_cbranch_execz .LBB6_5782
; %bb.5779:                             ;   in Loop: Header=BB6_5404 Depth=2
	v_and_b32_e32 v6, 0x7f, v38
	v_cmp_ne_u32_e32 vcc, s51, v6
	v_mov_b32_e32 v4, 0x7f800001
	s_and_saveexec_b64 s[90:91], vcc
	s_cbranch_execz .LBB6_5781
; %bb.5780:                             ;   in Loop: Header=BB6_5404 Depth=2
	v_and_b32_e32 v4, 7, v38
	v_ffbh_u32_e32 v4, v4
	v_min_u32_e32 v4, 32, v4
	v_lshrrev_b32_e32 v7, 3, v6
	v_cmp_gt_u32_e32 vcc, 8, v6
	v_subrev_u32_e32 v6, 28, v4
	v_sub_u32_e32 v4, 29, v4
	v_cndmask_b32_e32 v6, 0, v6, vcc
	v_cndmask_b32_e32 v4, v7, v4, vcc
	v_lshlrev_b64 v[6:7], v6, v[38:39]
	v_lshlrev_b32_e32 v7, 24, v38
	v_lshlrev_b32_e32 v6, 20, v6
	v_and_b32_e32 v6, 0x700000, v6
	v_and_b32_e32 v7, 0x80000000, v7
	v_lshl_add_u32 v4, v4, 23, v5
	v_or3_b32 v4, v7, v4, v6
.LBB6_5781:                             ;   in Loop: Header=BB6_5404 Depth=2
	s_or_b64 exec, exec, s[90:91]
.LBB6_5782:                             ;   in Loop: Header=BB6_5404 Depth=2
	s_or_b64 exec, exec, s[20:21]
.LBB6_5783:                             ;   in Loop: Header=BB6_5404 Depth=2
	s_or_b64 exec, exec, s[18:19]
	v_max_f32_e32 v4, v4, v4
	v_max_f32_e32 v2, v2, v2
	v_min_f32_e32 v6, v2, v4
.LBB6_5784:                             ;   in Loop: Header=BB6_5404 Depth=2
	v_and_b32_e32 v2, 0x7f800000, v6
	v_cmp_ne_u64_e32 vcc, s[62:63], v[2:3]
                                        ; implicit-def: $vgpr2
                                        ; kill: killed $vgpr2
	s_and_saveexec_b64 s[18:19], vcc
	s_xor_b64 s[20:21], exec, s[18:19]
	s_cbranch_execz .LBB6_5798
; %bb.5785:                             ;   in Loop: Header=BB6_5404 Depth=2
	v_and_b32_e32 v2, 0x7fffffff, v6
	v_cmp_gt_u64_e32 vcc, s[72:73], v[2:3]
	v_and_b32_sdwa v4, v6, s49 dst_sel:DWORD dst_unused:UNUSED_PAD src0_sel:BYTE_3 src1_sel:DWORD
                                        ; implicit-def: $vgpr2
                                        ; kill: killed $vgpr2
	s_and_saveexec_b64 s[18:19], vcc
	s_xor_b64 s[90:91], exec, s[18:19]
	s_cbranch_execz .LBB6_5795
; %bb.5786:                             ;   in Loop: Header=BB6_5404 Depth=2
	v_mov_b32_e32 v2, 0
	v_cmp_ne_u32_e32 vcc, 0, v6
	buffer_store_dword v2, off, s[0:3], s33 offset:88 ; 4-byte Folded Spill
	s_and_saveexec_b64 s[92:93], vcc
	s_cbranch_execz .LBB6_5794
; %bb.5787:                             ;   in Loop: Header=BB6_5404 Depth=2
	v_and_b32_e32 v2, 0x7fffff, v6
	v_bfe_u32 v6, v6, 23, 8
	v_cmp_gt_u32_e64 s[18:19], s53, v6
	v_sub_u32_e32 v7, 0x79, v6
	v_cmp_eq_u32_e32 vcc, 0, v6
	v_cndmask_b32_e64 v7, 0, v7, s[18:19]
	v_mov_b32_e32 v9, 0x78
	v_or_b32_e32 v8, 0x800000, v2
	v_cndmask_b32_e32 v7, v7, v9, vcc
	v_cndmask_b32_e32 v2, v8, v2, vcc
	v_add_u32_e32 v8, 20, v7
	v_lshlrev_b64 v[8:9], v8, -1
	v_add_u32_e32 v30, 19, v7
	v_lshlrev_b64 v[30:31], v30, 1
	v_bfi_b32 v9, v9, 0, 0
	v_bfi_b32 v8, v8, 0, v2
	v_cmp_eq_u64_e64 s[18:19], v[8:9], v[30:31]
	v_lshrrev_b64 v[30:31], v7, v[2:3]
	v_mov_b32_e32 v37, v31
	v_mov_b32_e32 v36, v30
	s_and_saveexec_b64 s[94:95], s[18:19]
; %bb.5788:                             ;   in Loop: Header=BB6_5404 Depth=2
	v_bfe_u32 v2, v30, 20, 1
	v_add_co_u32_e64 v2, s[18:19], v30, v2
	v_add_co_u32_e64 v36, s[18:19], -1, v2
; %bb.5789:                             ;   in Loop: Header=BB6_5404 Depth=2
	s_or_b64 exec, exec, s[94:95]
	v_add_u32_e32 v2, 0xffffff81, v6
	v_cndmask_b32_e32 v2, v2, v59, vcc
	v_lshrrev_b32_e32 v6, 23, v30
	v_add3_u32 v8, v7, v2, v6
	v_add_u32_e32 v7, 6, v8
	v_and_b32_e32 v2, 0xfffff, v36
	v_add_u32_e32 v2, v2, v30
	v_cmp_ne_u32_e32 vcc, 0, v7
                                        ; implicit-def: $vgpr30_vgpr31
                                        ; implicit-def: $vgpr6
	s_and_saveexec_b64 s[18:19], vcc
	s_xor_b64 s[18:19], exec, s[18:19]
; %bb.5790:                             ;   in Loop: Header=BB6_5404 Depth=2
	v_cmp_lt_u64_e32 vcc, s[74:75], v[2:3]
	v_add_u32_e32 v6, 7, v8
	v_cndmask_b32_e32 v6, v7, v6, vcc
	v_cndmask_b32_e64 v7, 0, 1, vcc
	v_lshrrev_b64 v[30:31], v7, v[2:3]
; %bb.5791:                             ;   in Loop: Header=BB6_5404 Depth=2
	s_andn2_saveexec_b64 s[18:19], s[18:19]
; %bb.5792:                             ;   in Loop: Header=BB6_5404 Depth=2
	v_mov_b32_e32 v31, v3
	v_bfe_u32 v6, v2, 23, 1
	v_mov_b32_e32 v30, v2
; %bb.5793:                             ;   in Loop: Header=BB6_5404 Depth=2
	s_or_b64 exec, exec, s[18:19]
	v_lshrrev_b64 v[7:8], 20, v[30:31]
	v_cmp_gt_i32_e32 vcc, 16, v6
	v_cndmask_b32_e32 v8, 0, v8, vcc
	v_cndmask_b32_e32 v7, 7, v7, vcc
	v_min_i32_e32 v2, 15, v6
	v_cmp_eq_u64_e64 s[18:19], 0, v[7:8]
	v_lshlrev_b32_e32 v2, 3, v2
	v_cmp_eq_u32_e32 vcc, 0, v6
	v_and_b32_e32 v2, 0xf8, v2
	v_and_or_b32 v2, v7, 7, v2
	s_and_b64 s[18:19], vcc, s[18:19]
	v_cndmask_b32_e64 v2, v2, 0, s[18:19]
	v_or_b32_e32 v2, v2, v4
	buffer_store_dword v2, off, s[0:3], s33 offset:88 ; 4-byte Folded Spill
.LBB6_5794:                             ;   in Loop: Header=BB6_5404 Depth=2
	s_or_b64 exec, exec, s[92:93]
                                        ; implicit-def: $vgpr4
.LBB6_5795:                             ;   in Loop: Header=BB6_5404 Depth=2
	s_andn2_saveexec_b64 s[18:19], s[90:91]
	s_cbranch_execz .LBB6_5797
; %bb.5796:                             ;   in Loop: Header=BB6_5404 Depth=2
	v_or_b32_e32 v2, 0x7e, v4
	buffer_store_dword v2, off, s[0:3], s33 offset:88 ; 4-byte Folded Spill
.LBB6_5797:                             ;   in Loop: Header=BB6_5404 Depth=2
	s_or_b64 exec, exec, s[18:19]
                                        ; implicit-def: $vgpr6
.LBB6_5798:                             ;   in Loop: Header=BB6_5404 Depth=2
	s_andn2_saveexec_b64 s[18:19], s[20:21]
	s_cbranch_execz .LBB6_5800
; %bb.5799:                             ;   in Loop: Header=BB6_5404 Depth=2
	v_or_b32_sdwa v2, v6, s51 dst_sel:DWORD dst_unused:UNUSED_PAD src0_sel:BYTE_3 src1_sel:DWORD
	buffer_store_dword v2, off, s[0:3], s33 offset:88 ; 4-byte Folded Spill
.LBB6_5800:                             ;   in Loop: Header=BB6_5404 Depth=2
	s_or_b64 exec, exec, s[18:19]
	v_lshrrev_b16_e32 v36, 8, v50
	v_lshrrev_b16_e32 v2, 8, v38
	v_cmp_ne_u16_e64 s[18:19], 0, v36
	s_mov_b64 s[20:21], -1
	s_and_b64 vcc, exec, s[26:27]
                                        ; implicit-def: $vgpr6
	s_cbranch_vccz .LBB6_5814
; %bb.5801:                             ;   in Loop: Header=BB6_5404 Depth=2
	v_mov_b32_e32 v6, 0
	v_mov_b32_e32 v4, 0
	s_and_saveexec_b64 s[20:21], s[18:19]
	s_cbranch_execz .LBB6_5807
; %bb.5802:                             ;   in Loop: Header=BB6_5404 Depth=2
	v_cmp_ne_u16_e32 vcc, s49, v36
	v_bfrev_b32_e32 v4, 1
	s_and_saveexec_b64 s[90:91], vcc
	s_cbranch_execz .LBB6_5806
; %bb.5803:                             ;   in Loop: Header=BB6_5404 Depth=2
	v_and_b32_e32 v7, 0x7f, v36
	v_cmp_ne_u32_e32 vcc, s51, v7
	v_mov_b32_e32 v4, 0x7f800001
	s_and_saveexec_b64 s[92:93], vcc
	s_cbranch_execz .LBB6_5805
; %bb.5804:                             ;   in Loop: Header=BB6_5404 Depth=2
	v_and_b32_e32 v4, 7, v36
	v_lshrrev_b32_e32 v9, 3, v7
	v_cmp_gt_u32_e32 vcc, 8, v7
	v_ffbh_u32_e32 v7, v4
	v_min_u32_e32 v30, 32, v7
	v_subrev_u32_e32 v7, 28, v30
	v_lshlrev_b64 v[7:8], v7, v[36:37]
	v_sub_u32_e32 v8, 29, v30
	v_and_b32_e32 v7, 7, v7
	v_cndmask_b32_e32 v8, v9, v8, vcc
	v_cndmask_b32_e32 v4, v4, v7, vcc
	v_lshlrev_b32_e32 v7, 16, v50
	v_lshlrev_b32_e32 v4, 20, v4
	v_and_b32_e32 v7, 0x80000000, v7
	v_lshl_add_u32 v8, v8, 23, v5
	v_or3_b32 v4, v7, v8, v4
.LBB6_5805:                             ;   in Loop: Header=BB6_5404 Depth=2
	s_or_b64 exec, exec, s[92:93]
.LBB6_5806:                             ;   in Loop: Header=BB6_5404 Depth=2
	s_or_b64 exec, exec, s[90:91]
.LBB6_5807:                             ;   in Loop: Header=BB6_5404 Depth=2
	s_or_b64 exec, exec, s[20:21]
	v_cmp_ne_u16_e32 vcc, 0, v2
	s_and_saveexec_b64 s[20:21], vcc
	s_cbranch_execz .LBB6_5813
; %bb.5808:                             ;   in Loop: Header=BB6_5404 Depth=2
	v_cmp_ne_u16_e32 vcc, s49, v2
	v_bfrev_b32_e32 v6, 1
	s_and_saveexec_b64 s[90:91], vcc
	s_cbranch_execz .LBB6_5812
; %bb.5809:                             ;   in Loop: Header=BB6_5404 Depth=2
	v_and_b32_e32 v7, 0x7f, v2
	v_cmp_ne_u32_e32 vcc, s51, v7
	v_mov_b32_e32 v6, 0x7f800001
	s_and_saveexec_b64 s[92:93], vcc
	s_cbranch_execz .LBB6_5811
; %bb.5810:                             ;   in Loop: Header=BB6_5404 Depth=2
	v_and_b32_e32 v8, 7, v2
	v_ffbh_u32_e32 v6, v8
	v_min_u32_e32 v30, 32, v6
	v_subrev_u32_e32 v6, 28, v30
	v_lshrrev_b32_e32 v9, 3, v7
	v_cmp_gt_u32_e32 vcc, 8, v7
	v_lshlrev_b64 v[6:7], v6, v[2:3]
	v_sub_u32_e32 v7, 29, v30
	v_and_b32_e32 v6, 7, v6
	v_cndmask_b32_e32 v7, v9, v7, vcc
	v_cndmask_b32_e32 v6, v8, v6, vcc
	v_lshlrev_b32_e32 v8, 16, v38
	v_lshlrev_b32_e32 v6, 20, v6
	v_and_b32_e32 v8, 0x80000000, v8
	v_lshl_add_u32 v7, v7, 23, v5
	v_or3_b32 v6, v8, v7, v6
.LBB6_5811:                             ;   in Loop: Header=BB6_5404 Depth=2
	s_or_b64 exec, exec, s[92:93]
.LBB6_5812:                             ;   in Loop: Header=BB6_5404 Depth=2
	s_or_b64 exec, exec, s[90:91]
.LBB6_5813:                             ;   in Loop: Header=BB6_5404 Depth=2
	s_or_b64 exec, exec, s[20:21]
	v_max_f32_e32 v6, v6, v6
	v_max_f32_e32 v4, v4, v4
	;; [unrolled: 1-line block ×3, first 2 shown]
	s_mov_b64 s[20:21], 0
.LBB6_5814:                             ;   in Loop: Header=BB6_5404 Depth=2
	s_and_b64 vcc, exec, s[20:21]
	s_cbranch_vccz .LBB6_5828
; %bb.5815:                             ;   in Loop: Header=BB6_5404 Depth=2
	v_mov_b32_e32 v6, 0
	v_mov_b32_e32 v4, 0
	s_and_saveexec_b64 s[20:21], s[18:19]
	s_cbranch_execz .LBB6_5821
; %bb.5816:                             ;   in Loop: Header=BB6_5404 Depth=2
	v_cmp_ne_u16_e32 vcc, s49, v36
	v_bfrev_b32_e32 v4, 1
	s_and_saveexec_b64 s[18:19], vcc
	s_cbranch_execz .LBB6_5820
; %bb.5817:                             ;   in Loop: Header=BB6_5404 Depth=2
	v_and_b32_e32 v7, 0x7f, v36
	v_cmp_ne_u32_e32 vcc, s51, v7
	v_mov_b32_e32 v4, 0x7f800001
	s_and_saveexec_b64 s[90:91], vcc
	s_cbranch_execz .LBB6_5819
; %bb.5818:                             ;   in Loop: Header=BB6_5404 Depth=2
	v_and_b32_e32 v4, 7, v36
	v_lshrrev_b32_e32 v9, 3, v7
	v_cmp_gt_u32_e32 vcc, 8, v7
	v_ffbh_u32_e32 v7, v4
	v_min_u32_e32 v30, 32, v7
	v_subrev_u32_e32 v7, 28, v30
	v_lshlrev_b64 v[7:8], v7, v[36:37]
	v_sub_u32_e32 v8, 29, v30
	v_and_b32_e32 v7, 7, v7
	v_cndmask_b32_e32 v8, v9, v8, vcc
	v_cndmask_b32_e32 v4, v4, v7, vcc
	v_lshlrev_b32_e32 v7, 16, v50
	v_lshlrev_b32_e32 v4, 20, v4
	v_and_b32_e32 v7, 0x80000000, v7
	v_lshl_add_u32 v8, v8, 23, v5
	v_or3_b32 v4, v7, v8, v4
.LBB6_5819:                             ;   in Loop: Header=BB6_5404 Depth=2
	s_or_b64 exec, exec, s[90:91]
.LBB6_5820:                             ;   in Loop: Header=BB6_5404 Depth=2
	s_or_b64 exec, exec, s[18:19]
.LBB6_5821:                             ;   in Loop: Header=BB6_5404 Depth=2
	s_or_b64 exec, exec, s[20:21]
	v_cmp_ne_u16_e32 vcc, 0, v2
	s_and_saveexec_b64 s[18:19], vcc
	s_cbranch_execz .LBB6_5827
; %bb.5822:                             ;   in Loop: Header=BB6_5404 Depth=2
	v_cmp_ne_u16_e32 vcc, s49, v2
	v_bfrev_b32_e32 v6, 1
	s_and_saveexec_b64 s[20:21], vcc
	s_cbranch_execz .LBB6_5826
; %bb.5823:                             ;   in Loop: Header=BB6_5404 Depth=2
	v_and_b32_e32 v7, 0x7f, v2
	v_cmp_ne_u32_e32 vcc, s51, v7
	v_mov_b32_e32 v6, 0x7f800001
	s_and_saveexec_b64 s[90:91], vcc
	s_cbranch_execz .LBB6_5825
; %bb.5824:                             ;   in Loop: Header=BB6_5404 Depth=2
	v_and_b32_e32 v8, 7, v2
	v_ffbh_u32_e32 v6, v8
	v_min_u32_e32 v30, 32, v6
	v_subrev_u32_e32 v6, 28, v30
	v_lshrrev_b32_e32 v9, 3, v7
	v_cmp_gt_u32_e32 vcc, 8, v7
	v_lshlrev_b64 v[6:7], v6, v[2:3]
	v_sub_u32_e32 v2, 29, v30
	v_and_b32_e32 v6, 7, v6
	v_cndmask_b32_e32 v2, v9, v2, vcc
	v_cndmask_b32_e32 v6, v8, v6, vcc
	v_lshlrev_b32_e32 v7, 16, v38
	v_lshlrev_b32_e32 v6, 20, v6
	v_and_b32_e32 v7, 0x80000000, v7
	v_lshl_add_u32 v2, v2, 23, v5
	v_or3_b32 v6, v7, v2, v6
.LBB6_5825:                             ;   in Loop: Header=BB6_5404 Depth=2
	s_or_b64 exec, exec, s[90:91]
.LBB6_5826:                             ;   in Loop: Header=BB6_5404 Depth=2
	s_or_b64 exec, exec, s[20:21]
.LBB6_5827:                             ;   in Loop: Header=BB6_5404 Depth=2
	s_or_b64 exec, exec, s[18:19]
	v_max_f32_e32 v2, v6, v6
	v_max_f32_e32 v4, v4, v4
	v_min_f32_e32 v6, v4, v2
.LBB6_5828:                             ;   in Loop: Header=BB6_5404 Depth=2
	v_and_b32_e32 v2, 0x7f800000, v6
	v_cmp_ne_u64_e32 vcc, s[62:63], v[2:3]
                                        ; implicit-def: $vgpr2
                                        ; kill: killed $vgpr2
	s_and_saveexec_b64 s[18:19], vcc
	s_xor_b64 s[20:21], exec, s[18:19]
	s_cbranch_execz .LBB6_5842
; %bb.5829:                             ;   in Loop: Header=BB6_5404 Depth=2
	v_and_b32_e32 v2, 0x7fffffff, v6
	v_cmp_gt_u64_e32 vcc, s[72:73], v[2:3]
	v_and_b32_sdwa v4, v6, s49 dst_sel:DWORD dst_unused:UNUSED_PAD src0_sel:BYTE_3 src1_sel:DWORD
                                        ; implicit-def: $vgpr2
                                        ; kill: killed $vgpr2
	s_and_saveexec_b64 s[18:19], vcc
	s_xor_b64 s[90:91], exec, s[18:19]
	s_cbranch_execz .LBB6_5839
; %bb.5830:                             ;   in Loop: Header=BB6_5404 Depth=2
	v_mov_b32_e32 v2, 0
	v_cmp_ne_u32_e32 vcc, 0, v6
	buffer_store_dword v2, off, s[0:3], s33 offset:100 ; 4-byte Folded Spill
	s_and_saveexec_b64 s[92:93], vcc
	s_cbranch_execz .LBB6_5838
; %bb.5831:                             ;   in Loop: Header=BB6_5404 Depth=2
	v_and_b32_e32 v2, 0x7fffff, v6
	v_bfe_u32 v6, v6, 23, 8
	v_cmp_gt_u32_e64 s[18:19], s53, v6
	v_sub_u32_e32 v7, 0x79, v6
	v_cmp_eq_u32_e32 vcc, 0, v6
	v_cndmask_b32_e64 v7, 0, v7, s[18:19]
	v_mov_b32_e32 v9, 0x78
	v_or_b32_e32 v8, 0x800000, v2
	v_cndmask_b32_e32 v7, v7, v9, vcc
	v_cndmask_b32_e32 v2, v8, v2, vcc
	v_add_u32_e32 v8, 20, v7
	v_lshlrev_b64 v[8:9], v8, -1
	v_add_u32_e32 v30, 19, v7
	v_lshlrev_b64 v[30:31], v30, 1
	v_bfi_b32 v9, v9, 0, 0
	v_bfi_b32 v8, v8, 0, v2
	v_cmp_eq_u64_e64 s[18:19], v[8:9], v[30:31]
	v_lshrrev_b64 v[30:31], v7, v[2:3]
	v_mov_b32_e32 v37, v31
	v_mov_b32_e32 v36, v30
	s_and_saveexec_b64 s[94:95], s[18:19]
; %bb.5832:                             ;   in Loop: Header=BB6_5404 Depth=2
	v_bfe_u32 v2, v30, 20, 1
	v_add_co_u32_e64 v2, s[18:19], v30, v2
	v_add_co_u32_e64 v36, s[18:19], -1, v2
; %bb.5833:                             ;   in Loop: Header=BB6_5404 Depth=2
	s_or_b64 exec, exec, s[94:95]
	v_add_u32_e32 v2, 0xffffff81, v6
	v_cndmask_b32_e32 v2, v2, v59, vcc
	v_lshrrev_b32_e32 v6, 23, v30
	v_add3_u32 v8, v7, v2, v6
	v_add_u32_e32 v7, 6, v8
	v_and_b32_e32 v2, 0xfffff, v36
	v_add_u32_e32 v2, v2, v30
	v_cmp_ne_u32_e32 vcc, 0, v7
                                        ; implicit-def: $vgpr30_vgpr31
                                        ; implicit-def: $vgpr6
	s_and_saveexec_b64 s[18:19], vcc
	s_xor_b64 s[18:19], exec, s[18:19]
; %bb.5834:                             ;   in Loop: Header=BB6_5404 Depth=2
	v_cmp_lt_u64_e32 vcc, s[74:75], v[2:3]
	v_add_u32_e32 v6, 7, v8
	v_cndmask_b32_e32 v6, v7, v6, vcc
	v_cndmask_b32_e64 v7, 0, 1, vcc
	v_lshrrev_b64 v[30:31], v7, v[2:3]
; %bb.5835:                             ;   in Loop: Header=BB6_5404 Depth=2
	s_andn2_saveexec_b64 s[18:19], s[18:19]
; %bb.5836:                             ;   in Loop: Header=BB6_5404 Depth=2
	v_mov_b32_e32 v31, v3
	v_bfe_u32 v6, v2, 23, 1
	v_mov_b32_e32 v30, v2
; %bb.5837:                             ;   in Loop: Header=BB6_5404 Depth=2
	s_or_b64 exec, exec, s[18:19]
	v_lshrrev_b64 v[7:8], 20, v[30:31]
	v_cmp_gt_i32_e32 vcc, 16, v6
	v_cndmask_b32_e32 v8, 0, v8, vcc
	v_cndmask_b32_e32 v7, 7, v7, vcc
	v_min_i32_e32 v2, 15, v6
	v_cmp_eq_u64_e64 s[18:19], 0, v[7:8]
	v_lshlrev_b32_e32 v2, 3, v2
	v_cmp_eq_u32_e32 vcc, 0, v6
	v_and_b32_e32 v2, 0xf8, v2
	v_and_or_b32 v2, v7, 7, v2
	s_and_b64 s[18:19], vcc, s[18:19]
	v_cndmask_b32_e64 v2, v2, 0, s[18:19]
	v_or_b32_e32 v2, v2, v4
	buffer_store_dword v2, off, s[0:3], s33 offset:100 ; 4-byte Folded Spill
.LBB6_5838:                             ;   in Loop: Header=BB6_5404 Depth=2
	s_or_b64 exec, exec, s[92:93]
                                        ; implicit-def: $vgpr4
.LBB6_5839:                             ;   in Loop: Header=BB6_5404 Depth=2
	s_andn2_saveexec_b64 s[18:19], s[90:91]
	s_cbranch_execz .LBB6_5841
; %bb.5840:                             ;   in Loop: Header=BB6_5404 Depth=2
	v_or_b32_e32 v2, 0x7e, v4
	buffer_store_dword v2, off, s[0:3], s33 offset:100 ; 4-byte Folded Spill
.LBB6_5841:                             ;   in Loop: Header=BB6_5404 Depth=2
	s_or_b64 exec, exec, s[18:19]
                                        ; implicit-def: $vgpr6
.LBB6_5842:                             ;   in Loop: Header=BB6_5404 Depth=2
	s_andn2_saveexec_b64 s[18:19], s[20:21]
	s_cbranch_execz .LBB6_5844
; %bb.5843:                             ;   in Loop: Header=BB6_5404 Depth=2
	v_or_b32_sdwa v2, v6, s51 dst_sel:DWORD dst_unused:UNUSED_PAD src0_sel:BYTE_3 src1_sel:DWORD
	buffer_store_dword v2, off, s[0:3], s33 offset:100 ; 4-byte Folded Spill
.LBB6_5844:                             ;   in Loop: Header=BB6_5404 Depth=2
	s_or_b64 exec, exec, s[18:19]
	v_lshrrev_b32_e32 v36, 16, v50
	v_lshrrev_b32_e32 v2, 16, v38
	v_cmp_ne_u16_sdwa s[18:19], v36, v3 src0_sel:BYTE_0 src1_sel:DWORD
	s_mov_b64 s[20:21], -1
	s_and_b64 vcc, exec, s[26:27]
                                        ; implicit-def: $vgpr6
	s_cbranch_vccz .LBB6_5858
; %bb.5845:                             ;   in Loop: Header=BB6_5404 Depth=2
	v_mov_b32_e32 v6, 0
	v_mov_b32_e32 v4, 0
	s_and_saveexec_b64 s[20:21], s[18:19]
	s_cbranch_execz .LBB6_5851
; %bb.5846:                             ;   in Loop: Header=BB6_5404 Depth=2
	v_cmp_ne_u16_sdwa s[92:93], v36, s49 src0_sel:BYTE_0 src1_sel:DWORD
	v_bfrev_b32_e32 v4, 1
	s_and_saveexec_b64 s[90:91], s[92:93]
	s_cbranch_execz .LBB6_5850
; %bb.5847:                             ;   in Loop: Header=BB6_5404 Depth=2
	v_bfe_u32 v7, v50, 16, 7
	v_cmp_ne_u32_e32 vcc, s51, v7
	v_mov_b32_e32 v4, 0x7f800001
	s_and_saveexec_b64 s[92:93], vcc
	s_cbranch_execz .LBB6_5849
; %bb.5848:                             ;   in Loop: Header=BB6_5404 Depth=2
	v_and_b32_e32 v4, 7, v36
	v_lshrrev_b32_e32 v9, 3, v7
	v_cmp_gt_u32_e32 vcc, 8, v7
	v_ffbh_u32_e32 v7, v4
	v_min_u32_e32 v30, 32, v7
	v_subrev_u32_e32 v7, 28, v30
	v_lshlrev_b64 v[7:8], v7, v[36:37]
	v_sub_u32_e32 v8, 29, v30
	v_and_b32_e32 v7, 7, v7
	v_cndmask_b32_e32 v8, v9, v8, vcc
	v_cndmask_b32_e32 v4, v4, v7, vcc
	v_lshlrev_b32_e32 v7, 24, v36
	v_lshlrev_b32_e32 v4, 20, v4
	v_and_b32_e32 v7, 0x80000000, v7
	v_lshl_add_u32 v8, v8, 23, v5
	v_or3_b32 v4, v7, v8, v4
.LBB6_5849:                             ;   in Loop: Header=BB6_5404 Depth=2
	s_or_b64 exec, exec, s[92:93]
.LBB6_5850:                             ;   in Loop: Header=BB6_5404 Depth=2
	s_or_b64 exec, exec, s[90:91]
.LBB6_5851:                             ;   in Loop: Header=BB6_5404 Depth=2
	s_or_b64 exec, exec, s[20:21]
	v_cmp_ne_u16_sdwa s[90:91], v2, v3 src0_sel:BYTE_0 src1_sel:DWORD
	s_and_saveexec_b64 s[20:21], s[90:91]
	s_cbranch_execz .LBB6_5857
; %bb.5852:                             ;   in Loop: Header=BB6_5404 Depth=2
	v_cmp_ne_u16_sdwa s[92:93], v2, s49 src0_sel:BYTE_0 src1_sel:DWORD
	v_bfrev_b32_e32 v6, 1
	s_and_saveexec_b64 s[90:91], s[92:93]
	s_cbranch_execz .LBB6_5856
; %bb.5853:                             ;   in Loop: Header=BB6_5404 Depth=2
	v_bfe_u32 v7, v38, 16, 7
	v_cmp_ne_u32_e32 vcc, s51, v7
	v_mov_b32_e32 v6, 0x7f800001
	s_and_saveexec_b64 s[92:93], vcc
	s_cbranch_execz .LBB6_5855
; %bb.5854:                             ;   in Loop: Header=BB6_5404 Depth=2
	v_and_b32_e32 v8, 7, v2
	v_ffbh_u32_e32 v6, v8
	v_min_u32_e32 v30, 32, v6
	v_subrev_u32_e32 v6, 28, v30
	v_lshrrev_b32_e32 v9, 3, v7
	v_cmp_gt_u32_e32 vcc, 8, v7
	v_lshlrev_b64 v[6:7], v6, v[2:3]
	v_sub_u32_e32 v7, 29, v30
	v_and_b32_e32 v6, 7, v6
	v_cndmask_b32_e32 v7, v9, v7, vcc
	v_cndmask_b32_e32 v6, v8, v6, vcc
	v_lshlrev_b32_e32 v8, 24, v2
	v_lshlrev_b32_e32 v6, 20, v6
	v_and_b32_e32 v8, 0x80000000, v8
	v_lshl_add_u32 v7, v7, 23, v5
	v_or3_b32 v6, v8, v7, v6
.LBB6_5855:                             ;   in Loop: Header=BB6_5404 Depth=2
	s_or_b64 exec, exec, s[92:93]
.LBB6_5856:                             ;   in Loop: Header=BB6_5404 Depth=2
	s_or_b64 exec, exec, s[90:91]
.LBB6_5857:                             ;   in Loop: Header=BB6_5404 Depth=2
	s_or_b64 exec, exec, s[20:21]
	v_max_f32_e32 v6, v6, v6
	v_max_f32_e32 v4, v4, v4
	;; [unrolled: 1-line block ×3, first 2 shown]
	s_mov_b64 s[20:21], 0
.LBB6_5858:                             ;   in Loop: Header=BB6_5404 Depth=2
	s_and_b64 vcc, exec, s[20:21]
	s_cbranch_vccz .LBB6_5872
; %bb.5859:                             ;   in Loop: Header=BB6_5404 Depth=2
	v_mov_b32_e32 v6, 0
	v_mov_b32_e32 v4, 0
	s_and_saveexec_b64 s[20:21], s[18:19]
	s_cbranch_execz .LBB6_5865
; %bb.5860:                             ;   in Loop: Header=BB6_5404 Depth=2
	v_cmp_ne_u16_sdwa s[90:91], v36, s49 src0_sel:BYTE_0 src1_sel:DWORD
	v_bfrev_b32_e32 v4, 1
	s_and_saveexec_b64 s[18:19], s[90:91]
	s_cbranch_execz .LBB6_5864
; %bb.5861:                             ;   in Loop: Header=BB6_5404 Depth=2
	v_bfe_u32 v7, v50, 16, 7
	v_cmp_ne_u32_e32 vcc, s51, v7
	v_mov_b32_e32 v4, 0x7f800001
	s_and_saveexec_b64 s[90:91], vcc
	s_cbranch_execz .LBB6_5863
; %bb.5862:                             ;   in Loop: Header=BB6_5404 Depth=2
	v_and_b32_e32 v4, 7, v36
	v_lshrrev_b32_e32 v9, 3, v7
	v_cmp_gt_u32_e32 vcc, 8, v7
	v_ffbh_u32_e32 v7, v4
	v_min_u32_e32 v30, 32, v7
	v_subrev_u32_e32 v7, 28, v30
	v_lshlrev_b64 v[7:8], v7, v[36:37]
	v_sub_u32_e32 v8, 29, v30
	v_and_b32_e32 v7, 7, v7
	v_cndmask_b32_e32 v8, v9, v8, vcc
	v_cndmask_b32_e32 v4, v4, v7, vcc
	v_lshlrev_b32_e32 v7, 24, v36
	v_lshlrev_b32_e32 v4, 20, v4
	v_and_b32_e32 v7, 0x80000000, v7
	v_lshl_add_u32 v8, v8, 23, v5
	v_or3_b32 v4, v7, v8, v4
.LBB6_5863:                             ;   in Loop: Header=BB6_5404 Depth=2
	s_or_b64 exec, exec, s[90:91]
.LBB6_5864:                             ;   in Loop: Header=BB6_5404 Depth=2
	s_or_b64 exec, exec, s[18:19]
.LBB6_5865:                             ;   in Loop: Header=BB6_5404 Depth=2
	s_or_b64 exec, exec, s[20:21]
	v_cmp_ne_u16_sdwa s[20:21], v2, v3 src0_sel:BYTE_0 src1_sel:DWORD
	s_and_saveexec_b64 s[18:19], s[20:21]
	s_cbranch_execz .LBB6_5871
; %bb.5866:                             ;   in Loop: Header=BB6_5404 Depth=2
	v_cmp_ne_u16_sdwa s[90:91], v2, s49 src0_sel:BYTE_0 src1_sel:DWORD
	v_bfrev_b32_e32 v6, 1
	s_and_saveexec_b64 s[20:21], s[90:91]
	s_cbranch_execz .LBB6_5870
; %bb.5867:                             ;   in Loop: Header=BB6_5404 Depth=2
	v_bfe_u32 v7, v38, 16, 7
	v_cmp_ne_u32_e32 vcc, s51, v7
	v_mov_b32_e32 v6, 0x7f800001
	s_and_saveexec_b64 s[90:91], vcc
	s_cbranch_execz .LBB6_5869
; %bb.5868:                             ;   in Loop: Header=BB6_5404 Depth=2
	v_and_b32_e32 v8, 7, v2
	v_ffbh_u32_e32 v6, v8
	v_min_u32_e32 v30, 32, v6
	v_subrev_u32_e32 v6, 28, v30
	v_lshrrev_b32_e32 v9, 3, v7
	v_cmp_gt_u32_e32 vcc, 8, v7
	v_lshlrev_b64 v[6:7], v6, v[2:3]
	v_sub_u32_e32 v7, 29, v30
	v_and_b32_e32 v6, 7, v6
	v_cndmask_b32_e32 v7, v9, v7, vcc
	v_cndmask_b32_e32 v6, v8, v6, vcc
	v_lshlrev_b32_e32 v2, 24, v2
	v_lshlrev_b32_e32 v6, 20, v6
	v_and_b32_e32 v2, 0x80000000, v2
	v_lshl_add_u32 v7, v7, 23, v5
	v_or3_b32 v6, v2, v7, v6
.LBB6_5869:                             ;   in Loop: Header=BB6_5404 Depth=2
	s_or_b64 exec, exec, s[90:91]
.LBB6_5870:                             ;   in Loop: Header=BB6_5404 Depth=2
	s_or_b64 exec, exec, s[20:21]
.LBB6_5871:                             ;   in Loop: Header=BB6_5404 Depth=2
	s_or_b64 exec, exec, s[18:19]
	v_max_f32_e32 v2, v6, v6
	v_max_f32_e32 v4, v4, v4
	v_min_f32_e32 v6, v4, v2
.LBB6_5872:                             ;   in Loop: Header=BB6_5404 Depth=2
	v_and_b32_e32 v2, 0x7f800000, v6
	v_cmp_ne_u64_e32 vcc, s[62:63], v[2:3]
                                        ; implicit-def: $vgpr2
                                        ; kill: killed $vgpr2
	s_and_saveexec_b64 s[18:19], vcc
	s_xor_b64 s[20:21], exec, s[18:19]
	s_cbranch_execz .LBB6_5886
; %bb.5873:                             ;   in Loop: Header=BB6_5404 Depth=2
	v_and_b32_e32 v2, 0x7fffffff, v6
	v_cmp_gt_u64_e32 vcc, s[72:73], v[2:3]
	v_and_b32_sdwa v4, v6, s49 dst_sel:DWORD dst_unused:UNUSED_PAD src0_sel:BYTE_3 src1_sel:DWORD
                                        ; implicit-def: $vgpr2
                                        ; kill: killed $vgpr2
	s_and_saveexec_b64 s[18:19], vcc
	s_xor_b64 s[90:91], exec, s[18:19]
	s_cbranch_execz .LBB6_5883
; %bb.5874:                             ;   in Loop: Header=BB6_5404 Depth=2
	v_mov_b32_e32 v2, 0
	v_cmp_ne_u32_e32 vcc, 0, v6
	buffer_store_dword v2, off, s[0:3], s33 offset:104 ; 4-byte Folded Spill
	s_and_saveexec_b64 s[92:93], vcc
	s_cbranch_execz .LBB6_5882
; %bb.5875:                             ;   in Loop: Header=BB6_5404 Depth=2
	v_and_b32_e32 v2, 0x7fffff, v6
	v_bfe_u32 v6, v6, 23, 8
	v_cmp_gt_u32_e64 s[18:19], s53, v6
	v_sub_u32_e32 v7, 0x79, v6
	v_cmp_eq_u32_e32 vcc, 0, v6
	v_cndmask_b32_e64 v7, 0, v7, s[18:19]
	v_mov_b32_e32 v9, 0x78
	v_or_b32_e32 v8, 0x800000, v2
	v_cndmask_b32_e32 v7, v7, v9, vcc
	v_cndmask_b32_e32 v2, v8, v2, vcc
	v_add_u32_e32 v8, 20, v7
	v_lshlrev_b64 v[8:9], v8, -1
	v_add_u32_e32 v30, 19, v7
	v_lshlrev_b64 v[30:31], v30, 1
	v_bfi_b32 v9, v9, 0, 0
	v_bfi_b32 v8, v8, 0, v2
	v_cmp_eq_u64_e64 s[18:19], v[8:9], v[30:31]
	v_lshrrev_b64 v[30:31], v7, v[2:3]
	v_mov_b32_e32 v37, v31
	v_mov_b32_e32 v36, v30
	s_and_saveexec_b64 s[94:95], s[18:19]
; %bb.5876:                             ;   in Loop: Header=BB6_5404 Depth=2
	v_bfe_u32 v2, v30, 20, 1
	v_add_co_u32_e64 v2, s[18:19], v30, v2
	v_add_co_u32_e64 v36, s[18:19], -1, v2
; %bb.5877:                             ;   in Loop: Header=BB6_5404 Depth=2
	s_or_b64 exec, exec, s[94:95]
	v_add_u32_e32 v2, 0xffffff81, v6
	v_cndmask_b32_e32 v2, v2, v59, vcc
	v_lshrrev_b32_e32 v6, 23, v30
	v_add3_u32 v8, v7, v2, v6
	v_add_u32_e32 v7, 6, v8
	v_and_b32_e32 v2, 0xfffff, v36
	v_add_u32_e32 v2, v2, v30
	v_cmp_ne_u32_e32 vcc, 0, v7
                                        ; implicit-def: $vgpr30_vgpr31
                                        ; implicit-def: $vgpr6
	s_and_saveexec_b64 s[18:19], vcc
	s_xor_b64 s[18:19], exec, s[18:19]
; %bb.5878:                             ;   in Loop: Header=BB6_5404 Depth=2
	v_cmp_lt_u64_e32 vcc, s[74:75], v[2:3]
	v_add_u32_e32 v6, 7, v8
	v_cndmask_b32_e32 v6, v7, v6, vcc
	v_cndmask_b32_e64 v7, 0, 1, vcc
	v_lshrrev_b64 v[30:31], v7, v[2:3]
; %bb.5879:                             ;   in Loop: Header=BB6_5404 Depth=2
	s_andn2_saveexec_b64 s[18:19], s[18:19]
; %bb.5880:                             ;   in Loop: Header=BB6_5404 Depth=2
	v_mov_b32_e32 v31, v3
	v_bfe_u32 v6, v2, 23, 1
	v_mov_b32_e32 v30, v2
; %bb.5881:                             ;   in Loop: Header=BB6_5404 Depth=2
	s_or_b64 exec, exec, s[18:19]
	v_lshrrev_b64 v[7:8], 20, v[30:31]
	v_cmp_gt_i32_e32 vcc, 16, v6
	v_cndmask_b32_e32 v8, 0, v8, vcc
	v_cndmask_b32_e32 v7, 7, v7, vcc
	v_min_i32_e32 v2, 15, v6
	v_cmp_eq_u64_e64 s[18:19], 0, v[7:8]
	v_lshlrev_b32_e32 v2, 3, v2
	v_cmp_eq_u32_e32 vcc, 0, v6
	v_and_b32_e32 v2, 0xf8, v2
	v_and_or_b32 v2, v7, 7, v2
	s_and_b64 s[18:19], vcc, s[18:19]
	v_cndmask_b32_e64 v2, v2, 0, s[18:19]
	v_or_b32_e32 v2, v2, v4
	buffer_store_dword v2, off, s[0:3], s33 offset:104 ; 4-byte Folded Spill
.LBB6_5882:                             ;   in Loop: Header=BB6_5404 Depth=2
	s_or_b64 exec, exec, s[92:93]
                                        ; implicit-def: $vgpr4
.LBB6_5883:                             ;   in Loop: Header=BB6_5404 Depth=2
	s_andn2_saveexec_b64 s[18:19], s[90:91]
	s_cbranch_execz .LBB6_5885
; %bb.5884:                             ;   in Loop: Header=BB6_5404 Depth=2
	v_or_b32_e32 v2, 0x7e, v4
	buffer_store_dword v2, off, s[0:3], s33 offset:104 ; 4-byte Folded Spill
.LBB6_5885:                             ;   in Loop: Header=BB6_5404 Depth=2
	s_or_b64 exec, exec, s[18:19]
                                        ; implicit-def: $vgpr6
.LBB6_5886:                             ;   in Loop: Header=BB6_5404 Depth=2
	s_andn2_saveexec_b64 s[18:19], s[20:21]
	s_cbranch_execz .LBB6_5888
; %bb.5887:                             ;   in Loop: Header=BB6_5404 Depth=2
	v_or_b32_sdwa v2, v6, s51 dst_sel:DWORD dst_unused:UNUSED_PAD src0_sel:BYTE_3 src1_sel:DWORD
	buffer_store_dword v2, off, s[0:3], s33 offset:104 ; 4-byte Folded Spill
.LBB6_5888:                             ;   in Loop: Header=BB6_5404 Depth=2
	s_or_b64 exec, exec, s[18:19]
	v_lshrrev_b32_e32 v36, 24, v50
	v_lshrrev_b32_e32 v2, 24, v38
	v_cmp_lt_u32_e64 s[18:19], s77, v50
	s_mov_b64 s[20:21], -1
	s_and_b64 vcc, exec, s[26:27]
                                        ; implicit-def: $vgpr6
	s_cbranch_vccz .LBB6_5902
; %bb.5889:                             ;   in Loop: Header=BB6_5404 Depth=2
	v_mov_b32_e32 v6, 0
	v_mov_b32_e32 v4, 0
	s_and_saveexec_b64 s[20:21], s[18:19]
	s_cbranch_execz .LBB6_5895
; %bb.5890:                             ;   in Loop: Header=BB6_5404 Depth=2
	v_cmp_ne_u32_e32 vcc, s49, v36
	v_bfrev_b32_e32 v4, 1
	s_and_saveexec_b64 s[90:91], vcc
	s_cbranch_execz .LBB6_5894
; %bb.5891:                             ;   in Loop: Header=BB6_5404 Depth=2
	v_bfe_u32 v7, v50, 24, 7
	v_cmp_ne_u32_e32 vcc, s51, v7
	v_mov_b32_e32 v4, 0x7f800001
	s_and_saveexec_b64 s[92:93], vcc
	s_cbranch_execz .LBB6_5893
; %bb.5892:                             ;   in Loop: Header=BB6_5404 Depth=2
	v_and_b32_e32 v4, 7, v36
	v_lshrrev_b32_e32 v9, 3, v7
	v_cmp_gt_u32_e32 vcc, 8, v7
	v_ffbh_u32_e32 v7, v4
	v_min_u32_e32 v30, 32, v7
	v_subrev_u32_e32 v7, 28, v30
	v_lshlrev_b64 v[7:8], v7, v[36:37]
	v_sub_u32_e32 v8, 29, v30
	v_and_b32_e32 v7, 7, v7
	v_cndmask_b32_e32 v8, v9, v8, vcc
	v_cndmask_b32_e32 v4, v4, v7, vcc
	v_lshlrev_b32_e32 v7, 24, v36
	v_lshlrev_b32_e32 v4, 20, v4
	v_and_b32_e32 v7, 0x80000000, v7
	v_lshl_add_u32 v8, v8, 23, v5
	v_or3_b32 v4, v7, v8, v4
.LBB6_5893:                             ;   in Loop: Header=BB6_5404 Depth=2
	s_or_b64 exec, exec, s[92:93]
.LBB6_5894:                             ;   in Loop: Header=BB6_5404 Depth=2
	s_or_b64 exec, exec, s[90:91]
.LBB6_5895:                             ;   in Loop: Header=BB6_5404 Depth=2
	s_or_b64 exec, exec, s[20:21]
	v_cmp_lt_u32_e32 vcc, s77, v38
	s_and_saveexec_b64 s[20:21], vcc
	s_cbranch_execz .LBB6_5901
; %bb.5896:                             ;   in Loop: Header=BB6_5404 Depth=2
	v_cmp_ne_u32_e32 vcc, s49, v2
	v_bfrev_b32_e32 v6, 1
	s_and_saveexec_b64 s[90:91], vcc
	s_cbranch_execz .LBB6_5900
; %bb.5897:                             ;   in Loop: Header=BB6_5404 Depth=2
	v_bfe_u32 v7, v38, 24, 7
	v_cmp_ne_u32_e32 vcc, s51, v7
	v_mov_b32_e32 v6, 0x7f800001
	s_and_saveexec_b64 s[92:93], vcc
	s_cbranch_execz .LBB6_5899
; %bb.5898:                             ;   in Loop: Header=BB6_5404 Depth=2
	v_and_b32_e32 v8, 7, v2
	v_ffbh_u32_e32 v6, v8
	v_min_u32_e32 v30, 32, v6
	v_subrev_u32_e32 v6, 28, v30
	v_lshrrev_b32_e32 v9, 3, v7
	v_cmp_gt_u32_e32 vcc, 8, v7
	v_lshlrev_b64 v[6:7], v6, v[2:3]
	v_sub_u32_e32 v7, 29, v30
	v_and_b32_e32 v6, 7, v6
	v_cndmask_b32_e32 v7, v9, v7, vcc
	v_cndmask_b32_e32 v6, v8, v6, vcc
	v_lshlrev_b32_e32 v8, 24, v2
	v_lshlrev_b32_e32 v6, 20, v6
	v_and_b32_e32 v8, 0x80000000, v8
	v_lshl_add_u32 v7, v7, 23, v5
	v_or3_b32 v6, v8, v7, v6
.LBB6_5899:                             ;   in Loop: Header=BB6_5404 Depth=2
	s_or_b64 exec, exec, s[92:93]
.LBB6_5900:                             ;   in Loop: Header=BB6_5404 Depth=2
	s_or_b64 exec, exec, s[90:91]
.LBB6_5901:                             ;   in Loop: Header=BB6_5404 Depth=2
	s_or_b64 exec, exec, s[20:21]
	v_max_f32_e32 v6, v6, v6
	v_max_f32_e32 v4, v4, v4
	;; [unrolled: 1-line block ×3, first 2 shown]
	s_mov_b64 s[20:21], 0
.LBB6_5902:                             ;   in Loop: Header=BB6_5404 Depth=2
	s_and_b64 vcc, exec, s[20:21]
	s_cbranch_vccz .LBB6_5916
; %bb.5903:                             ;   in Loop: Header=BB6_5404 Depth=2
	v_mov_b32_e32 v6, 0
	v_mov_b32_e32 v4, 0
	s_and_saveexec_b64 s[20:21], s[18:19]
	s_cbranch_execz .LBB6_5909
; %bb.5904:                             ;   in Loop: Header=BB6_5404 Depth=2
	v_cmp_ne_u32_e32 vcc, s49, v36
	v_bfrev_b32_e32 v4, 1
	s_and_saveexec_b64 s[18:19], vcc
	s_cbranch_execz .LBB6_5908
; %bb.5905:                             ;   in Loop: Header=BB6_5404 Depth=2
	v_bfe_u32 v7, v50, 24, 7
	v_cmp_ne_u32_e32 vcc, s51, v7
	v_mov_b32_e32 v4, 0x7f800001
	s_and_saveexec_b64 s[90:91], vcc
	s_cbranch_execz .LBB6_5907
; %bb.5906:                             ;   in Loop: Header=BB6_5404 Depth=2
	v_and_b32_e32 v4, 7, v36
	v_lshrrev_b32_e32 v9, 3, v7
	v_cmp_gt_u32_e32 vcc, 8, v7
	v_ffbh_u32_e32 v7, v4
	v_min_u32_e32 v30, 32, v7
	v_subrev_u32_e32 v7, 28, v30
	v_lshlrev_b64 v[7:8], v7, v[36:37]
	v_sub_u32_e32 v8, 29, v30
	v_and_b32_e32 v7, 7, v7
	v_cndmask_b32_e32 v8, v9, v8, vcc
	v_cndmask_b32_e32 v4, v4, v7, vcc
	v_lshlrev_b32_e32 v7, 24, v36
	v_lshlrev_b32_e32 v4, 20, v4
	v_and_b32_e32 v7, 0x80000000, v7
	v_lshl_add_u32 v8, v8, 23, v5
	v_or3_b32 v4, v7, v8, v4
.LBB6_5907:                             ;   in Loop: Header=BB6_5404 Depth=2
	s_or_b64 exec, exec, s[90:91]
.LBB6_5908:                             ;   in Loop: Header=BB6_5404 Depth=2
	s_or_b64 exec, exec, s[18:19]
.LBB6_5909:                             ;   in Loop: Header=BB6_5404 Depth=2
	s_or_b64 exec, exec, s[20:21]
	v_cmp_lt_u32_e32 vcc, s77, v38
	s_and_saveexec_b64 s[18:19], vcc
	s_cbranch_execz .LBB6_5915
; %bb.5910:                             ;   in Loop: Header=BB6_5404 Depth=2
	v_cmp_ne_u32_e32 vcc, s49, v2
	v_bfrev_b32_e32 v6, 1
	s_and_saveexec_b64 s[20:21], vcc
	s_cbranch_execz .LBB6_5914
; %bb.5911:                             ;   in Loop: Header=BB6_5404 Depth=2
	v_bfe_u32 v7, v38, 24, 7
	v_cmp_ne_u32_e32 vcc, s51, v7
	v_mov_b32_e32 v6, 0x7f800001
	s_and_saveexec_b64 s[90:91], vcc
	s_cbranch_execz .LBB6_5913
; %bb.5912:                             ;   in Loop: Header=BB6_5404 Depth=2
	v_and_b32_e32 v8, 7, v2
	v_ffbh_u32_e32 v6, v8
	v_min_u32_e32 v30, 32, v6
	v_subrev_u32_e32 v6, 28, v30
	v_lshrrev_b32_e32 v9, 3, v7
	v_cmp_gt_u32_e32 vcc, 8, v7
	v_lshlrev_b64 v[6:7], v6, v[2:3]
	v_sub_u32_e32 v7, 29, v30
	v_and_b32_e32 v6, 7, v6
	v_cndmask_b32_e32 v7, v9, v7, vcc
	v_cndmask_b32_e32 v6, v8, v6, vcc
	v_lshlrev_b32_e32 v2, 24, v2
	v_lshlrev_b32_e32 v6, 20, v6
	v_and_b32_e32 v2, 0x80000000, v2
	v_lshl_add_u32 v7, v7, 23, v5
	v_or3_b32 v6, v2, v7, v6
.LBB6_5913:                             ;   in Loop: Header=BB6_5404 Depth=2
	s_or_b64 exec, exec, s[90:91]
.LBB6_5914:                             ;   in Loop: Header=BB6_5404 Depth=2
	s_or_b64 exec, exec, s[20:21]
.LBB6_5915:                             ;   in Loop: Header=BB6_5404 Depth=2
	s_or_b64 exec, exec, s[18:19]
	v_max_f32_e32 v2, v6, v6
	v_max_f32_e32 v4, v4, v4
	v_min_f32_e32 v6, v4, v2
.LBB6_5916:                             ;   in Loop: Header=BB6_5404 Depth=2
	v_and_b32_e32 v2, 0x7f800000, v6
	v_cmp_ne_u64_e32 vcc, s[62:63], v[2:3]
                                        ; implicit-def: $vgpr2
                                        ; kill: killed $vgpr2
	s_and_saveexec_b64 s[18:19], vcc
	s_xor_b64 s[20:21], exec, s[18:19]
	s_cbranch_execz .LBB6_5930
; %bb.5917:                             ;   in Loop: Header=BB6_5404 Depth=2
	v_and_b32_e32 v2, 0x7fffffff, v6
	v_cmp_gt_u64_e32 vcc, s[72:73], v[2:3]
	v_and_b32_sdwa v4, v6, s49 dst_sel:DWORD dst_unused:UNUSED_PAD src0_sel:BYTE_3 src1_sel:DWORD
                                        ; implicit-def: $vgpr2
                                        ; kill: killed $vgpr2
	s_and_saveexec_b64 s[18:19], vcc
	s_xor_b64 s[90:91], exec, s[18:19]
	s_cbranch_execz .LBB6_5927
; %bb.5918:                             ;   in Loop: Header=BB6_5404 Depth=2
	v_mov_b32_e32 v2, 0
	v_cmp_ne_u32_e32 vcc, 0, v6
	buffer_store_dword v2, off, s[0:3], s33 offset:108 ; 4-byte Folded Spill
	s_and_saveexec_b64 s[92:93], vcc
	s_cbranch_execz .LBB6_5926
; %bb.5919:                             ;   in Loop: Header=BB6_5404 Depth=2
	v_and_b32_e32 v2, 0x7fffff, v6
	v_bfe_u32 v6, v6, 23, 8
	v_cmp_gt_u32_e64 s[18:19], s53, v6
	v_sub_u32_e32 v7, 0x79, v6
	v_cmp_eq_u32_e32 vcc, 0, v6
	v_cndmask_b32_e64 v7, 0, v7, s[18:19]
	v_mov_b32_e32 v9, 0x78
	v_or_b32_e32 v8, 0x800000, v2
	v_cndmask_b32_e32 v7, v7, v9, vcc
	v_cndmask_b32_e32 v2, v8, v2, vcc
	v_add_u32_e32 v8, 20, v7
	v_lshlrev_b64 v[8:9], v8, -1
	v_add_u32_e32 v30, 19, v7
	v_lshlrev_b64 v[30:31], v30, 1
	v_bfi_b32 v9, v9, 0, 0
	v_bfi_b32 v8, v8, 0, v2
	v_cmp_eq_u64_e64 s[18:19], v[8:9], v[30:31]
	v_lshrrev_b64 v[30:31], v7, v[2:3]
	v_mov_b32_e32 v37, v31
	v_mov_b32_e32 v36, v30
	s_and_saveexec_b64 s[94:95], s[18:19]
; %bb.5920:                             ;   in Loop: Header=BB6_5404 Depth=2
	v_bfe_u32 v2, v30, 20, 1
	v_add_co_u32_e64 v2, s[18:19], v30, v2
	v_add_co_u32_e64 v36, s[18:19], -1, v2
; %bb.5921:                             ;   in Loop: Header=BB6_5404 Depth=2
	s_or_b64 exec, exec, s[94:95]
	v_add_u32_e32 v2, 0xffffff81, v6
	v_cndmask_b32_e32 v2, v2, v59, vcc
	v_lshrrev_b32_e32 v6, 23, v30
	v_add3_u32 v8, v7, v2, v6
	v_add_u32_e32 v7, 6, v8
	v_and_b32_e32 v2, 0xfffff, v36
	v_add_u32_e32 v2, v2, v30
	v_cmp_ne_u32_e32 vcc, 0, v7
                                        ; implicit-def: $vgpr30_vgpr31
                                        ; implicit-def: $vgpr6
	s_and_saveexec_b64 s[18:19], vcc
	s_xor_b64 s[18:19], exec, s[18:19]
; %bb.5922:                             ;   in Loop: Header=BB6_5404 Depth=2
	v_cmp_lt_u64_e32 vcc, s[74:75], v[2:3]
	v_add_u32_e32 v6, 7, v8
	v_cndmask_b32_e32 v6, v7, v6, vcc
	v_cndmask_b32_e64 v7, 0, 1, vcc
	v_lshrrev_b64 v[30:31], v7, v[2:3]
; %bb.5923:                             ;   in Loop: Header=BB6_5404 Depth=2
	s_andn2_saveexec_b64 s[18:19], s[18:19]
; %bb.5924:                             ;   in Loop: Header=BB6_5404 Depth=2
	v_mov_b32_e32 v31, v3
	v_bfe_u32 v6, v2, 23, 1
	v_mov_b32_e32 v30, v2
; %bb.5925:                             ;   in Loop: Header=BB6_5404 Depth=2
	s_or_b64 exec, exec, s[18:19]
	v_lshrrev_b64 v[7:8], 20, v[30:31]
	v_cmp_gt_i32_e32 vcc, 16, v6
	v_cndmask_b32_e32 v8, 0, v8, vcc
	v_cndmask_b32_e32 v7, 7, v7, vcc
	v_min_i32_e32 v2, 15, v6
	v_cmp_eq_u64_e64 s[18:19], 0, v[7:8]
	v_lshlrev_b32_e32 v2, 3, v2
	v_cmp_eq_u32_e32 vcc, 0, v6
	v_and_b32_e32 v2, 0xf8, v2
	v_and_or_b32 v2, v7, 7, v2
	s_and_b64 s[18:19], vcc, s[18:19]
	v_cndmask_b32_e64 v2, v2, 0, s[18:19]
	v_or_b32_e32 v2, v2, v4
	buffer_store_dword v2, off, s[0:3], s33 offset:108 ; 4-byte Folded Spill
.LBB6_5926:                             ;   in Loop: Header=BB6_5404 Depth=2
	s_or_b64 exec, exec, s[92:93]
                                        ; implicit-def: $vgpr4
.LBB6_5927:                             ;   in Loop: Header=BB6_5404 Depth=2
	s_andn2_saveexec_b64 s[18:19], s[90:91]
	s_cbranch_execz .LBB6_5929
; %bb.5928:                             ;   in Loop: Header=BB6_5404 Depth=2
	v_or_b32_e32 v2, 0x7e, v4
	buffer_store_dword v2, off, s[0:3], s33 offset:108 ; 4-byte Folded Spill
.LBB6_5929:                             ;   in Loop: Header=BB6_5404 Depth=2
	s_or_b64 exec, exec, s[18:19]
                                        ; implicit-def: $vgpr6
.LBB6_5930:                             ;   in Loop: Header=BB6_5404 Depth=2
	s_andn2_saveexec_b64 s[18:19], s[20:21]
	s_cbranch_execz .LBB6_5932
; %bb.5931:                             ;   in Loop: Header=BB6_5404 Depth=2
	v_or_b32_sdwa v2, v6, s51 dst_sel:DWORD dst_unused:UNUSED_PAD src0_sel:BYTE_3 src1_sel:DWORD
	buffer_store_dword v2, off, s[0:3], s33 offset:108 ; 4-byte Folded Spill
.LBB6_5932:                             ;   in Loop: Header=BB6_5404 Depth=2
	s_or_b64 exec, exec, s[18:19]
	v_mov_b32_e32 v2, v51
	v_mov_b32_e32 v36, v39
	;; [unrolled: 1-line block ×3, first 2 shown]
	v_cmp_ne_u16_sdwa s[18:19], v51, v3 src0_sel:BYTE_0 src1_sel:DWORD
	s_mov_b64 s[20:21], -1
	s_and_b64 vcc, exec, s[26:27]
                                        ; implicit-def: $vgpr6
	s_cbranch_vccz .LBB6_5946
; %bb.5933:                             ;   in Loop: Header=BB6_5404 Depth=2
	v_mov_b32_e32 v6, 0
	v_mov_b32_e32 v4, 0
	s_and_saveexec_b64 s[20:21], s[18:19]
	s_cbranch_execz .LBB6_5939
; %bb.5934:                             ;   in Loop: Header=BB6_5404 Depth=2
	v_cmp_ne_u16_sdwa s[92:93], v51, s49 src0_sel:BYTE_0 src1_sel:DWORD
	v_bfrev_b32_e32 v4, 1
	s_and_saveexec_b64 s[90:91], s[92:93]
	s_cbranch_execz .LBB6_5938
; %bb.5935:                             ;   in Loop: Header=BB6_5404 Depth=2
	v_and_b32_e32 v7, 0x7f, v51
	v_cmp_ne_u32_e32 vcc, s51, v7
	v_mov_b32_e32 v4, 0x7f800001
	s_and_saveexec_b64 s[92:93], vcc
	s_cbranch_execz .LBB6_5937
; %bb.5936:                             ;   in Loop: Header=BB6_5404 Depth=2
	v_and_b32_e32 v4, 7, v51
	v_ffbh_u32_e32 v4, v4
	v_min_u32_e32 v4, 32, v4
	v_lshrrev_b32_e32 v8, 3, v7
	v_cmp_gt_u32_e32 vcc, 8, v7
	v_subrev_u32_e32 v7, 28, v4
	v_sub_u32_e32 v4, 29, v4
	v_cndmask_b32_e32 v7, 0, v7, vcc
	v_cndmask_b32_e32 v4, v8, v4, vcc
	v_lshlrev_b64 v[7:8], v7, v[2:3]
	v_lshlrev_b32_e32 v8, 24, v2
	v_lshlrev_b32_e32 v7, 20, v7
	v_and_b32_e32 v7, 0x700000, v7
	v_and_b32_e32 v8, 0x80000000, v8
	v_lshl_add_u32 v4, v4, 23, v5
	v_or3_b32 v4, v8, v4, v7
.LBB6_5937:                             ;   in Loop: Header=BB6_5404 Depth=2
	s_or_b64 exec, exec, s[92:93]
.LBB6_5938:                             ;   in Loop: Header=BB6_5404 Depth=2
	s_or_b64 exec, exec, s[90:91]
.LBB6_5939:                             ;   in Loop: Header=BB6_5404 Depth=2
	s_or_b64 exec, exec, s[20:21]
	v_cmp_ne_u16_sdwa s[90:91], v39, v3 src0_sel:BYTE_0 src1_sel:DWORD
	s_and_saveexec_b64 s[20:21], s[90:91]
	s_cbranch_execz .LBB6_5945
; %bb.5940:                             ;   in Loop: Header=BB6_5404 Depth=2
	v_cmp_ne_u16_sdwa s[92:93], v39, s49 src0_sel:BYTE_0 src1_sel:DWORD
	v_bfrev_b32_e32 v6, 1
	s_and_saveexec_b64 s[90:91], s[92:93]
	s_cbranch_execz .LBB6_5944
; %bb.5941:                             ;   in Loop: Header=BB6_5404 Depth=2
	v_and_b32_e32 v7, 0x7f, v39
	v_cmp_ne_u32_e32 vcc, s51, v7
	v_mov_b32_e32 v6, 0x7f800001
	s_and_saveexec_b64 s[92:93], vcc
	s_cbranch_execz .LBB6_5943
; %bb.5942:                             ;   in Loop: Header=BB6_5404 Depth=2
	v_and_b32_e32 v6, 7, v39
	v_ffbh_u32_e32 v6, v6
	v_min_u32_e32 v6, 32, v6
	v_lshrrev_b32_e32 v8, 3, v7
	v_cmp_gt_u32_e32 vcc, 8, v7
	v_subrev_u32_e32 v7, 28, v6
	v_sub_u32_e32 v6, 29, v6
	v_cndmask_b32_e32 v8, v8, v6, vcc
	v_cndmask_b32_e32 v6, 0, v7, vcc
	v_lshlrev_b64 v[6:7], v6, v[36:37]
	v_lshlrev_b32_e32 v7, 24, v36
	v_lshlrev_b32_e32 v6, 20, v6
	v_and_b32_e32 v6, 0x700000, v6
	v_and_b32_e32 v7, 0x80000000, v7
	v_lshl_add_u32 v8, v8, 23, v5
	v_or3_b32 v6, v7, v8, v6
.LBB6_5943:                             ;   in Loop: Header=BB6_5404 Depth=2
	s_or_b64 exec, exec, s[92:93]
.LBB6_5944:                             ;   in Loop: Header=BB6_5404 Depth=2
	s_or_b64 exec, exec, s[90:91]
.LBB6_5945:                             ;   in Loop: Header=BB6_5404 Depth=2
	s_or_b64 exec, exec, s[20:21]
	v_max_f32_e32 v6, v6, v6
	v_max_f32_e32 v4, v4, v4
	;; [unrolled: 1-line block ×3, first 2 shown]
	s_mov_b64 s[20:21], 0
.LBB6_5946:                             ;   in Loop: Header=BB6_5404 Depth=2
	s_and_b64 vcc, exec, s[20:21]
	s_cbranch_vccz .LBB6_5960
; %bb.5947:                             ;   in Loop: Header=BB6_5404 Depth=2
	v_mov_b32_e32 v6, 0
	v_mov_b32_e32 v4, 0
	s_and_saveexec_b64 s[20:21], s[18:19]
	s_cbranch_execz .LBB6_5953
; %bb.5948:                             ;   in Loop: Header=BB6_5404 Depth=2
	v_cmp_ne_u16_sdwa s[90:91], v51, s49 src0_sel:BYTE_0 src1_sel:DWORD
	v_bfrev_b32_e32 v4, 1
	s_and_saveexec_b64 s[18:19], s[90:91]
	s_cbranch_execz .LBB6_5952
; %bb.5949:                             ;   in Loop: Header=BB6_5404 Depth=2
	v_and_b32_e32 v7, 0x7f, v51
	v_cmp_ne_u32_e32 vcc, s51, v7
	v_mov_b32_e32 v4, 0x7f800001
	s_and_saveexec_b64 s[90:91], vcc
	s_cbranch_execz .LBB6_5951
; %bb.5950:                             ;   in Loop: Header=BB6_5404 Depth=2
	v_and_b32_e32 v4, 7, v51
	v_ffbh_u32_e32 v4, v4
	v_min_u32_e32 v4, 32, v4
	v_lshrrev_b32_e32 v8, 3, v7
	v_cmp_gt_u32_e32 vcc, 8, v7
	v_subrev_u32_e32 v7, 28, v4
	v_sub_u32_e32 v4, 29, v4
	v_cndmask_b32_e32 v7, 0, v7, vcc
	v_cndmask_b32_e32 v4, v8, v4, vcc
	v_lshlrev_b64 v[7:8], v7, v[2:3]
	v_lshlrev_b32_e32 v8, 24, v2
	v_lshlrev_b32_e32 v7, 20, v7
	v_and_b32_e32 v7, 0x700000, v7
	v_and_b32_e32 v8, 0x80000000, v8
	v_lshl_add_u32 v4, v4, 23, v5
	v_or3_b32 v4, v8, v4, v7
.LBB6_5951:                             ;   in Loop: Header=BB6_5404 Depth=2
	s_or_b64 exec, exec, s[90:91]
.LBB6_5952:                             ;   in Loop: Header=BB6_5404 Depth=2
	s_or_b64 exec, exec, s[18:19]
.LBB6_5953:                             ;   in Loop: Header=BB6_5404 Depth=2
	s_or_b64 exec, exec, s[20:21]
	v_cmp_ne_u16_sdwa s[20:21], v39, v3 src0_sel:BYTE_0 src1_sel:DWORD
	s_and_saveexec_b64 s[18:19], s[20:21]
	s_cbranch_execz .LBB6_5959
; %bb.5954:                             ;   in Loop: Header=BB6_5404 Depth=2
	v_cmp_ne_u16_sdwa s[90:91], v39, s49 src0_sel:BYTE_0 src1_sel:DWORD
	v_bfrev_b32_e32 v6, 1
	s_and_saveexec_b64 s[20:21], s[90:91]
	s_cbranch_execz .LBB6_5958
; %bb.5955:                             ;   in Loop: Header=BB6_5404 Depth=2
	v_and_b32_e32 v7, 0x7f, v39
	v_cmp_ne_u32_e32 vcc, s51, v7
	v_mov_b32_e32 v6, 0x7f800001
	s_and_saveexec_b64 s[90:91], vcc
	s_cbranch_execz .LBB6_5957
; %bb.5956:                             ;   in Loop: Header=BB6_5404 Depth=2
	v_and_b32_e32 v6, 7, v39
	v_ffbh_u32_e32 v6, v6
	v_min_u32_e32 v6, 32, v6
	v_lshrrev_b32_e32 v8, 3, v7
	v_cmp_gt_u32_e32 vcc, 8, v7
	v_subrev_u32_e32 v7, 28, v6
	v_sub_u32_e32 v6, 29, v6
	v_cndmask_b32_e32 v8, v8, v6, vcc
	v_cndmask_b32_e32 v6, 0, v7, vcc
	v_lshlrev_b64 v[6:7], v6, v[36:37]
	v_lshlrev_b32_e32 v7, 24, v36
	v_lshlrev_b32_e32 v6, 20, v6
	v_and_b32_e32 v6, 0x700000, v6
	v_and_b32_e32 v7, 0x80000000, v7
	v_lshl_add_u32 v8, v8, 23, v5
	v_or3_b32 v6, v7, v8, v6
.LBB6_5957:                             ;   in Loop: Header=BB6_5404 Depth=2
	s_or_b64 exec, exec, s[90:91]
.LBB6_5958:                             ;   in Loop: Header=BB6_5404 Depth=2
	s_or_b64 exec, exec, s[20:21]
.LBB6_5959:                             ;   in Loop: Header=BB6_5404 Depth=2
	s_or_b64 exec, exec, s[18:19]
	v_max_f32_e32 v6, v6, v6
	v_max_f32_e32 v4, v4, v4
	v_min_f32_e32 v6, v4, v6
.LBB6_5960:                             ;   in Loop: Header=BB6_5404 Depth=2
	v_and_b32_e32 v7, 0x7f800000, v6
	v_mov_b32_e32 v8, v3
	v_cmp_ne_u64_e32 vcc, s[62:63], v[7:8]
                                        ; implicit-def: $vgpr49
	s_and_saveexec_b64 s[18:19], vcc
	s_xor_b64 s[20:21], exec, s[18:19]
	s_cbranch_execz .LBB6_5974
; %bb.5961:                             ;   in Loop: Header=BB6_5404 Depth=2
	v_and_b32_e32 v7, 0x7fffffff, v6
	v_mov_b32_e32 v8, v3
	v_cmp_gt_u64_e32 vcc, s[72:73], v[7:8]
	v_and_b32_sdwa v4, v6, s49 dst_sel:DWORD dst_unused:UNUSED_PAD src0_sel:BYTE_3 src1_sel:DWORD
                                        ; implicit-def: $vgpr49
	s_and_saveexec_b64 s[18:19], vcc
	s_xor_b64 s[90:91], exec, s[18:19]
	s_cbranch_execz .LBB6_5971
; %bb.5962:                             ;   in Loop: Header=BB6_5404 Depth=2
	v_mov_b32_e32 v49, 0
	v_cmp_ne_u32_e32 vcc, 0, v6
	s_and_saveexec_b64 s[92:93], vcc
	s_cbranch_execz .LBB6_5970
; %bb.5963:                             ;   in Loop: Header=BB6_5404 Depth=2
	v_and_b32_e32 v8, 0x7fffff, v6
	v_bfe_u32 v6, v6, 23, 8
	v_cmp_gt_u32_e64 s[18:19], s53, v6
	v_sub_u32_e32 v7, 0x79, v6
	v_cmp_eq_u32_e32 vcc, 0, v6
	v_cndmask_b32_e64 v7, 0, v7, s[18:19]
	v_mov_b32_e32 v30, 0x78
	v_cndmask_b32_e32 v7, v7, v30, vcc
	v_add_u32_e32 v30, 20, v7
	v_or_b32_e32 v9, 0x800000, v8
	v_lshlrev_b64 v[30:31], v30, -1
	v_add_u32_e32 v37, 19, v7
	v_cndmask_b32_e32 v8, v9, v8, vcc
	v_lshlrev_b64 v[48:49], v37, 1
	v_mov_b32_e32 v9, v3
	v_bfi_b32 v31, v31, 0, 0
	v_bfi_b32 v30, v30, 0, v8
	v_cmp_eq_u64_e64 s[18:19], v[30:31], v[48:49]
	v_lshrrev_b64 v[30:31], v7, v[8:9]
	v_mov_b32_e32 v49, v31
	v_mov_b32_e32 v48, v30
	s_and_saveexec_b64 s[94:95], s[18:19]
; %bb.5964:                             ;   in Loop: Header=BB6_5404 Depth=2
	v_bfe_u32 v8, v30, 20, 1
	v_add_co_u32_e64 v8, s[18:19], v30, v8
	v_add_co_u32_e64 v48, s[18:19], -1, v8
; %bb.5965:                             ;   in Loop: Header=BB6_5404 Depth=2
	s_or_b64 exec, exec, s[94:95]
	v_add_u32_e32 v6, 0xffffff81, v6
	v_cndmask_b32_e32 v6, v6, v59, vcc
	v_lshrrev_b32_e32 v8, 23, v30
	v_add3_u32 v8, v7, v6, v8
	v_add_u32_e32 v7, 6, v8
	v_and_b32_e32 v6, 0xfffff, v48
	v_add_u32_e32 v30, v6, v30
	v_mov_b32_e32 v31, v3
	v_cmp_ne_u32_e32 vcc, 0, v7
                                        ; implicit-def: $vgpr6
	s_and_saveexec_b64 s[18:19], vcc
	s_xor_b64 s[18:19], exec, s[18:19]
; %bb.5966:                             ;   in Loop: Header=BB6_5404 Depth=2
	v_cmp_lt_u64_e32 vcc, s[74:75], v[30:31]
	v_add_u32_e32 v6, 7, v8
	v_cndmask_b32_e32 v6, v7, v6, vcc
	v_cndmask_b32_e64 v7, 0, 1, vcc
	v_lshrrev_b64 v[30:31], v7, v[30:31]
; %bb.5967:                             ;   in Loop: Header=BB6_5404 Depth=2
	s_andn2_saveexec_b64 s[18:19], s[18:19]
; %bb.5968:                             ;   in Loop: Header=BB6_5404 Depth=2
	v_bfe_u32 v6, v30, 23, 1
; %bb.5969:                             ;   in Loop: Header=BB6_5404 Depth=2
	s_or_b64 exec, exec, s[18:19]
	v_lshrrev_b64 v[7:8], 20, v[30:31]
	v_cmp_gt_i32_e32 vcc, 16, v6
	v_cndmask_b32_e32 v8, 0, v8, vcc
	v_cndmask_b32_e32 v7, 7, v7, vcc
	v_cmp_eq_u32_e32 vcc, 0, v6
	v_min_i32_e32 v6, 15, v6
	v_cmp_eq_u64_e64 s[18:19], 0, v[7:8]
	v_lshlrev_b32_e32 v6, 3, v6
	v_and_b32_e32 v6, 0xf8, v6
	v_and_or_b32 v6, v7, 7, v6
	s_and_b64 s[18:19], vcc, s[18:19]
	v_cndmask_b32_e64 v6, v6, 0, s[18:19]
	v_or_b32_e32 v49, v6, v4
.LBB6_5970:                             ;   in Loop: Header=BB6_5404 Depth=2
	s_or_b64 exec, exec, s[92:93]
                                        ; implicit-def: $vgpr4
.LBB6_5971:                             ;   in Loop: Header=BB6_5404 Depth=2
	s_andn2_saveexec_b64 s[18:19], s[90:91]
; %bb.5972:                             ;   in Loop: Header=BB6_5404 Depth=2
	v_or_b32_e32 v49, 0x7e, v4
; %bb.5973:                             ;   in Loop: Header=BB6_5404 Depth=2
	s_or_b64 exec, exec, s[18:19]
                                        ; implicit-def: $vgpr6
.LBB6_5974:                             ;   in Loop: Header=BB6_5404 Depth=2
	s_andn2_saveexec_b64 s[18:19], s[20:21]
; %bb.5975:                             ;   in Loop: Header=BB6_5404 Depth=2
	v_or_b32_sdwa v49, v6, s51 dst_sel:DWORD dst_unused:UNUSED_PAD src0_sel:BYTE_3 src1_sel:DWORD
; %bb.5976:                             ;   in Loop: Header=BB6_5404 Depth=2
	s_or_b64 exec, exec, s[18:19]
	v_lshrrev_b16_e32 v48, 8, v2
	v_lshrrev_b16_e32 v37, 8, v36
	v_cmp_ne_u16_e64 s[18:19], 0, v48
	s_mov_b64 s[20:21], -1
	s_and_b64 vcc, exec, s[26:27]
                                        ; implicit-def: $vgpr6
	s_cbranch_vccz .LBB6_5990
; %bb.5977:                             ;   in Loop: Header=BB6_5404 Depth=2
	v_mov_b32_e32 v6, 0
	v_mov_b32_e32 v4, 0
	s_and_saveexec_b64 s[20:21], s[18:19]
	s_cbranch_execz .LBB6_5983
; %bb.5978:                             ;   in Loop: Header=BB6_5404 Depth=2
	v_cmp_ne_u16_e32 vcc, s49, v48
	v_bfrev_b32_e32 v4, 1
	s_and_saveexec_b64 s[90:91], vcc
	s_cbranch_execz .LBB6_5982
; %bb.5979:                             ;   in Loop: Header=BB6_5404 Depth=2
	v_and_b32_e32 v7, 0x7f, v48
	v_cmp_ne_u32_e32 vcc, s51, v7
	v_mov_b32_e32 v4, 0x7f800001
	s_and_saveexec_b64 s[92:93], vcc
	s_cbranch_execz .LBB6_5981
; %bb.5980:                             ;   in Loop: Header=BB6_5404 Depth=2
	v_and_b32_e32 v4, 7, v48
	v_lshrrev_b32_e32 v9, 3, v7
	v_cmp_gt_u32_e32 vcc, 8, v7
	v_ffbh_u32_e32 v7, v4
	v_min_u32_e32 v30, 32, v7
	v_subrev_u32_e32 v7, 28, v30
	v_lshlrev_b64 v[7:8], v7, v[48:49]
	v_sub_u32_e32 v8, 29, v30
	v_and_b32_e32 v7, 7, v7
	v_cndmask_b32_e32 v8, v9, v8, vcc
	v_cndmask_b32_e32 v4, v4, v7, vcc
	v_lshlrev_b32_e32 v7, 16, v2
	v_lshlrev_b32_e32 v4, 20, v4
	v_and_b32_e32 v7, 0x80000000, v7
	v_lshl_add_u32 v8, v8, 23, v5
	v_or3_b32 v4, v7, v8, v4
.LBB6_5981:                             ;   in Loop: Header=BB6_5404 Depth=2
	s_or_b64 exec, exec, s[92:93]
.LBB6_5982:                             ;   in Loop: Header=BB6_5404 Depth=2
	s_or_b64 exec, exec, s[90:91]
.LBB6_5983:                             ;   in Loop: Header=BB6_5404 Depth=2
	s_or_b64 exec, exec, s[20:21]
	v_cmp_ne_u16_e32 vcc, 0, v37
	s_and_saveexec_b64 s[20:21], vcc
	s_cbranch_execz .LBB6_5989
; %bb.5984:                             ;   in Loop: Header=BB6_5404 Depth=2
	v_cmp_ne_u16_e32 vcc, s49, v37
	v_bfrev_b32_e32 v6, 1
	s_and_saveexec_b64 s[90:91], vcc
	s_cbranch_execz .LBB6_5988
; %bb.5985:                             ;   in Loop: Header=BB6_5404 Depth=2
	v_and_b32_e32 v7, 0x7f, v37
	v_cmp_ne_u32_e32 vcc, s51, v7
	v_mov_b32_e32 v6, 0x7f800001
	s_and_saveexec_b64 s[92:93], vcc
	s_cbranch_execz .LBB6_5987
; %bb.5986:                             ;   in Loop: Header=BB6_5404 Depth=2
	v_and_b32_e32 v8, 7, v37
	v_ffbh_u32_e32 v6, v8
	v_min_u32_e32 v30, 32, v6
	v_subrev_u32_e32 v6, 28, v30
	v_lshrrev_b32_e32 v9, 3, v7
	v_cmp_gt_u32_e32 vcc, 8, v7
	v_lshlrev_b64 v[6:7], v6, v[37:38]
	v_sub_u32_e32 v7, 29, v30
	v_and_b32_e32 v6, 7, v6
	v_cndmask_b32_e32 v7, v9, v7, vcc
	v_cndmask_b32_e32 v6, v8, v6, vcc
	v_lshlrev_b32_e32 v8, 16, v36
	v_lshlrev_b32_e32 v6, 20, v6
	v_and_b32_e32 v8, 0x80000000, v8
	v_lshl_add_u32 v7, v7, 23, v5
	v_or3_b32 v6, v8, v7, v6
.LBB6_5987:                             ;   in Loop: Header=BB6_5404 Depth=2
	s_or_b64 exec, exec, s[92:93]
.LBB6_5988:                             ;   in Loop: Header=BB6_5404 Depth=2
	s_or_b64 exec, exec, s[90:91]
.LBB6_5989:                             ;   in Loop: Header=BB6_5404 Depth=2
	s_or_b64 exec, exec, s[20:21]
	v_max_f32_e32 v6, v6, v6
	v_max_f32_e32 v4, v4, v4
	;; [unrolled: 1-line block ×3, first 2 shown]
	s_mov_b64 s[20:21], 0
.LBB6_5990:                             ;   in Loop: Header=BB6_5404 Depth=2
	s_and_b64 vcc, exec, s[20:21]
	s_cbranch_vccz .LBB6_6004
; %bb.5991:                             ;   in Loop: Header=BB6_5404 Depth=2
	v_mov_b32_e32 v6, 0
	v_mov_b32_e32 v4, 0
	s_and_saveexec_b64 s[20:21], s[18:19]
	s_cbranch_execz .LBB6_5997
; %bb.5992:                             ;   in Loop: Header=BB6_5404 Depth=2
	v_cmp_ne_u16_e32 vcc, s49, v48
	v_bfrev_b32_e32 v4, 1
	s_and_saveexec_b64 s[18:19], vcc
	s_cbranch_execz .LBB6_5996
; %bb.5993:                             ;   in Loop: Header=BB6_5404 Depth=2
	v_and_b32_e32 v7, 0x7f, v48
	v_cmp_ne_u32_e32 vcc, s51, v7
	v_mov_b32_e32 v4, 0x7f800001
	s_and_saveexec_b64 s[90:91], vcc
	s_cbranch_execz .LBB6_5995
; %bb.5994:                             ;   in Loop: Header=BB6_5404 Depth=2
	v_and_b32_e32 v4, 7, v48
	v_lshrrev_b32_e32 v9, 3, v7
	v_cmp_gt_u32_e32 vcc, 8, v7
	v_ffbh_u32_e32 v7, v4
	v_min_u32_e32 v30, 32, v7
	v_subrev_u32_e32 v7, 28, v30
	v_lshlrev_b64 v[7:8], v7, v[48:49]
	v_sub_u32_e32 v8, 29, v30
	v_and_b32_e32 v7, 7, v7
	v_cndmask_b32_e32 v8, v9, v8, vcc
	v_cndmask_b32_e32 v4, v4, v7, vcc
	v_lshlrev_b32_e32 v2, 16, v2
	v_lshlrev_b32_e32 v4, 20, v4
	v_and_b32_e32 v2, 0x80000000, v2
	v_lshl_add_u32 v7, v8, 23, v5
	v_or3_b32 v4, v2, v7, v4
.LBB6_5995:                             ;   in Loop: Header=BB6_5404 Depth=2
	s_or_b64 exec, exec, s[90:91]
.LBB6_5996:                             ;   in Loop: Header=BB6_5404 Depth=2
	s_or_b64 exec, exec, s[18:19]
.LBB6_5997:                             ;   in Loop: Header=BB6_5404 Depth=2
	s_or_b64 exec, exec, s[20:21]
	v_cmp_ne_u16_e32 vcc, 0, v37
	s_and_saveexec_b64 s[18:19], vcc
	s_cbranch_execz .LBB6_6003
; %bb.5998:                             ;   in Loop: Header=BB6_5404 Depth=2
	v_cmp_ne_u16_e32 vcc, s49, v37
	v_bfrev_b32_e32 v6, 1
	s_and_saveexec_b64 s[20:21], vcc
	s_cbranch_execz .LBB6_6002
; %bb.5999:                             ;   in Loop: Header=BB6_5404 Depth=2
	v_and_b32_e32 v2, 0x7f, v37
	v_cmp_ne_u32_e32 vcc, s51, v2
	v_mov_b32_e32 v6, 0x7f800001
	s_and_saveexec_b64 s[90:91], vcc
	s_cbranch_execz .LBB6_6001
; %bb.6000:                             ;   in Loop: Header=BB6_5404 Depth=2
	v_and_b32_e32 v8, 7, v37
	v_lshrrev_b32_e32 v9, 3, v2
	v_cmp_gt_u32_e32 vcc, 8, v2
	v_ffbh_u32_e32 v2, v8
	v_min_u32_e32 v2, 32, v2
	v_subrev_u32_e32 v6, 28, v2
	v_lshlrev_b64 v[6:7], v6, v[37:38]
	v_sub_u32_e32 v2, 29, v2
	v_and_b32_e32 v6, 7, v6
	v_cndmask_b32_e32 v2, v9, v2, vcc
	v_cndmask_b32_e32 v6, v8, v6, vcc
	v_lshlrev_b32_e32 v7, 16, v36
	v_lshlrev_b32_e32 v6, 20, v6
	v_and_b32_e32 v7, 0x80000000, v7
	v_lshl_add_u32 v2, v2, 23, v5
	v_or3_b32 v6, v7, v2, v6
.LBB6_6001:                             ;   in Loop: Header=BB6_5404 Depth=2
	s_or_b64 exec, exec, s[90:91]
.LBB6_6002:                             ;   in Loop: Header=BB6_5404 Depth=2
	s_or_b64 exec, exec, s[20:21]
.LBB6_6003:                             ;   in Loop: Header=BB6_5404 Depth=2
	s_or_b64 exec, exec, s[18:19]
	v_max_f32_e32 v2, v6, v6
	v_max_f32_e32 v4, v4, v4
	v_min_f32_e32 v6, v4, v2
.LBB6_6004:                             ;   in Loop: Header=BB6_5404 Depth=2
	v_and_b32_e32 v2, 0x7f800000, v6
	v_cmp_ne_u64_e32 vcc, s[62:63], v[2:3]
                                        ; implicit-def: $vgpr48
	s_and_saveexec_b64 s[18:19], vcc
	s_xor_b64 s[20:21], exec, s[18:19]
	s_cbranch_execz .LBB6_6018
; %bb.6005:                             ;   in Loop: Header=BB6_5404 Depth=2
	v_and_b32_e32 v2, 0x7fffffff, v6
	v_cmp_gt_u64_e32 vcc, s[72:73], v[2:3]
	v_and_b32_sdwa v4, v6, s49 dst_sel:DWORD dst_unused:UNUSED_PAD src0_sel:BYTE_3 src1_sel:DWORD
                                        ; implicit-def: $vgpr48
	s_and_saveexec_b64 s[18:19], vcc
	s_xor_b64 s[90:91], exec, s[18:19]
	s_cbranch_execz .LBB6_6015
; %bb.6006:                             ;   in Loop: Header=BB6_5404 Depth=2
	v_mov_b32_e32 v48, 0
	v_cmp_ne_u32_e32 vcc, 0, v6
	s_and_saveexec_b64 s[92:93], vcc
	s_cbranch_execz .LBB6_6014
; %bb.6007:                             ;   in Loop: Header=BB6_5404 Depth=2
	v_and_b32_e32 v2, 0x7fffff, v6
	v_bfe_u32 v6, v6, 23, 8
	v_cmp_gt_u32_e64 s[18:19], s53, v6
	v_sub_u32_e32 v7, 0x79, v6
	v_cmp_eq_u32_e32 vcc, 0, v6
	v_cndmask_b32_e64 v7, 0, v7, s[18:19]
	v_mov_b32_e32 v9, 0x78
	v_or_b32_e32 v8, 0x800000, v2
	v_cndmask_b32_e32 v7, v7, v9, vcc
	v_cndmask_b32_e32 v2, v8, v2, vcc
	v_add_u32_e32 v8, 20, v7
	v_lshlrev_b64 v[8:9], v8, -1
	v_add_u32_e32 v30, 19, v7
	v_lshlrev_b64 v[30:31], v30, 1
	v_bfi_b32 v9, v9, 0, 0
	v_bfi_b32 v8, v8, 0, v2
	v_cmp_eq_u64_e64 s[18:19], v[8:9], v[30:31]
	v_lshrrev_b64 v[30:31], v7, v[2:3]
	v_mov_b32_e32 v37, v31
	v_mov_b32_e32 v36, v30
	s_and_saveexec_b64 s[94:95], s[18:19]
; %bb.6008:                             ;   in Loop: Header=BB6_5404 Depth=2
	v_bfe_u32 v2, v30, 20, 1
	v_add_co_u32_e64 v2, s[18:19], v30, v2
	v_add_co_u32_e64 v36, s[18:19], -1, v2
; %bb.6009:                             ;   in Loop: Header=BB6_5404 Depth=2
	s_or_b64 exec, exec, s[94:95]
	v_add_u32_e32 v2, 0xffffff81, v6
	v_cndmask_b32_e32 v2, v2, v59, vcc
	v_lshrrev_b32_e32 v6, 23, v30
	v_add3_u32 v8, v7, v2, v6
	v_add_u32_e32 v7, 6, v8
	v_and_b32_e32 v2, 0xfffff, v36
	v_add_u32_e32 v2, v2, v30
	v_cmp_ne_u32_e32 vcc, 0, v7
                                        ; implicit-def: $vgpr30_vgpr31
                                        ; implicit-def: $vgpr6
	s_and_saveexec_b64 s[18:19], vcc
	s_xor_b64 s[18:19], exec, s[18:19]
; %bb.6010:                             ;   in Loop: Header=BB6_5404 Depth=2
	v_cmp_lt_u64_e32 vcc, s[74:75], v[2:3]
	v_add_u32_e32 v6, 7, v8
	v_cndmask_b32_e32 v6, v7, v6, vcc
	v_cndmask_b32_e64 v7, 0, 1, vcc
	v_lshrrev_b64 v[30:31], v7, v[2:3]
; %bb.6011:                             ;   in Loop: Header=BB6_5404 Depth=2
	s_andn2_saveexec_b64 s[18:19], s[18:19]
; %bb.6012:                             ;   in Loop: Header=BB6_5404 Depth=2
	v_mov_b32_e32 v31, v3
	v_bfe_u32 v6, v2, 23, 1
	v_mov_b32_e32 v30, v2
; %bb.6013:                             ;   in Loop: Header=BB6_5404 Depth=2
	s_or_b64 exec, exec, s[18:19]
	v_lshrrev_b64 v[7:8], 20, v[30:31]
	v_cmp_gt_i32_e32 vcc, 16, v6
	v_cndmask_b32_e32 v8, 0, v8, vcc
	v_cndmask_b32_e32 v7, 7, v7, vcc
	v_min_i32_e32 v2, 15, v6
	v_cmp_eq_u64_e64 s[18:19], 0, v[7:8]
	v_lshlrev_b32_e32 v2, 3, v2
	v_cmp_eq_u32_e32 vcc, 0, v6
	v_and_b32_e32 v2, 0xf8, v2
	v_and_or_b32 v2, v7, 7, v2
	s_and_b64 s[18:19], vcc, s[18:19]
	v_cndmask_b32_e64 v2, v2, 0, s[18:19]
	v_or_b32_e32 v48, v2, v4
.LBB6_6014:                             ;   in Loop: Header=BB6_5404 Depth=2
	s_or_b64 exec, exec, s[92:93]
                                        ; implicit-def: $vgpr4
.LBB6_6015:                             ;   in Loop: Header=BB6_5404 Depth=2
	s_andn2_saveexec_b64 s[18:19], s[90:91]
; %bb.6016:                             ;   in Loop: Header=BB6_5404 Depth=2
	v_or_b32_e32 v48, 0x7e, v4
; %bb.6017:                             ;   in Loop: Header=BB6_5404 Depth=2
	s_or_b64 exec, exec, s[18:19]
                                        ; implicit-def: $vgpr6
.LBB6_6018:                             ;   in Loop: Header=BB6_5404 Depth=2
	s_andn2_saveexec_b64 s[18:19], s[20:21]
; %bb.6019:                             ;   in Loop: Header=BB6_5404 Depth=2
	v_or_b32_sdwa v48, v6, s51 dst_sel:DWORD dst_unused:UNUSED_PAD src0_sel:BYTE_3 src1_sel:DWORD
; %bb.6020:                             ;   in Loop: Header=BB6_5404 Depth=2
	s_or_b64 exec, exec, s[18:19]
	v_lshrrev_b32_e32 v36, 16, v51
	v_lshrrev_b32_e32 v2, 16, v39
	v_cmp_ne_u16_sdwa s[18:19], v36, v3 src0_sel:BYTE_0 src1_sel:DWORD
	s_mov_b64 s[20:21], -1
	s_and_b64 vcc, exec, s[26:27]
                                        ; implicit-def: $vgpr6
	s_cbranch_vccz .LBB6_6034
; %bb.6021:                             ;   in Loop: Header=BB6_5404 Depth=2
	v_mov_b32_e32 v6, 0
	v_mov_b32_e32 v4, 0
	s_and_saveexec_b64 s[20:21], s[18:19]
	s_cbranch_execz .LBB6_6027
; %bb.6022:                             ;   in Loop: Header=BB6_5404 Depth=2
	v_cmp_ne_u16_sdwa s[92:93], v36, s49 src0_sel:BYTE_0 src1_sel:DWORD
	v_bfrev_b32_e32 v4, 1
	s_and_saveexec_b64 s[90:91], s[92:93]
	s_cbranch_execz .LBB6_6026
; %bb.6023:                             ;   in Loop: Header=BB6_5404 Depth=2
	v_bfe_u32 v7, v51, 16, 7
	v_cmp_ne_u32_e32 vcc, s51, v7
	v_mov_b32_e32 v4, 0x7f800001
	s_and_saveexec_b64 s[92:93], vcc
	s_cbranch_execz .LBB6_6025
; %bb.6024:                             ;   in Loop: Header=BB6_5404 Depth=2
	v_and_b32_e32 v4, 7, v36
	v_lshrrev_b32_e32 v9, 3, v7
	v_cmp_gt_u32_e32 vcc, 8, v7
	v_ffbh_u32_e32 v7, v4
	v_min_u32_e32 v30, 32, v7
	v_subrev_u32_e32 v7, 28, v30
	v_lshlrev_b64 v[7:8], v7, v[36:37]
	v_sub_u32_e32 v8, 29, v30
	v_and_b32_e32 v7, 7, v7
	v_cndmask_b32_e32 v8, v9, v8, vcc
	v_cndmask_b32_e32 v4, v4, v7, vcc
	v_lshlrev_b32_e32 v7, 24, v36
	v_lshlrev_b32_e32 v4, 20, v4
	v_and_b32_e32 v7, 0x80000000, v7
	v_lshl_add_u32 v8, v8, 23, v5
	v_or3_b32 v4, v7, v8, v4
.LBB6_6025:                             ;   in Loop: Header=BB6_5404 Depth=2
	s_or_b64 exec, exec, s[92:93]
.LBB6_6026:                             ;   in Loop: Header=BB6_5404 Depth=2
	s_or_b64 exec, exec, s[90:91]
.LBB6_6027:                             ;   in Loop: Header=BB6_5404 Depth=2
	s_or_b64 exec, exec, s[20:21]
	v_cmp_ne_u16_sdwa s[90:91], v2, v3 src0_sel:BYTE_0 src1_sel:DWORD
	s_and_saveexec_b64 s[20:21], s[90:91]
	s_cbranch_execz .LBB6_6033
; %bb.6028:                             ;   in Loop: Header=BB6_5404 Depth=2
	v_cmp_ne_u16_sdwa s[92:93], v2, s49 src0_sel:BYTE_0 src1_sel:DWORD
	v_bfrev_b32_e32 v6, 1
	s_and_saveexec_b64 s[90:91], s[92:93]
	s_cbranch_execz .LBB6_6032
; %bb.6029:                             ;   in Loop: Header=BB6_5404 Depth=2
	v_bfe_u32 v7, v39, 16, 7
	v_cmp_ne_u32_e32 vcc, s51, v7
	v_mov_b32_e32 v6, 0x7f800001
	s_and_saveexec_b64 s[92:93], vcc
	s_cbranch_execz .LBB6_6031
; %bb.6030:                             ;   in Loop: Header=BB6_5404 Depth=2
	v_and_b32_e32 v8, 7, v2
	v_ffbh_u32_e32 v6, v8
	v_min_u32_e32 v30, 32, v6
	v_subrev_u32_e32 v6, 28, v30
	v_lshrrev_b32_e32 v9, 3, v7
	v_cmp_gt_u32_e32 vcc, 8, v7
	v_lshlrev_b64 v[6:7], v6, v[2:3]
	v_sub_u32_e32 v7, 29, v30
	v_and_b32_e32 v6, 7, v6
	v_cndmask_b32_e32 v7, v9, v7, vcc
	v_cndmask_b32_e32 v6, v8, v6, vcc
	v_lshlrev_b32_e32 v8, 24, v2
	v_lshlrev_b32_e32 v6, 20, v6
	v_and_b32_e32 v8, 0x80000000, v8
	v_lshl_add_u32 v7, v7, 23, v5
	v_or3_b32 v6, v8, v7, v6
.LBB6_6031:                             ;   in Loop: Header=BB6_5404 Depth=2
	s_or_b64 exec, exec, s[92:93]
.LBB6_6032:                             ;   in Loop: Header=BB6_5404 Depth=2
	s_or_b64 exec, exec, s[90:91]
.LBB6_6033:                             ;   in Loop: Header=BB6_5404 Depth=2
	s_or_b64 exec, exec, s[20:21]
	v_max_f32_e32 v6, v6, v6
	v_max_f32_e32 v4, v4, v4
	;; [unrolled: 1-line block ×3, first 2 shown]
	s_mov_b64 s[20:21], 0
.LBB6_6034:                             ;   in Loop: Header=BB6_5404 Depth=2
	s_and_b64 vcc, exec, s[20:21]
	s_cbranch_vccz .LBB6_6048
; %bb.6035:                             ;   in Loop: Header=BB6_5404 Depth=2
	v_mov_b32_e32 v6, 0
	v_mov_b32_e32 v4, 0
	s_and_saveexec_b64 s[20:21], s[18:19]
	s_cbranch_execz .LBB6_6041
; %bb.6036:                             ;   in Loop: Header=BB6_5404 Depth=2
	v_cmp_ne_u16_sdwa s[90:91], v36, s49 src0_sel:BYTE_0 src1_sel:DWORD
	v_bfrev_b32_e32 v4, 1
	s_and_saveexec_b64 s[18:19], s[90:91]
	s_cbranch_execz .LBB6_6040
; %bb.6037:                             ;   in Loop: Header=BB6_5404 Depth=2
	v_bfe_u32 v7, v51, 16, 7
	v_cmp_ne_u32_e32 vcc, s51, v7
	v_mov_b32_e32 v4, 0x7f800001
	s_and_saveexec_b64 s[90:91], vcc
	s_cbranch_execz .LBB6_6039
; %bb.6038:                             ;   in Loop: Header=BB6_5404 Depth=2
	v_and_b32_e32 v4, 7, v36
	v_lshrrev_b32_e32 v9, 3, v7
	v_cmp_gt_u32_e32 vcc, 8, v7
	v_ffbh_u32_e32 v7, v4
	v_min_u32_e32 v30, 32, v7
	v_subrev_u32_e32 v7, 28, v30
	v_lshlrev_b64 v[7:8], v7, v[36:37]
	v_sub_u32_e32 v8, 29, v30
	v_and_b32_e32 v7, 7, v7
	v_cndmask_b32_e32 v8, v9, v8, vcc
	v_cndmask_b32_e32 v4, v4, v7, vcc
	v_lshlrev_b32_e32 v7, 24, v36
	v_lshlrev_b32_e32 v4, 20, v4
	v_and_b32_e32 v7, 0x80000000, v7
	v_lshl_add_u32 v8, v8, 23, v5
	v_or3_b32 v4, v7, v8, v4
.LBB6_6039:                             ;   in Loop: Header=BB6_5404 Depth=2
	s_or_b64 exec, exec, s[90:91]
.LBB6_6040:                             ;   in Loop: Header=BB6_5404 Depth=2
	s_or_b64 exec, exec, s[18:19]
.LBB6_6041:                             ;   in Loop: Header=BB6_5404 Depth=2
	s_or_b64 exec, exec, s[20:21]
	v_cmp_ne_u16_sdwa s[20:21], v2, v3 src0_sel:BYTE_0 src1_sel:DWORD
	s_and_saveexec_b64 s[18:19], s[20:21]
	s_cbranch_execz .LBB6_6047
; %bb.6042:                             ;   in Loop: Header=BB6_5404 Depth=2
	v_cmp_ne_u16_sdwa s[90:91], v2, s49 src0_sel:BYTE_0 src1_sel:DWORD
	v_bfrev_b32_e32 v6, 1
	s_and_saveexec_b64 s[20:21], s[90:91]
	s_cbranch_execz .LBB6_6046
; %bb.6043:                             ;   in Loop: Header=BB6_5404 Depth=2
	v_bfe_u32 v7, v39, 16, 7
	v_cmp_ne_u32_e32 vcc, s51, v7
	v_mov_b32_e32 v6, 0x7f800001
	s_and_saveexec_b64 s[90:91], vcc
	s_cbranch_execz .LBB6_6045
; %bb.6044:                             ;   in Loop: Header=BB6_5404 Depth=2
	v_and_b32_e32 v8, 7, v2
	v_ffbh_u32_e32 v6, v8
	v_min_u32_e32 v30, 32, v6
	v_subrev_u32_e32 v6, 28, v30
	v_lshrrev_b32_e32 v9, 3, v7
	v_cmp_gt_u32_e32 vcc, 8, v7
	v_lshlrev_b64 v[6:7], v6, v[2:3]
	v_sub_u32_e32 v7, 29, v30
	v_and_b32_e32 v6, 7, v6
	v_cndmask_b32_e32 v7, v9, v7, vcc
	v_cndmask_b32_e32 v6, v8, v6, vcc
	v_lshlrev_b32_e32 v2, 24, v2
	v_lshlrev_b32_e32 v6, 20, v6
	v_and_b32_e32 v2, 0x80000000, v2
	v_lshl_add_u32 v7, v7, 23, v5
	v_or3_b32 v6, v2, v7, v6
.LBB6_6045:                             ;   in Loop: Header=BB6_5404 Depth=2
	s_or_b64 exec, exec, s[90:91]
.LBB6_6046:                             ;   in Loop: Header=BB6_5404 Depth=2
	s_or_b64 exec, exec, s[20:21]
.LBB6_6047:                             ;   in Loop: Header=BB6_5404 Depth=2
	s_or_b64 exec, exec, s[18:19]
	v_max_f32_e32 v2, v6, v6
	v_max_f32_e32 v4, v4, v4
	v_min_f32_e32 v6, v4, v2
.LBB6_6048:                             ;   in Loop: Header=BB6_5404 Depth=2
	v_and_b32_e32 v2, 0x7f800000, v6
	v_cmp_ne_u64_e32 vcc, s[62:63], v[2:3]
                                        ; implicit-def: $vgpr2
                                        ; kill: killed $vgpr2
	s_and_saveexec_b64 s[18:19], vcc
	s_xor_b64 s[20:21], exec, s[18:19]
	s_cbranch_execz .LBB6_6062
; %bb.6049:                             ;   in Loop: Header=BB6_5404 Depth=2
	v_and_b32_e32 v2, 0x7fffffff, v6
	v_cmp_gt_u64_e32 vcc, s[72:73], v[2:3]
	v_and_b32_sdwa v4, v6, s49 dst_sel:DWORD dst_unused:UNUSED_PAD src0_sel:BYTE_3 src1_sel:DWORD
                                        ; implicit-def: $vgpr2
                                        ; kill: killed $vgpr2
	s_and_saveexec_b64 s[18:19], vcc
	s_xor_b64 s[90:91], exec, s[18:19]
	s_cbranch_execz .LBB6_6059
; %bb.6050:                             ;   in Loop: Header=BB6_5404 Depth=2
	v_mov_b32_e32 v2, 0
	v_cmp_ne_u32_e32 vcc, 0, v6
	buffer_store_dword v2, off, s[0:3], s33 offset:112 ; 4-byte Folded Spill
	s_and_saveexec_b64 s[92:93], vcc
	s_cbranch_execz .LBB6_6058
; %bb.6051:                             ;   in Loop: Header=BB6_5404 Depth=2
	v_and_b32_e32 v2, 0x7fffff, v6
	v_bfe_u32 v6, v6, 23, 8
	v_cmp_gt_u32_e64 s[18:19], s53, v6
	v_sub_u32_e32 v7, 0x79, v6
	v_cmp_eq_u32_e32 vcc, 0, v6
	v_cndmask_b32_e64 v7, 0, v7, s[18:19]
	v_mov_b32_e32 v9, 0x78
	v_or_b32_e32 v8, 0x800000, v2
	v_cndmask_b32_e32 v7, v7, v9, vcc
	v_cndmask_b32_e32 v2, v8, v2, vcc
	v_add_u32_e32 v8, 20, v7
	v_lshlrev_b64 v[8:9], v8, -1
	v_add_u32_e32 v30, 19, v7
	v_lshlrev_b64 v[30:31], v30, 1
	v_bfi_b32 v9, v9, 0, 0
	v_bfi_b32 v8, v8, 0, v2
	v_cmp_eq_u64_e64 s[18:19], v[8:9], v[30:31]
	v_lshrrev_b64 v[30:31], v7, v[2:3]
	v_mov_b32_e32 v37, v31
	v_mov_b32_e32 v36, v30
	s_and_saveexec_b64 s[94:95], s[18:19]
; %bb.6052:                             ;   in Loop: Header=BB6_5404 Depth=2
	v_bfe_u32 v2, v30, 20, 1
	v_add_co_u32_e64 v2, s[18:19], v30, v2
	v_add_co_u32_e64 v36, s[18:19], -1, v2
; %bb.6053:                             ;   in Loop: Header=BB6_5404 Depth=2
	s_or_b64 exec, exec, s[94:95]
	v_add_u32_e32 v2, 0xffffff81, v6
	v_cndmask_b32_e32 v2, v2, v59, vcc
	v_lshrrev_b32_e32 v6, 23, v30
	v_add3_u32 v8, v7, v2, v6
	v_add_u32_e32 v7, 6, v8
	v_and_b32_e32 v2, 0xfffff, v36
	v_add_u32_e32 v2, v2, v30
	v_cmp_ne_u32_e32 vcc, 0, v7
                                        ; implicit-def: $vgpr30_vgpr31
                                        ; implicit-def: $vgpr6
	s_and_saveexec_b64 s[18:19], vcc
	s_xor_b64 s[18:19], exec, s[18:19]
; %bb.6054:                             ;   in Loop: Header=BB6_5404 Depth=2
	v_cmp_lt_u64_e32 vcc, s[74:75], v[2:3]
	v_add_u32_e32 v6, 7, v8
	v_cndmask_b32_e32 v6, v7, v6, vcc
	v_cndmask_b32_e64 v7, 0, 1, vcc
	v_lshrrev_b64 v[30:31], v7, v[2:3]
; %bb.6055:                             ;   in Loop: Header=BB6_5404 Depth=2
	s_andn2_saveexec_b64 s[18:19], s[18:19]
; %bb.6056:                             ;   in Loop: Header=BB6_5404 Depth=2
	v_mov_b32_e32 v31, v3
	v_bfe_u32 v6, v2, 23, 1
	v_mov_b32_e32 v30, v2
; %bb.6057:                             ;   in Loop: Header=BB6_5404 Depth=2
	s_or_b64 exec, exec, s[18:19]
	v_lshrrev_b64 v[7:8], 20, v[30:31]
	v_cmp_gt_i32_e32 vcc, 16, v6
	v_cndmask_b32_e32 v8, 0, v8, vcc
	v_cndmask_b32_e32 v7, 7, v7, vcc
	v_min_i32_e32 v2, 15, v6
	v_cmp_eq_u64_e64 s[18:19], 0, v[7:8]
	v_lshlrev_b32_e32 v2, 3, v2
	v_cmp_eq_u32_e32 vcc, 0, v6
	v_and_b32_e32 v2, 0xf8, v2
	v_and_or_b32 v2, v7, 7, v2
	s_and_b64 s[18:19], vcc, s[18:19]
	v_cndmask_b32_e64 v2, v2, 0, s[18:19]
	v_or_b32_e32 v2, v2, v4
	buffer_store_dword v2, off, s[0:3], s33 offset:112 ; 4-byte Folded Spill
.LBB6_6058:                             ;   in Loop: Header=BB6_5404 Depth=2
	s_or_b64 exec, exec, s[92:93]
                                        ; implicit-def: $vgpr4
.LBB6_6059:                             ;   in Loop: Header=BB6_5404 Depth=2
	s_andn2_saveexec_b64 s[18:19], s[90:91]
	s_cbranch_execz .LBB6_6061
; %bb.6060:                             ;   in Loop: Header=BB6_5404 Depth=2
	v_or_b32_e32 v2, 0x7e, v4
	buffer_store_dword v2, off, s[0:3], s33 offset:112 ; 4-byte Folded Spill
.LBB6_6061:                             ;   in Loop: Header=BB6_5404 Depth=2
	s_or_b64 exec, exec, s[18:19]
                                        ; implicit-def: $vgpr6
.LBB6_6062:                             ;   in Loop: Header=BB6_5404 Depth=2
	s_andn2_saveexec_b64 s[18:19], s[20:21]
	s_cbranch_execz .LBB6_6064
; %bb.6063:                             ;   in Loop: Header=BB6_5404 Depth=2
	v_or_b32_sdwa v2, v6, s51 dst_sel:DWORD dst_unused:UNUSED_PAD src0_sel:BYTE_3 src1_sel:DWORD
	buffer_store_dword v2, off, s[0:3], s33 offset:112 ; 4-byte Folded Spill
.LBB6_6064:                             ;   in Loop: Header=BB6_5404 Depth=2
	s_or_b64 exec, exec, s[18:19]
	v_cmp_lt_u64_e64 s[18:19], s[76:77], v[50:51]
	v_lshrrev_b32_e32 v36, 24, v51
	v_lshrrev_b32_e32 v2, 24, v39
	s_mov_b64 s[20:21], -1
	s_and_b64 vcc, exec, s[26:27]
                                        ; implicit-def: $vgpr6
	s_cbranch_vccz .LBB6_6078
; %bb.6065:                             ;   in Loop: Header=BB6_5404 Depth=2
	v_mov_b32_e32 v6, 0
	v_mov_b32_e32 v4, 0
	s_and_saveexec_b64 s[20:21], s[18:19]
	s_cbranch_execz .LBB6_6071
; %bb.6066:                             ;   in Loop: Header=BB6_5404 Depth=2
	v_cmp_ne_u32_e32 vcc, s49, v36
	v_bfrev_b32_e32 v4, 1
	s_and_saveexec_b64 s[90:91], vcc
	s_cbranch_execz .LBB6_6070
; %bb.6067:                             ;   in Loop: Header=BB6_5404 Depth=2
	v_bfe_u32 v7, v51, 24, 7
	v_cmp_ne_u32_e32 vcc, s51, v7
	v_mov_b32_e32 v4, 0x7f800001
	s_and_saveexec_b64 s[92:93], vcc
	s_cbranch_execz .LBB6_6069
; %bb.6068:                             ;   in Loop: Header=BB6_5404 Depth=2
	v_and_b32_e32 v4, 7, v36
	v_lshrrev_b32_e32 v9, 3, v7
	v_cmp_gt_u32_e32 vcc, 8, v7
	v_ffbh_u32_e32 v7, v4
	v_min_u32_e32 v30, 32, v7
	v_subrev_u32_e32 v7, 28, v30
	v_lshlrev_b64 v[7:8], v7, v[36:37]
	v_sub_u32_e32 v8, 29, v30
	v_and_b32_e32 v7, 7, v7
	v_cndmask_b32_e32 v8, v9, v8, vcc
	v_cndmask_b32_e32 v4, v4, v7, vcc
	v_lshlrev_b32_e32 v7, 24, v36
	v_lshlrev_b32_e32 v4, 20, v4
	v_and_b32_e32 v7, 0x80000000, v7
	v_lshl_add_u32 v8, v8, 23, v5
	v_or3_b32 v4, v7, v8, v4
.LBB6_6069:                             ;   in Loop: Header=BB6_5404 Depth=2
	s_or_b64 exec, exec, s[92:93]
.LBB6_6070:                             ;   in Loop: Header=BB6_5404 Depth=2
	s_or_b64 exec, exec, s[90:91]
.LBB6_6071:                             ;   in Loop: Header=BB6_5404 Depth=2
	s_or_b64 exec, exec, s[20:21]
	v_cmp_lt_u64_e32 vcc, s[76:77], v[38:39]
	s_and_saveexec_b64 s[20:21], vcc
	s_cbranch_execz .LBB6_6077
; %bb.6072:                             ;   in Loop: Header=BB6_5404 Depth=2
	v_cmp_ne_u32_e32 vcc, s49, v2
	v_bfrev_b32_e32 v6, 1
	s_and_saveexec_b64 s[90:91], vcc
	s_cbranch_execz .LBB6_6076
; %bb.6073:                             ;   in Loop: Header=BB6_5404 Depth=2
	v_bfe_u32 v7, v39, 24, 7
	v_cmp_ne_u32_e32 vcc, s51, v7
	v_mov_b32_e32 v6, 0x7f800001
	s_and_saveexec_b64 s[92:93], vcc
	s_cbranch_execz .LBB6_6075
; %bb.6074:                             ;   in Loop: Header=BB6_5404 Depth=2
	v_and_b32_e32 v8, 7, v2
	v_ffbh_u32_e32 v6, v8
	v_min_u32_e32 v30, 32, v6
	v_subrev_u32_e32 v6, 28, v30
	v_lshrrev_b32_e32 v9, 3, v7
	v_cmp_gt_u32_e32 vcc, 8, v7
	v_lshlrev_b64 v[6:7], v6, v[2:3]
	v_sub_u32_e32 v7, 29, v30
	v_and_b32_e32 v6, 7, v6
	v_cndmask_b32_e32 v7, v9, v7, vcc
	v_cndmask_b32_e32 v6, v8, v6, vcc
	v_lshlrev_b32_e32 v8, 24, v2
	v_lshlrev_b32_e32 v6, 20, v6
	v_and_b32_e32 v8, 0x80000000, v8
	v_lshl_add_u32 v7, v7, 23, v5
	v_or3_b32 v6, v8, v7, v6
.LBB6_6075:                             ;   in Loop: Header=BB6_5404 Depth=2
	s_or_b64 exec, exec, s[92:93]
.LBB6_6076:                             ;   in Loop: Header=BB6_5404 Depth=2
	s_or_b64 exec, exec, s[90:91]
.LBB6_6077:                             ;   in Loop: Header=BB6_5404 Depth=2
	s_or_b64 exec, exec, s[20:21]
	v_max_f32_e32 v6, v6, v6
	v_max_f32_e32 v4, v4, v4
	;; [unrolled: 1-line block ×3, first 2 shown]
	s_mov_b64 s[20:21], 0
.LBB6_6078:                             ;   in Loop: Header=BB6_5404 Depth=2
	s_and_b64 vcc, exec, s[20:21]
	s_cbranch_vccz .LBB6_6092
; %bb.6079:                             ;   in Loop: Header=BB6_5404 Depth=2
	v_mov_b32_e32 v6, 0
	v_mov_b32_e32 v4, 0
	s_and_saveexec_b64 s[20:21], s[18:19]
	s_cbranch_execz .LBB6_6085
; %bb.6080:                             ;   in Loop: Header=BB6_5404 Depth=2
	v_cmp_ne_u32_e32 vcc, s49, v36
	v_bfrev_b32_e32 v4, 1
	s_and_saveexec_b64 s[18:19], vcc
	s_cbranch_execz .LBB6_6084
; %bb.6081:                             ;   in Loop: Header=BB6_5404 Depth=2
	v_bfe_u32 v7, v51, 24, 7
	v_cmp_ne_u32_e32 vcc, s51, v7
	v_mov_b32_e32 v4, 0x7f800001
	s_and_saveexec_b64 s[90:91], vcc
	s_cbranch_execz .LBB6_6083
; %bb.6082:                             ;   in Loop: Header=BB6_5404 Depth=2
	v_and_b32_e32 v4, 7, v36
	v_lshrrev_b32_e32 v9, 3, v7
	v_cmp_gt_u32_e32 vcc, 8, v7
	v_ffbh_u32_e32 v7, v4
	v_min_u32_e32 v30, 32, v7
	v_subrev_u32_e32 v7, 28, v30
	v_lshlrev_b64 v[7:8], v7, v[36:37]
	v_sub_u32_e32 v8, 29, v30
	v_and_b32_e32 v7, 7, v7
	v_cndmask_b32_e32 v8, v9, v8, vcc
	v_cndmask_b32_e32 v4, v4, v7, vcc
	v_lshlrev_b32_e32 v7, 24, v36
	v_lshlrev_b32_e32 v4, 20, v4
	v_and_b32_e32 v7, 0x80000000, v7
	v_lshl_add_u32 v8, v8, 23, v5
	v_or3_b32 v4, v7, v8, v4
.LBB6_6083:                             ;   in Loop: Header=BB6_5404 Depth=2
	s_or_b64 exec, exec, s[90:91]
.LBB6_6084:                             ;   in Loop: Header=BB6_5404 Depth=2
	s_or_b64 exec, exec, s[18:19]
.LBB6_6085:                             ;   in Loop: Header=BB6_5404 Depth=2
	s_or_b64 exec, exec, s[20:21]
	v_cmp_lt_u64_e32 vcc, s[76:77], v[38:39]
	s_and_saveexec_b64 s[18:19], vcc
	s_cbranch_execz .LBB6_6091
; %bb.6086:                             ;   in Loop: Header=BB6_5404 Depth=2
	v_cmp_ne_u32_e32 vcc, s49, v2
	v_bfrev_b32_e32 v6, 1
	s_and_saveexec_b64 s[20:21], vcc
	s_cbranch_execz .LBB6_6090
; %bb.6087:                             ;   in Loop: Header=BB6_5404 Depth=2
	v_bfe_u32 v7, v39, 24, 7
	v_cmp_ne_u32_e32 vcc, s51, v7
	v_mov_b32_e32 v6, 0x7f800001
	s_and_saveexec_b64 s[90:91], vcc
	s_cbranch_execz .LBB6_6089
; %bb.6088:                             ;   in Loop: Header=BB6_5404 Depth=2
	v_and_b32_e32 v8, 7, v2
	v_ffbh_u32_e32 v6, v8
	v_min_u32_e32 v30, 32, v6
	v_subrev_u32_e32 v6, 28, v30
	v_lshrrev_b32_e32 v9, 3, v7
	v_cmp_gt_u32_e32 vcc, 8, v7
	v_lshlrev_b64 v[6:7], v6, v[2:3]
	v_sub_u32_e32 v7, 29, v30
	v_and_b32_e32 v6, 7, v6
	v_cndmask_b32_e32 v7, v9, v7, vcc
	v_cndmask_b32_e32 v6, v8, v6, vcc
	v_lshlrev_b32_e32 v2, 24, v2
	v_lshlrev_b32_e32 v6, 20, v6
	v_and_b32_e32 v2, 0x80000000, v2
	v_lshl_add_u32 v7, v7, 23, v5
	v_or3_b32 v6, v2, v7, v6
.LBB6_6089:                             ;   in Loop: Header=BB6_5404 Depth=2
	s_or_b64 exec, exec, s[90:91]
.LBB6_6090:                             ;   in Loop: Header=BB6_5404 Depth=2
	s_or_b64 exec, exec, s[20:21]
.LBB6_6091:                             ;   in Loop: Header=BB6_5404 Depth=2
	s_or_b64 exec, exec, s[18:19]
	v_max_f32_e32 v2, v6, v6
	v_max_f32_e32 v4, v4, v4
	v_min_f32_e32 v6, v4, v2
.LBB6_6092:                             ;   in Loop: Header=BB6_5404 Depth=2
	v_and_b32_e32 v2, 0x7f800000, v6
	v_cmp_ne_u64_e32 vcc, s[62:63], v[2:3]
                                        ; implicit-def: $vgpr50
	s_and_saveexec_b64 s[18:19], vcc
	s_xor_b64 s[20:21], exec, s[18:19]
	s_cbranch_execz .LBB6_6106
; %bb.6093:                             ;   in Loop: Header=BB6_5404 Depth=2
	v_and_b32_e32 v2, 0x7fffffff, v6
	v_cmp_gt_u64_e32 vcc, s[72:73], v[2:3]
	v_and_b32_sdwa v4, v6, s49 dst_sel:DWORD dst_unused:UNUSED_PAD src0_sel:BYTE_3 src1_sel:DWORD
                                        ; implicit-def: $vgpr50
	s_and_saveexec_b64 s[18:19], vcc
	s_xor_b64 s[90:91], exec, s[18:19]
	s_cbranch_execz .LBB6_6103
; %bb.6094:                             ;   in Loop: Header=BB6_5404 Depth=2
	v_mov_b32_e32 v50, 0
	v_cmp_ne_u32_e32 vcc, 0, v6
	s_and_saveexec_b64 s[92:93], vcc
	s_cbranch_execz .LBB6_6102
; %bb.6095:                             ;   in Loop: Header=BB6_5404 Depth=2
	v_and_b32_e32 v2, 0x7fffff, v6
	v_bfe_u32 v6, v6, 23, 8
	v_cmp_gt_u32_e64 s[18:19], s53, v6
	v_sub_u32_e32 v7, 0x79, v6
	v_cmp_eq_u32_e32 vcc, 0, v6
	v_cndmask_b32_e64 v7, 0, v7, s[18:19]
	v_mov_b32_e32 v9, 0x78
	v_or_b32_e32 v8, 0x800000, v2
	v_cndmask_b32_e32 v7, v7, v9, vcc
	v_cndmask_b32_e32 v2, v8, v2, vcc
	v_add_u32_e32 v8, 20, v7
	v_lshlrev_b64 v[8:9], v8, -1
	v_add_u32_e32 v30, 19, v7
	v_lshlrev_b64 v[30:31], v30, 1
	v_bfi_b32 v9, v9, 0, 0
	v_bfi_b32 v8, v8, 0, v2
	v_cmp_eq_u64_e64 s[18:19], v[8:9], v[30:31]
	v_lshrrev_b64 v[30:31], v7, v[2:3]
	v_mov_b32_e32 v37, v31
	v_mov_b32_e32 v36, v30
	s_and_saveexec_b64 s[94:95], s[18:19]
; %bb.6096:                             ;   in Loop: Header=BB6_5404 Depth=2
	v_bfe_u32 v2, v30, 20, 1
	v_add_co_u32_e64 v2, s[18:19], v30, v2
	v_add_co_u32_e64 v36, s[18:19], -1, v2
; %bb.6097:                             ;   in Loop: Header=BB6_5404 Depth=2
	s_or_b64 exec, exec, s[94:95]
	v_add_u32_e32 v2, 0xffffff81, v6
	v_cndmask_b32_e32 v2, v2, v59, vcc
	v_lshrrev_b32_e32 v6, 23, v30
	v_add3_u32 v8, v7, v2, v6
	v_add_u32_e32 v7, 6, v8
	v_and_b32_e32 v2, 0xfffff, v36
	v_add_u32_e32 v2, v2, v30
	v_cmp_ne_u32_e32 vcc, 0, v7
                                        ; implicit-def: $vgpr30_vgpr31
                                        ; implicit-def: $vgpr6
	s_and_saveexec_b64 s[18:19], vcc
	s_xor_b64 s[18:19], exec, s[18:19]
; %bb.6098:                             ;   in Loop: Header=BB6_5404 Depth=2
	v_cmp_lt_u64_e32 vcc, s[74:75], v[2:3]
	v_add_u32_e32 v6, 7, v8
	v_cndmask_b32_e32 v6, v7, v6, vcc
	v_cndmask_b32_e64 v7, 0, 1, vcc
	v_lshrrev_b64 v[30:31], v7, v[2:3]
; %bb.6099:                             ;   in Loop: Header=BB6_5404 Depth=2
	s_andn2_saveexec_b64 s[18:19], s[18:19]
; %bb.6100:                             ;   in Loop: Header=BB6_5404 Depth=2
	v_mov_b32_e32 v31, v3
	v_bfe_u32 v6, v2, 23, 1
	v_mov_b32_e32 v30, v2
; %bb.6101:                             ;   in Loop: Header=BB6_5404 Depth=2
	s_or_b64 exec, exec, s[18:19]
	v_lshrrev_b64 v[7:8], 20, v[30:31]
	v_cmp_gt_i32_e32 vcc, 16, v6
	v_cndmask_b32_e32 v8, 0, v8, vcc
	v_cndmask_b32_e32 v7, 7, v7, vcc
	v_min_i32_e32 v2, 15, v6
	v_cmp_eq_u64_e64 s[18:19], 0, v[7:8]
	v_lshlrev_b32_e32 v2, 3, v2
	v_cmp_eq_u32_e32 vcc, 0, v6
	v_and_b32_e32 v2, 0xf8, v2
	v_and_or_b32 v2, v7, 7, v2
	s_and_b64 s[18:19], vcc, s[18:19]
	v_cndmask_b32_e64 v2, v2, 0, s[18:19]
	v_or_b32_e32 v50, v2, v4
.LBB6_6102:                             ;   in Loop: Header=BB6_5404 Depth=2
	s_or_b64 exec, exec, s[92:93]
                                        ; implicit-def: $vgpr4
.LBB6_6103:                             ;   in Loop: Header=BB6_5404 Depth=2
	s_andn2_saveexec_b64 s[18:19], s[90:91]
; %bb.6104:                             ;   in Loop: Header=BB6_5404 Depth=2
	v_or_b32_e32 v50, 0x7e, v4
; %bb.6105:                             ;   in Loop: Header=BB6_5404 Depth=2
	s_or_b64 exec, exec, s[18:19]
                                        ; implicit-def: $vgpr6
.LBB6_6106:                             ;   in Loop: Header=BB6_5404 Depth=2
	s_andn2_saveexec_b64 s[18:19], s[20:21]
; %bb.6107:                             ;   in Loop: Header=BB6_5404 Depth=2
	v_or_b32_sdwa v50, v6, s51 dst_sel:DWORD dst_unused:UNUSED_PAD src0_sel:BYTE_3 src1_sel:DWORD
; %bb.6108:                             ;   in Loop: Header=BB6_5404 Depth=2
	s_or_b64 exec, exec, s[18:19]
	v_cndmask_b32_e64 v2, 0, 1, s[26:27]
	v_cmp_ne_u16_sdwa s[20:21], v32, v3 src0_sel:BYTE_0 src1_sel:DWORD
	v_cmp_ne_u32_e64 s[18:19], 1, v2
	s_andn2_b64 vcc, exec, s[26:27]
	s_mov_b64 s[90:91], -1
                                        ; implicit-def: $vgpr6
	s_cbranch_vccnz .LBB6_6122
; %bb.6109:                             ;   in Loop: Header=BB6_5404 Depth=2
	v_mov_b32_e32 v4, 0
	v_mov_b32_e32 v2, 0
	s_and_saveexec_b64 s[90:91], s[20:21]
	s_cbranch_execz .LBB6_6115
; %bb.6110:                             ;   in Loop: Header=BB6_5404 Depth=2
	v_cmp_ne_u16_sdwa s[94:95], v32, s49 src0_sel:BYTE_0 src1_sel:DWORD
	v_bfrev_b32_e32 v2, 1
	s_and_saveexec_b64 s[92:93], s[94:95]
	s_cbranch_execz .LBB6_6114
; %bb.6111:                             ;   in Loop: Header=BB6_5404 Depth=2
	v_and_b32_e32 v6, 0x7f, v32
	v_cmp_ne_u32_e32 vcc, s51, v6
	v_mov_b32_e32 v2, 0x7f800001
	s_and_saveexec_b64 s[94:95], vcc
	s_cbranch_execz .LBB6_6113
; %bb.6112:                             ;   in Loop: Header=BB6_5404 Depth=2
	v_and_b32_e32 v2, 7, v32
	v_ffbh_u32_e32 v2, v2
	v_min_u32_e32 v2, 32, v2
	v_lshrrev_b32_e32 v7, 3, v6
	v_cmp_gt_u32_e32 vcc, 8, v6
	v_subrev_u32_e32 v6, 28, v2
	v_sub_u32_e32 v2, 29, v2
	v_cndmask_b32_e32 v6, 0, v6, vcc
	v_cndmask_b32_e32 v2, v7, v2, vcc
	v_lshlrev_b64 v[6:7], v6, v[32:33]
	v_lshlrev_b32_e32 v7, 24, v32
	v_lshlrev_b32_e32 v6, 20, v6
	v_and_b32_e32 v6, 0x700000, v6
	v_and_b32_e32 v7, 0x80000000, v7
	v_lshl_add_u32 v2, v2, 23, v5
	v_or3_b32 v2, v7, v2, v6
.LBB6_6113:                             ;   in Loop: Header=BB6_5404 Depth=2
	s_or_b64 exec, exec, s[94:95]
.LBB6_6114:                             ;   in Loop: Header=BB6_5404 Depth=2
	s_or_b64 exec, exec, s[92:93]
.LBB6_6115:                             ;   in Loop: Header=BB6_5404 Depth=2
	s_or_b64 exec, exec, s[90:91]
	s_waitcnt vmcnt(2)
	v_cmp_ne_u16_sdwa s[92:93], v26, v3 src0_sel:BYTE_0 src1_sel:DWORD
	s_and_saveexec_b64 s[90:91], s[92:93]
	s_cbranch_execz .LBB6_6121
; %bb.6116:                             ;   in Loop: Header=BB6_5404 Depth=2
	v_cmp_ne_u16_sdwa s[94:95], v26, s49 src0_sel:BYTE_0 src1_sel:DWORD
	v_bfrev_b32_e32 v4, 1
	s_and_saveexec_b64 s[92:93], s[94:95]
	s_cbranch_execz .LBB6_6120
; %bb.6117:                             ;   in Loop: Header=BB6_5404 Depth=2
	v_and_b32_e32 v6, 0x7f, v26
	v_cmp_ne_u32_e32 vcc, s51, v6
	v_mov_b32_e32 v4, 0x7f800001
	s_and_saveexec_b64 s[94:95], vcc
	s_cbranch_execz .LBB6_6119
; %bb.6118:                             ;   in Loop: Header=BB6_5404 Depth=2
	v_and_b32_e32 v4, 7, v26
	v_ffbh_u32_e32 v4, v4
	v_min_u32_e32 v4, 32, v4
	v_lshrrev_b32_e32 v7, 3, v6
	v_cmp_gt_u32_e32 vcc, 8, v6
	v_subrev_u32_e32 v6, 28, v4
	v_sub_u32_e32 v4, 29, v4
	v_cndmask_b32_e32 v6, 0, v6, vcc
	v_cndmask_b32_e32 v4, v7, v4, vcc
	v_lshlrev_b64 v[6:7], v6, v[26:27]
	v_lshlrev_b32_e32 v7, 24, v26
	v_lshlrev_b32_e32 v6, 20, v6
	v_and_b32_e32 v6, 0x700000, v6
	v_and_b32_e32 v7, 0x80000000, v7
	v_lshl_add_u32 v4, v4, 23, v5
	v_or3_b32 v4, v7, v4, v6
.LBB6_6119:                             ;   in Loop: Header=BB6_5404 Depth=2
	s_or_b64 exec, exec, s[94:95]
.LBB6_6120:                             ;   in Loop: Header=BB6_5404 Depth=2
	s_or_b64 exec, exec, s[92:93]
.LBB6_6121:                             ;   in Loop: Header=BB6_5404 Depth=2
	s_or_b64 exec, exec, s[90:91]
	v_max_f32_e32 v4, v4, v4
	v_max_f32_e32 v2, v2, v2
	v_max_f32_e32 v6, v2, v4
	s_mov_b64 s[90:91], 0
.LBB6_6122:                             ;   in Loop: Header=BB6_5404 Depth=2
	s_and_b64 vcc, exec, s[90:91]
	s_cbranch_vccz .LBB6_6136
; %bb.6123:                             ;   in Loop: Header=BB6_5404 Depth=2
	v_mov_b32_e32 v4, 0
	v_mov_b32_e32 v2, 0
	s_and_saveexec_b64 s[90:91], s[20:21]
	s_cbranch_execz .LBB6_6129
; %bb.6124:                             ;   in Loop: Header=BB6_5404 Depth=2
	v_cmp_ne_u16_sdwa s[92:93], v32, s49 src0_sel:BYTE_0 src1_sel:DWORD
	v_bfrev_b32_e32 v2, 1
	s_and_saveexec_b64 s[20:21], s[92:93]
	s_cbranch_execz .LBB6_6128
; %bb.6125:                             ;   in Loop: Header=BB6_5404 Depth=2
	v_and_b32_e32 v6, 0x7f, v32
	v_cmp_ne_u32_e32 vcc, s51, v6
	v_mov_b32_e32 v2, 0x7f800001
	s_and_saveexec_b64 s[92:93], vcc
	s_cbranch_execz .LBB6_6127
; %bb.6126:                             ;   in Loop: Header=BB6_5404 Depth=2
	v_and_b32_e32 v2, 7, v32
	v_ffbh_u32_e32 v2, v2
	v_min_u32_e32 v2, 32, v2
	v_lshrrev_b32_e32 v7, 3, v6
	v_cmp_gt_u32_e32 vcc, 8, v6
	v_subrev_u32_e32 v6, 28, v2
	v_sub_u32_e32 v2, 29, v2
	v_cndmask_b32_e32 v6, 0, v6, vcc
	v_cndmask_b32_e32 v2, v7, v2, vcc
	v_lshlrev_b64 v[6:7], v6, v[32:33]
	v_lshlrev_b32_e32 v7, 24, v32
	v_lshlrev_b32_e32 v6, 20, v6
	v_and_b32_e32 v6, 0x700000, v6
	v_and_b32_e32 v7, 0x80000000, v7
	v_lshl_add_u32 v2, v2, 23, v5
	v_or3_b32 v2, v7, v2, v6
.LBB6_6127:                             ;   in Loop: Header=BB6_5404 Depth=2
	s_or_b64 exec, exec, s[92:93]
.LBB6_6128:                             ;   in Loop: Header=BB6_5404 Depth=2
	s_or_b64 exec, exec, s[20:21]
.LBB6_6129:                             ;   in Loop: Header=BB6_5404 Depth=2
	s_or_b64 exec, exec, s[90:91]
	s_waitcnt vmcnt(2)
	v_cmp_ne_u16_sdwa s[90:91], v26, v3 src0_sel:BYTE_0 src1_sel:DWORD
	s_and_saveexec_b64 s[20:21], s[90:91]
	s_cbranch_execz .LBB6_6135
; %bb.6130:                             ;   in Loop: Header=BB6_5404 Depth=2
	v_cmp_ne_u16_sdwa s[92:93], v26, s49 src0_sel:BYTE_0 src1_sel:DWORD
	v_bfrev_b32_e32 v4, 1
	s_and_saveexec_b64 s[90:91], s[92:93]
	s_cbranch_execz .LBB6_6134
; %bb.6131:                             ;   in Loop: Header=BB6_5404 Depth=2
	v_and_b32_e32 v6, 0x7f, v26
	v_cmp_ne_u32_e32 vcc, s51, v6
	v_mov_b32_e32 v4, 0x7f800001
	s_and_saveexec_b64 s[92:93], vcc
	s_cbranch_execz .LBB6_6133
; %bb.6132:                             ;   in Loop: Header=BB6_5404 Depth=2
	v_and_b32_e32 v4, 7, v26
	v_ffbh_u32_e32 v4, v4
	v_min_u32_e32 v4, 32, v4
	v_lshrrev_b32_e32 v7, 3, v6
	v_cmp_gt_u32_e32 vcc, 8, v6
	v_subrev_u32_e32 v6, 28, v4
	v_sub_u32_e32 v4, 29, v4
	v_cndmask_b32_e32 v6, 0, v6, vcc
	v_cndmask_b32_e32 v4, v7, v4, vcc
	v_lshlrev_b64 v[6:7], v6, v[26:27]
	v_lshlrev_b32_e32 v7, 24, v26
	v_lshlrev_b32_e32 v6, 20, v6
	v_and_b32_e32 v6, 0x700000, v6
	v_and_b32_e32 v7, 0x80000000, v7
	v_lshl_add_u32 v4, v4, 23, v5
	v_or3_b32 v4, v7, v4, v6
.LBB6_6133:                             ;   in Loop: Header=BB6_5404 Depth=2
	s_or_b64 exec, exec, s[92:93]
.LBB6_6134:                             ;   in Loop: Header=BB6_5404 Depth=2
	s_or_b64 exec, exec, s[90:91]
.LBB6_6135:                             ;   in Loop: Header=BB6_5404 Depth=2
	s_or_b64 exec, exec, s[20:21]
	v_max_f32_e32 v4, v4, v4
	v_max_f32_e32 v2, v2, v2
	v_min_f32_e32 v6, v2, v4
.LBB6_6136:                             ;   in Loop: Header=BB6_5404 Depth=2
	v_and_b32_e32 v2, 0x7f800000, v6
	v_cmp_ne_u64_e32 vcc, s[62:63], v[2:3]
                                        ; implicit-def: $vgpr51
	s_and_saveexec_b64 s[20:21], vcc
	s_xor_b64 s[90:91], exec, s[20:21]
	s_cbranch_execz .LBB6_6150
; %bb.6137:                             ;   in Loop: Header=BB6_5404 Depth=2
	v_and_b32_e32 v2, 0x7fffffff, v6
	v_cmp_gt_u64_e32 vcc, s[72:73], v[2:3]
	v_and_b32_sdwa v4, v6, s49 dst_sel:DWORD dst_unused:UNUSED_PAD src0_sel:BYTE_3 src1_sel:DWORD
                                        ; implicit-def: $vgpr51
	s_and_saveexec_b64 s[20:21], vcc
	s_xor_b64 s[92:93], exec, s[20:21]
	s_cbranch_execz .LBB6_6147
; %bb.6138:                             ;   in Loop: Header=BB6_5404 Depth=2
	v_mov_b32_e32 v51, 0
	v_cmp_ne_u32_e32 vcc, 0, v6
	s_and_saveexec_b64 s[94:95], vcc
	s_cbranch_execz .LBB6_6146
; %bb.6139:                             ;   in Loop: Header=BB6_5404 Depth=2
	v_and_b32_e32 v2, 0x7fffff, v6
	v_bfe_u32 v6, v6, 23, 8
	v_cmp_gt_u32_e64 s[20:21], s53, v6
	v_sub_u32_e32 v7, 0x79, v6
	v_cmp_eq_u32_e32 vcc, 0, v6
	v_cndmask_b32_e64 v7, 0, v7, s[20:21]
	v_mov_b32_e32 v9, 0x78
	v_or_b32_e32 v8, 0x800000, v2
	v_cndmask_b32_e32 v7, v7, v9, vcc
	v_cndmask_b32_e32 v2, v8, v2, vcc
	v_add_u32_e32 v8, 20, v7
	v_lshlrev_b64 v[8:9], v8, -1
	v_add_u32_e32 v30, 19, v7
	v_lshlrev_b64 v[30:31], v30, 1
	v_bfi_b32 v9, v9, 0, 0
	v_bfi_b32 v8, v8, 0, v2
	v_cmp_eq_u64_e64 s[20:21], v[8:9], v[30:31]
	v_lshrrev_b64 v[30:31], v7, v[2:3]
	v_mov_b32_e32 v37, v31
	v_mov_b32_e32 v36, v30
	s_and_saveexec_b64 s[30:31], s[20:21]
; %bb.6140:                             ;   in Loop: Header=BB6_5404 Depth=2
	v_bfe_u32 v2, v30, 20, 1
	v_add_co_u32_e64 v2, s[20:21], v30, v2
	v_add_co_u32_e64 v36, s[20:21], -1, v2
; %bb.6141:                             ;   in Loop: Header=BB6_5404 Depth=2
	s_or_b64 exec, exec, s[30:31]
	v_add_u32_e32 v2, 0xffffff81, v6
	v_cndmask_b32_e32 v2, v2, v59, vcc
	v_lshrrev_b32_e32 v6, 23, v30
	v_add3_u32 v8, v7, v2, v6
	v_add_u32_e32 v7, 6, v8
	v_and_b32_e32 v2, 0xfffff, v36
	v_add_u32_e32 v2, v2, v30
	v_cmp_ne_u32_e32 vcc, 0, v7
                                        ; implicit-def: $vgpr30_vgpr31
                                        ; implicit-def: $vgpr6
	s_and_saveexec_b64 s[20:21], vcc
	s_xor_b64 s[20:21], exec, s[20:21]
; %bb.6142:                             ;   in Loop: Header=BB6_5404 Depth=2
	v_cmp_lt_u64_e32 vcc, s[74:75], v[2:3]
	v_add_u32_e32 v6, 7, v8
	v_cndmask_b32_e32 v6, v7, v6, vcc
	v_cndmask_b32_e64 v7, 0, 1, vcc
	v_lshrrev_b64 v[30:31], v7, v[2:3]
; %bb.6143:                             ;   in Loop: Header=BB6_5404 Depth=2
	s_andn2_saveexec_b64 s[20:21], s[20:21]
; %bb.6144:                             ;   in Loop: Header=BB6_5404 Depth=2
	v_mov_b32_e32 v31, v3
	v_bfe_u32 v6, v2, 23, 1
	v_mov_b32_e32 v30, v2
; %bb.6145:                             ;   in Loop: Header=BB6_5404 Depth=2
	s_or_b64 exec, exec, s[20:21]
	v_lshrrev_b64 v[7:8], 20, v[30:31]
	v_cmp_gt_i32_e32 vcc, 16, v6
	v_cndmask_b32_e32 v8, 0, v8, vcc
	v_cndmask_b32_e32 v7, 7, v7, vcc
	v_min_i32_e32 v2, 15, v6
	v_cmp_eq_u64_e64 s[20:21], 0, v[7:8]
	v_lshlrev_b32_e32 v2, 3, v2
	v_cmp_eq_u32_e32 vcc, 0, v6
	v_and_b32_e32 v2, 0xf8, v2
	v_and_or_b32 v2, v7, 7, v2
	s_and_b64 s[20:21], vcc, s[20:21]
	v_cndmask_b32_e64 v2, v2, 0, s[20:21]
	v_or_b32_e32 v51, v2, v4
.LBB6_6146:                             ;   in Loop: Header=BB6_5404 Depth=2
	s_or_b64 exec, exec, s[94:95]
                                        ; implicit-def: $vgpr4
.LBB6_6147:                             ;   in Loop: Header=BB6_5404 Depth=2
	s_andn2_saveexec_b64 s[20:21], s[92:93]
; %bb.6148:                             ;   in Loop: Header=BB6_5404 Depth=2
	v_or_b32_e32 v51, 0x7e, v4
; %bb.6149:                             ;   in Loop: Header=BB6_5404 Depth=2
	s_or_b64 exec, exec, s[20:21]
                                        ; implicit-def: $vgpr6
.LBB6_6150:                             ;   in Loop: Header=BB6_5404 Depth=2
	s_andn2_saveexec_b64 s[20:21], s[90:91]
; %bb.6151:                             ;   in Loop: Header=BB6_5404 Depth=2
	v_or_b32_sdwa v51, v6, s51 dst_sel:DWORD dst_unused:UNUSED_PAD src0_sel:BYTE_3 src1_sel:DWORD
; %bb.6152:                             ;   in Loop: Header=BB6_5404 Depth=2
	s_or_b64 exec, exec, s[20:21]
	v_lshrrev_b16_e32 v30, 8, v32
	s_waitcnt vmcnt(2)
	v_lshrrev_b16_e32 v2, 8, v26
	v_cmp_ne_u16_e64 s[20:21], 0, v30
	s_and_b64 vcc, exec, s[18:19]
	s_mov_b64 s[90:91], -1
                                        ; implicit-def: $vgpr6
	s_cbranch_vccnz .LBB6_6166
; %bb.6153:                             ;   in Loop: Header=BB6_5404 Depth=2
	v_mov_b32_e32 v6, 0
	v_mov_b32_e32 v4, 0
	s_and_saveexec_b64 s[90:91], s[20:21]
	s_cbranch_execz .LBB6_6159
; %bb.6154:                             ;   in Loop: Header=BB6_5404 Depth=2
	v_cmp_ne_u16_e32 vcc, s49, v30
	v_bfrev_b32_e32 v4, 1
	s_and_saveexec_b64 s[92:93], vcc
	s_cbranch_execz .LBB6_6158
; %bb.6155:                             ;   in Loop: Header=BB6_5404 Depth=2
	v_and_b32_e32 v7, 0x7f, v30
	v_cmp_ne_u32_e32 vcc, s51, v7
	v_mov_b32_e32 v4, 0x7f800001
	s_and_saveexec_b64 s[94:95], vcc
	s_cbranch_execz .LBB6_6157
; %bb.6156:                             ;   in Loop: Header=BB6_5404 Depth=2
	v_and_b32_e32 v4, 7, v30
	v_lshrrev_b32_e32 v9, 3, v7
	v_cmp_gt_u32_e32 vcc, 8, v7
	v_ffbh_u32_e32 v7, v4
	v_min_u32_e32 v31, 32, v7
	v_subrev_u32_e32 v7, 28, v31
	v_lshlrev_b64 v[7:8], v7, v[30:31]
	v_sub_u32_e32 v8, 29, v31
	v_and_b32_e32 v7, 7, v7
	v_cndmask_b32_e32 v8, v9, v8, vcc
	v_cndmask_b32_e32 v4, v4, v7, vcc
	v_lshlrev_b32_e32 v7, 16, v32
	v_lshlrev_b32_e32 v4, 20, v4
	v_and_b32_e32 v7, 0x80000000, v7
	v_lshl_add_u32 v8, v8, 23, v5
	v_or3_b32 v4, v7, v8, v4
.LBB6_6157:                             ;   in Loop: Header=BB6_5404 Depth=2
	s_or_b64 exec, exec, s[94:95]
.LBB6_6158:                             ;   in Loop: Header=BB6_5404 Depth=2
	s_or_b64 exec, exec, s[92:93]
.LBB6_6159:                             ;   in Loop: Header=BB6_5404 Depth=2
	s_or_b64 exec, exec, s[90:91]
	v_cmp_ne_u16_e32 vcc, 0, v2
	s_and_saveexec_b64 s[90:91], vcc
	s_cbranch_execz .LBB6_6165
; %bb.6160:                             ;   in Loop: Header=BB6_5404 Depth=2
	v_cmp_ne_u16_e32 vcc, s49, v2
	v_bfrev_b32_e32 v6, 1
	s_and_saveexec_b64 s[92:93], vcc
	s_cbranch_execz .LBB6_6164
; %bb.6161:                             ;   in Loop: Header=BB6_5404 Depth=2
	v_and_b32_e32 v7, 0x7f, v2
	v_cmp_ne_u32_e32 vcc, s51, v7
	v_mov_b32_e32 v6, 0x7f800001
	s_and_saveexec_b64 s[94:95], vcc
	s_cbranch_execz .LBB6_6163
; %bb.6162:                             ;   in Loop: Header=BB6_5404 Depth=2
	v_and_b32_e32 v8, 7, v2
	v_ffbh_u32_e32 v6, v8
	v_min_u32_e32 v31, 32, v6
	v_subrev_u32_e32 v6, 28, v31
	v_lshrrev_b32_e32 v9, 3, v7
	v_cmp_gt_u32_e32 vcc, 8, v7
	v_lshlrev_b64 v[6:7], v6, v[2:3]
	v_sub_u32_e32 v7, 29, v31
	v_and_b32_e32 v6, 7, v6
	v_cndmask_b32_e32 v7, v9, v7, vcc
	v_cndmask_b32_e32 v6, v8, v6, vcc
	v_lshlrev_b32_e32 v8, 16, v26
	v_lshlrev_b32_e32 v6, 20, v6
	v_and_b32_e32 v8, 0x80000000, v8
	v_lshl_add_u32 v7, v7, 23, v5
	v_or3_b32 v6, v8, v7, v6
.LBB6_6163:                             ;   in Loop: Header=BB6_5404 Depth=2
	s_or_b64 exec, exec, s[94:95]
.LBB6_6164:                             ;   in Loop: Header=BB6_5404 Depth=2
	s_or_b64 exec, exec, s[92:93]
.LBB6_6165:                             ;   in Loop: Header=BB6_5404 Depth=2
	s_or_b64 exec, exec, s[90:91]
	v_max_f32_e32 v6, v6, v6
	v_max_f32_e32 v4, v4, v4
	;; [unrolled: 1-line block ×3, first 2 shown]
	s_mov_b64 s[90:91], 0
.LBB6_6166:                             ;   in Loop: Header=BB6_5404 Depth=2
	s_and_b64 vcc, exec, s[90:91]
	s_cbranch_vccz .LBB6_6180
; %bb.6167:                             ;   in Loop: Header=BB6_5404 Depth=2
	v_mov_b32_e32 v6, 0
	v_mov_b32_e32 v4, 0
	s_and_saveexec_b64 s[90:91], s[20:21]
	s_cbranch_execz .LBB6_6173
; %bb.6168:                             ;   in Loop: Header=BB6_5404 Depth=2
	v_cmp_ne_u16_e32 vcc, s49, v30
	v_bfrev_b32_e32 v4, 1
	s_and_saveexec_b64 s[20:21], vcc
	s_cbranch_execz .LBB6_6172
; %bb.6169:                             ;   in Loop: Header=BB6_5404 Depth=2
	v_and_b32_e32 v7, 0x7f, v30
	v_cmp_ne_u32_e32 vcc, s51, v7
	v_mov_b32_e32 v4, 0x7f800001
	s_and_saveexec_b64 s[92:93], vcc
	s_cbranch_execz .LBB6_6171
; %bb.6170:                             ;   in Loop: Header=BB6_5404 Depth=2
	v_and_b32_e32 v4, 7, v30
	v_lshrrev_b32_e32 v9, 3, v7
	v_cmp_gt_u32_e32 vcc, 8, v7
	v_ffbh_u32_e32 v7, v4
	v_min_u32_e32 v31, 32, v7
	v_subrev_u32_e32 v7, 28, v31
	v_lshlrev_b64 v[7:8], v7, v[30:31]
	v_sub_u32_e32 v8, 29, v31
	v_and_b32_e32 v7, 7, v7
	v_cndmask_b32_e32 v8, v9, v8, vcc
	v_cndmask_b32_e32 v4, v4, v7, vcc
	v_lshlrev_b32_e32 v7, 16, v32
	v_lshlrev_b32_e32 v4, 20, v4
	v_and_b32_e32 v7, 0x80000000, v7
	v_lshl_add_u32 v8, v8, 23, v5
	v_or3_b32 v4, v7, v8, v4
.LBB6_6171:                             ;   in Loop: Header=BB6_5404 Depth=2
	s_or_b64 exec, exec, s[92:93]
.LBB6_6172:                             ;   in Loop: Header=BB6_5404 Depth=2
	s_or_b64 exec, exec, s[20:21]
.LBB6_6173:                             ;   in Loop: Header=BB6_5404 Depth=2
	s_or_b64 exec, exec, s[90:91]
	v_cmp_ne_u16_e32 vcc, 0, v2
	s_and_saveexec_b64 s[20:21], vcc
	s_cbranch_execz .LBB6_6179
; %bb.6174:                             ;   in Loop: Header=BB6_5404 Depth=2
	v_cmp_ne_u16_e32 vcc, s49, v2
	v_bfrev_b32_e32 v6, 1
	s_and_saveexec_b64 s[90:91], vcc
	s_cbranch_execz .LBB6_6178
; %bb.6175:                             ;   in Loop: Header=BB6_5404 Depth=2
	v_and_b32_e32 v7, 0x7f, v2
	v_cmp_ne_u32_e32 vcc, s51, v7
	v_mov_b32_e32 v6, 0x7f800001
	s_and_saveexec_b64 s[92:93], vcc
	s_cbranch_execz .LBB6_6177
; %bb.6176:                             ;   in Loop: Header=BB6_5404 Depth=2
	v_and_b32_e32 v8, 7, v2
	v_ffbh_u32_e32 v6, v8
	v_min_u32_e32 v30, 32, v6
	v_subrev_u32_e32 v6, 28, v30
	v_lshrrev_b32_e32 v9, 3, v7
	v_cmp_gt_u32_e32 vcc, 8, v7
	v_lshlrev_b64 v[6:7], v6, v[2:3]
	v_sub_u32_e32 v2, 29, v30
	v_and_b32_e32 v6, 7, v6
	v_cndmask_b32_e32 v2, v9, v2, vcc
	v_cndmask_b32_e32 v6, v8, v6, vcc
	v_lshlrev_b32_e32 v7, 16, v26
	v_lshlrev_b32_e32 v6, 20, v6
	v_and_b32_e32 v7, 0x80000000, v7
	v_lshl_add_u32 v2, v2, 23, v5
	v_or3_b32 v6, v7, v2, v6
.LBB6_6177:                             ;   in Loop: Header=BB6_5404 Depth=2
	s_or_b64 exec, exec, s[92:93]
.LBB6_6178:                             ;   in Loop: Header=BB6_5404 Depth=2
	s_or_b64 exec, exec, s[90:91]
.LBB6_6179:                             ;   in Loop: Header=BB6_5404 Depth=2
	s_or_b64 exec, exec, s[20:21]
	v_max_f32_e32 v2, v6, v6
	v_max_f32_e32 v4, v4, v4
	v_min_f32_e32 v6, v4, v2
.LBB6_6180:                             ;   in Loop: Header=BB6_5404 Depth=2
	v_and_b32_e32 v2, 0x7f800000, v6
	v_cmp_ne_u64_e32 vcc, s[62:63], v[2:3]
                                        ; implicit-def: $vgpr2
                                        ; kill: killed $vgpr2
	s_and_saveexec_b64 s[20:21], vcc
	s_xor_b64 s[90:91], exec, s[20:21]
	s_cbranch_execz .LBB6_6194
; %bb.6181:                             ;   in Loop: Header=BB6_5404 Depth=2
	v_and_b32_e32 v2, 0x7fffffff, v6
	v_cmp_gt_u64_e32 vcc, s[72:73], v[2:3]
	v_and_b32_sdwa v4, v6, s49 dst_sel:DWORD dst_unused:UNUSED_PAD src0_sel:BYTE_3 src1_sel:DWORD
                                        ; implicit-def: $vgpr2
                                        ; kill: killed $vgpr2
	s_and_saveexec_b64 s[20:21], vcc
	s_xor_b64 s[92:93], exec, s[20:21]
	s_cbranch_execz .LBB6_6191
; %bb.6182:                             ;   in Loop: Header=BB6_5404 Depth=2
	v_mov_b32_e32 v2, 0
	v_cmp_ne_u32_e32 vcc, 0, v6
	buffer_store_dword v2, off, s[0:3], s33 offset:116 ; 4-byte Folded Spill
	s_and_saveexec_b64 s[94:95], vcc
	s_cbranch_execz .LBB6_6190
; %bb.6183:                             ;   in Loop: Header=BB6_5404 Depth=2
	v_and_b32_e32 v2, 0x7fffff, v6
	v_bfe_u32 v6, v6, 23, 8
	v_cmp_gt_u32_e64 s[20:21], s53, v6
	v_sub_u32_e32 v7, 0x79, v6
	v_cmp_eq_u32_e32 vcc, 0, v6
	v_cndmask_b32_e64 v7, 0, v7, s[20:21]
	v_mov_b32_e32 v9, 0x78
	v_or_b32_e32 v8, 0x800000, v2
	v_cndmask_b32_e32 v7, v7, v9, vcc
	v_cndmask_b32_e32 v2, v8, v2, vcc
	v_add_u32_e32 v8, 20, v7
	v_lshlrev_b64 v[8:9], v8, -1
	v_add_u32_e32 v30, 19, v7
	v_lshlrev_b64 v[30:31], v30, 1
	v_bfi_b32 v9, v9, 0, 0
	v_bfi_b32 v8, v8, 0, v2
	v_cmp_eq_u64_e64 s[20:21], v[8:9], v[30:31]
	v_lshrrev_b64 v[30:31], v7, v[2:3]
	v_mov_b32_e32 v37, v31
	v_mov_b32_e32 v36, v30
	s_and_saveexec_b64 s[30:31], s[20:21]
; %bb.6184:                             ;   in Loop: Header=BB6_5404 Depth=2
	v_bfe_u32 v2, v30, 20, 1
	v_add_co_u32_e64 v2, s[20:21], v30, v2
	v_add_co_u32_e64 v36, s[20:21], -1, v2
; %bb.6185:                             ;   in Loop: Header=BB6_5404 Depth=2
	s_or_b64 exec, exec, s[30:31]
	v_add_u32_e32 v2, 0xffffff81, v6
	v_cndmask_b32_e32 v2, v2, v59, vcc
	v_lshrrev_b32_e32 v6, 23, v30
	v_add3_u32 v8, v7, v2, v6
	v_add_u32_e32 v7, 6, v8
	v_and_b32_e32 v2, 0xfffff, v36
	v_add_u32_e32 v2, v2, v30
	v_cmp_ne_u32_e32 vcc, 0, v7
                                        ; implicit-def: $vgpr30_vgpr31
                                        ; implicit-def: $vgpr6
	s_and_saveexec_b64 s[20:21], vcc
	s_xor_b64 s[20:21], exec, s[20:21]
; %bb.6186:                             ;   in Loop: Header=BB6_5404 Depth=2
	v_cmp_lt_u64_e32 vcc, s[74:75], v[2:3]
	v_add_u32_e32 v6, 7, v8
	v_cndmask_b32_e32 v6, v7, v6, vcc
	v_cndmask_b32_e64 v7, 0, 1, vcc
	v_lshrrev_b64 v[30:31], v7, v[2:3]
; %bb.6187:                             ;   in Loop: Header=BB6_5404 Depth=2
	s_andn2_saveexec_b64 s[20:21], s[20:21]
; %bb.6188:                             ;   in Loop: Header=BB6_5404 Depth=2
	v_mov_b32_e32 v31, v3
	v_bfe_u32 v6, v2, 23, 1
	v_mov_b32_e32 v30, v2
; %bb.6189:                             ;   in Loop: Header=BB6_5404 Depth=2
	s_or_b64 exec, exec, s[20:21]
	v_lshrrev_b64 v[7:8], 20, v[30:31]
	v_cmp_gt_i32_e32 vcc, 16, v6
	v_cndmask_b32_e32 v8, 0, v8, vcc
	v_cndmask_b32_e32 v7, 7, v7, vcc
	v_min_i32_e32 v2, 15, v6
	v_cmp_eq_u64_e64 s[20:21], 0, v[7:8]
	v_lshlrev_b32_e32 v2, 3, v2
	v_cmp_eq_u32_e32 vcc, 0, v6
	v_and_b32_e32 v2, 0xf8, v2
	v_and_or_b32 v2, v7, 7, v2
	s_and_b64 s[20:21], vcc, s[20:21]
	v_cndmask_b32_e64 v2, v2, 0, s[20:21]
	v_or_b32_e32 v2, v2, v4
	buffer_store_dword v2, off, s[0:3], s33 offset:116 ; 4-byte Folded Spill
.LBB6_6190:                             ;   in Loop: Header=BB6_5404 Depth=2
	s_or_b64 exec, exec, s[94:95]
                                        ; implicit-def: $vgpr4
.LBB6_6191:                             ;   in Loop: Header=BB6_5404 Depth=2
	s_andn2_saveexec_b64 s[20:21], s[92:93]
	s_cbranch_execz .LBB6_6193
; %bb.6192:                             ;   in Loop: Header=BB6_5404 Depth=2
	v_or_b32_e32 v2, 0x7e, v4
	buffer_store_dword v2, off, s[0:3], s33 offset:116 ; 4-byte Folded Spill
.LBB6_6193:                             ;   in Loop: Header=BB6_5404 Depth=2
	s_or_b64 exec, exec, s[20:21]
                                        ; implicit-def: $vgpr6
.LBB6_6194:                             ;   in Loop: Header=BB6_5404 Depth=2
	s_andn2_saveexec_b64 s[20:21], s[90:91]
	s_cbranch_execz .LBB6_6196
; %bb.6195:                             ;   in Loop: Header=BB6_5404 Depth=2
	v_or_b32_sdwa v2, v6, s51 dst_sel:DWORD dst_unused:UNUSED_PAD src0_sel:BYTE_3 src1_sel:DWORD
	buffer_store_dword v2, off, s[0:3], s33 offset:116 ; 4-byte Folded Spill
.LBB6_6196:                             ;   in Loop: Header=BB6_5404 Depth=2
	s_or_b64 exec, exec, s[20:21]
	v_lshrrev_b32_e32 v36, 16, v32
	v_lshrrev_b32_e32 v2, 16, v26
	v_cmp_ne_u16_sdwa s[20:21], v36, v3 src0_sel:BYTE_0 src1_sel:DWORD
	s_and_b64 vcc, exec, s[18:19]
	s_mov_b64 s[90:91], -1
                                        ; implicit-def: $vgpr6
	s_cbranch_vccnz .LBB6_6210
; %bb.6197:                             ;   in Loop: Header=BB6_5404 Depth=2
	v_mov_b32_e32 v6, 0
	v_mov_b32_e32 v4, 0
	s_and_saveexec_b64 s[90:91], s[20:21]
	s_cbranch_execz .LBB6_6203
; %bb.6198:                             ;   in Loop: Header=BB6_5404 Depth=2
	v_cmp_ne_u16_sdwa s[94:95], v36, s49 src0_sel:BYTE_0 src1_sel:DWORD
	v_bfrev_b32_e32 v4, 1
	s_and_saveexec_b64 s[92:93], s[94:95]
	s_cbranch_execz .LBB6_6202
; %bb.6199:                             ;   in Loop: Header=BB6_5404 Depth=2
	v_bfe_u32 v7, v32, 16, 7
	v_cmp_ne_u32_e32 vcc, s51, v7
	v_mov_b32_e32 v4, 0x7f800001
	s_and_saveexec_b64 s[94:95], vcc
	s_cbranch_execz .LBB6_6201
; %bb.6200:                             ;   in Loop: Header=BB6_5404 Depth=2
	v_and_b32_e32 v4, 7, v36
	v_lshrrev_b32_e32 v9, 3, v7
	v_cmp_gt_u32_e32 vcc, 8, v7
	v_ffbh_u32_e32 v7, v4
	v_min_u32_e32 v30, 32, v7
	v_subrev_u32_e32 v7, 28, v30
	v_lshlrev_b64 v[7:8], v7, v[36:37]
	v_sub_u32_e32 v8, 29, v30
	v_and_b32_e32 v7, 7, v7
	v_cndmask_b32_e32 v8, v9, v8, vcc
	v_cndmask_b32_e32 v4, v4, v7, vcc
	v_lshlrev_b32_e32 v7, 24, v36
	v_lshlrev_b32_e32 v4, 20, v4
	v_and_b32_e32 v7, 0x80000000, v7
	v_lshl_add_u32 v8, v8, 23, v5
	v_or3_b32 v4, v7, v8, v4
.LBB6_6201:                             ;   in Loop: Header=BB6_5404 Depth=2
	s_or_b64 exec, exec, s[94:95]
.LBB6_6202:                             ;   in Loop: Header=BB6_5404 Depth=2
	s_or_b64 exec, exec, s[92:93]
.LBB6_6203:                             ;   in Loop: Header=BB6_5404 Depth=2
	s_or_b64 exec, exec, s[90:91]
	v_cmp_ne_u16_sdwa s[92:93], v2, v3 src0_sel:BYTE_0 src1_sel:DWORD
	s_and_saveexec_b64 s[90:91], s[92:93]
	s_cbranch_execz .LBB6_6209
; %bb.6204:                             ;   in Loop: Header=BB6_5404 Depth=2
	v_cmp_ne_u16_sdwa s[94:95], v2, s49 src0_sel:BYTE_0 src1_sel:DWORD
	v_bfrev_b32_e32 v6, 1
	s_and_saveexec_b64 s[92:93], s[94:95]
	s_cbranch_execz .LBB6_6208
; %bb.6205:                             ;   in Loop: Header=BB6_5404 Depth=2
	v_bfe_u32 v7, v26, 16, 7
	v_cmp_ne_u32_e32 vcc, s51, v7
	v_mov_b32_e32 v6, 0x7f800001
	s_and_saveexec_b64 s[94:95], vcc
	s_cbranch_execz .LBB6_6207
; %bb.6206:                             ;   in Loop: Header=BB6_5404 Depth=2
	v_and_b32_e32 v8, 7, v2
	v_ffbh_u32_e32 v6, v8
	v_min_u32_e32 v30, 32, v6
	v_subrev_u32_e32 v6, 28, v30
	v_lshrrev_b32_e32 v9, 3, v7
	v_cmp_gt_u32_e32 vcc, 8, v7
	v_lshlrev_b64 v[6:7], v6, v[2:3]
	v_sub_u32_e32 v7, 29, v30
	v_and_b32_e32 v6, 7, v6
	v_cndmask_b32_e32 v7, v9, v7, vcc
	v_cndmask_b32_e32 v6, v8, v6, vcc
	v_lshlrev_b32_e32 v8, 24, v2
	v_lshlrev_b32_e32 v6, 20, v6
	v_and_b32_e32 v8, 0x80000000, v8
	v_lshl_add_u32 v7, v7, 23, v5
	v_or3_b32 v6, v8, v7, v6
.LBB6_6207:                             ;   in Loop: Header=BB6_5404 Depth=2
	s_or_b64 exec, exec, s[94:95]
.LBB6_6208:                             ;   in Loop: Header=BB6_5404 Depth=2
	s_or_b64 exec, exec, s[92:93]
.LBB6_6209:                             ;   in Loop: Header=BB6_5404 Depth=2
	s_or_b64 exec, exec, s[90:91]
	v_max_f32_e32 v6, v6, v6
	v_max_f32_e32 v4, v4, v4
	;; [unrolled: 1-line block ×3, first 2 shown]
	s_mov_b64 s[90:91], 0
.LBB6_6210:                             ;   in Loop: Header=BB6_5404 Depth=2
	s_and_b64 vcc, exec, s[90:91]
	s_cbranch_vccz .LBB6_6224
; %bb.6211:                             ;   in Loop: Header=BB6_5404 Depth=2
	v_mov_b32_e32 v6, 0
	v_mov_b32_e32 v4, 0
	s_and_saveexec_b64 s[90:91], s[20:21]
	s_cbranch_execz .LBB6_6217
; %bb.6212:                             ;   in Loop: Header=BB6_5404 Depth=2
	v_cmp_ne_u16_sdwa s[92:93], v36, s49 src0_sel:BYTE_0 src1_sel:DWORD
	v_bfrev_b32_e32 v4, 1
	s_and_saveexec_b64 s[20:21], s[92:93]
	s_cbranch_execz .LBB6_6216
; %bb.6213:                             ;   in Loop: Header=BB6_5404 Depth=2
	v_bfe_u32 v7, v32, 16, 7
	v_cmp_ne_u32_e32 vcc, s51, v7
	v_mov_b32_e32 v4, 0x7f800001
	s_and_saveexec_b64 s[92:93], vcc
	s_cbranch_execz .LBB6_6215
; %bb.6214:                             ;   in Loop: Header=BB6_5404 Depth=2
	v_and_b32_e32 v4, 7, v36
	v_lshrrev_b32_e32 v9, 3, v7
	v_cmp_gt_u32_e32 vcc, 8, v7
	v_ffbh_u32_e32 v7, v4
	v_min_u32_e32 v30, 32, v7
	v_subrev_u32_e32 v7, 28, v30
	v_lshlrev_b64 v[7:8], v7, v[36:37]
	v_sub_u32_e32 v8, 29, v30
	v_and_b32_e32 v7, 7, v7
	v_cndmask_b32_e32 v8, v9, v8, vcc
	v_cndmask_b32_e32 v4, v4, v7, vcc
	v_lshlrev_b32_e32 v7, 24, v36
	v_lshlrev_b32_e32 v4, 20, v4
	v_and_b32_e32 v7, 0x80000000, v7
	v_lshl_add_u32 v8, v8, 23, v5
	v_or3_b32 v4, v7, v8, v4
.LBB6_6215:                             ;   in Loop: Header=BB6_5404 Depth=2
	s_or_b64 exec, exec, s[92:93]
.LBB6_6216:                             ;   in Loop: Header=BB6_5404 Depth=2
	s_or_b64 exec, exec, s[20:21]
.LBB6_6217:                             ;   in Loop: Header=BB6_5404 Depth=2
	s_or_b64 exec, exec, s[90:91]
	v_cmp_ne_u16_sdwa s[90:91], v2, v3 src0_sel:BYTE_0 src1_sel:DWORD
	s_and_saveexec_b64 s[20:21], s[90:91]
	s_cbranch_execz .LBB6_6223
; %bb.6218:                             ;   in Loop: Header=BB6_5404 Depth=2
	v_cmp_ne_u16_sdwa s[92:93], v2, s49 src0_sel:BYTE_0 src1_sel:DWORD
	v_bfrev_b32_e32 v6, 1
	s_and_saveexec_b64 s[90:91], s[92:93]
	s_cbranch_execz .LBB6_6222
; %bb.6219:                             ;   in Loop: Header=BB6_5404 Depth=2
	v_bfe_u32 v7, v26, 16, 7
	v_cmp_ne_u32_e32 vcc, s51, v7
	v_mov_b32_e32 v6, 0x7f800001
	s_and_saveexec_b64 s[92:93], vcc
	s_cbranch_execz .LBB6_6221
; %bb.6220:                             ;   in Loop: Header=BB6_5404 Depth=2
	v_and_b32_e32 v8, 7, v2
	v_ffbh_u32_e32 v6, v8
	v_min_u32_e32 v30, 32, v6
	v_subrev_u32_e32 v6, 28, v30
	v_lshrrev_b32_e32 v9, 3, v7
	v_cmp_gt_u32_e32 vcc, 8, v7
	v_lshlrev_b64 v[6:7], v6, v[2:3]
	v_sub_u32_e32 v7, 29, v30
	v_and_b32_e32 v6, 7, v6
	v_cndmask_b32_e32 v7, v9, v7, vcc
	v_cndmask_b32_e32 v6, v8, v6, vcc
	v_lshlrev_b32_e32 v2, 24, v2
	v_lshlrev_b32_e32 v6, 20, v6
	v_and_b32_e32 v2, 0x80000000, v2
	v_lshl_add_u32 v7, v7, 23, v5
	v_or3_b32 v6, v2, v7, v6
.LBB6_6221:                             ;   in Loop: Header=BB6_5404 Depth=2
	s_or_b64 exec, exec, s[92:93]
.LBB6_6222:                             ;   in Loop: Header=BB6_5404 Depth=2
	s_or_b64 exec, exec, s[90:91]
.LBB6_6223:                             ;   in Loop: Header=BB6_5404 Depth=2
	s_or_b64 exec, exec, s[20:21]
	v_max_f32_e32 v2, v6, v6
	v_max_f32_e32 v4, v4, v4
	v_min_f32_e32 v6, v4, v2
.LBB6_6224:                             ;   in Loop: Header=BB6_5404 Depth=2
	v_and_b32_e32 v2, 0x7f800000, v6
	v_cmp_ne_u64_e32 vcc, s[62:63], v[2:3]
                                        ; implicit-def: $vgpr2
                                        ; kill: killed $vgpr2
	s_and_saveexec_b64 s[20:21], vcc
	s_xor_b64 s[90:91], exec, s[20:21]
	s_cbranch_execz .LBB6_6238
; %bb.6225:                             ;   in Loop: Header=BB6_5404 Depth=2
	v_and_b32_e32 v2, 0x7fffffff, v6
	v_cmp_gt_u64_e32 vcc, s[72:73], v[2:3]
	v_and_b32_sdwa v4, v6, s49 dst_sel:DWORD dst_unused:UNUSED_PAD src0_sel:BYTE_3 src1_sel:DWORD
                                        ; implicit-def: $vgpr2
                                        ; kill: killed $vgpr2
	s_and_saveexec_b64 s[20:21], vcc
	s_xor_b64 s[92:93], exec, s[20:21]
	s_cbranch_execz .LBB6_6235
; %bb.6226:                             ;   in Loop: Header=BB6_5404 Depth=2
	v_mov_b32_e32 v2, 0
	v_cmp_ne_u32_e32 vcc, 0, v6
	buffer_store_dword v2, off, s[0:3], s33 offset:120 ; 4-byte Folded Spill
	s_and_saveexec_b64 s[94:95], vcc
	s_cbranch_execz .LBB6_6234
; %bb.6227:                             ;   in Loop: Header=BB6_5404 Depth=2
	v_and_b32_e32 v2, 0x7fffff, v6
	v_bfe_u32 v6, v6, 23, 8
	v_cmp_gt_u32_e64 s[20:21], s53, v6
	v_sub_u32_e32 v7, 0x79, v6
	v_cmp_eq_u32_e32 vcc, 0, v6
	v_cndmask_b32_e64 v7, 0, v7, s[20:21]
	v_mov_b32_e32 v9, 0x78
	v_or_b32_e32 v8, 0x800000, v2
	v_cndmask_b32_e32 v7, v7, v9, vcc
	v_cndmask_b32_e32 v2, v8, v2, vcc
	v_add_u32_e32 v8, 20, v7
	v_lshlrev_b64 v[8:9], v8, -1
	v_add_u32_e32 v30, 19, v7
	v_lshlrev_b64 v[30:31], v30, 1
	v_bfi_b32 v9, v9, 0, 0
	v_bfi_b32 v8, v8, 0, v2
	v_cmp_eq_u64_e64 s[20:21], v[8:9], v[30:31]
	v_lshrrev_b64 v[30:31], v7, v[2:3]
	v_mov_b32_e32 v37, v31
	v_mov_b32_e32 v36, v30
	s_and_saveexec_b64 s[30:31], s[20:21]
; %bb.6228:                             ;   in Loop: Header=BB6_5404 Depth=2
	v_bfe_u32 v2, v30, 20, 1
	v_add_co_u32_e64 v2, s[20:21], v30, v2
	v_add_co_u32_e64 v36, s[20:21], -1, v2
; %bb.6229:                             ;   in Loop: Header=BB6_5404 Depth=2
	s_or_b64 exec, exec, s[30:31]
	v_add_u32_e32 v2, 0xffffff81, v6
	v_cndmask_b32_e32 v2, v2, v59, vcc
	v_lshrrev_b32_e32 v6, 23, v30
	v_add3_u32 v8, v7, v2, v6
	v_add_u32_e32 v7, 6, v8
	v_and_b32_e32 v2, 0xfffff, v36
	v_add_u32_e32 v2, v2, v30
	v_cmp_ne_u32_e32 vcc, 0, v7
                                        ; implicit-def: $vgpr30_vgpr31
                                        ; implicit-def: $vgpr6
	s_and_saveexec_b64 s[20:21], vcc
	s_xor_b64 s[20:21], exec, s[20:21]
; %bb.6230:                             ;   in Loop: Header=BB6_5404 Depth=2
	v_cmp_lt_u64_e32 vcc, s[74:75], v[2:3]
	v_add_u32_e32 v6, 7, v8
	v_cndmask_b32_e32 v6, v7, v6, vcc
	v_cndmask_b32_e64 v7, 0, 1, vcc
	v_lshrrev_b64 v[30:31], v7, v[2:3]
; %bb.6231:                             ;   in Loop: Header=BB6_5404 Depth=2
	s_andn2_saveexec_b64 s[20:21], s[20:21]
; %bb.6232:                             ;   in Loop: Header=BB6_5404 Depth=2
	v_mov_b32_e32 v31, v3
	v_bfe_u32 v6, v2, 23, 1
	v_mov_b32_e32 v30, v2
; %bb.6233:                             ;   in Loop: Header=BB6_5404 Depth=2
	s_or_b64 exec, exec, s[20:21]
	v_lshrrev_b64 v[7:8], 20, v[30:31]
	v_cmp_gt_i32_e32 vcc, 16, v6
	v_cndmask_b32_e32 v8, 0, v8, vcc
	v_cndmask_b32_e32 v7, 7, v7, vcc
	v_min_i32_e32 v2, 15, v6
	v_cmp_eq_u64_e64 s[20:21], 0, v[7:8]
	v_lshlrev_b32_e32 v2, 3, v2
	v_cmp_eq_u32_e32 vcc, 0, v6
	v_and_b32_e32 v2, 0xf8, v2
	v_and_or_b32 v2, v7, 7, v2
	s_and_b64 s[20:21], vcc, s[20:21]
	v_cndmask_b32_e64 v2, v2, 0, s[20:21]
	v_or_b32_e32 v2, v2, v4
	buffer_store_dword v2, off, s[0:3], s33 offset:120 ; 4-byte Folded Spill
.LBB6_6234:                             ;   in Loop: Header=BB6_5404 Depth=2
	s_or_b64 exec, exec, s[94:95]
                                        ; implicit-def: $vgpr4
.LBB6_6235:                             ;   in Loop: Header=BB6_5404 Depth=2
	s_andn2_saveexec_b64 s[20:21], s[92:93]
	s_cbranch_execz .LBB6_6237
; %bb.6236:                             ;   in Loop: Header=BB6_5404 Depth=2
	v_or_b32_e32 v2, 0x7e, v4
	buffer_store_dword v2, off, s[0:3], s33 offset:120 ; 4-byte Folded Spill
.LBB6_6237:                             ;   in Loop: Header=BB6_5404 Depth=2
	s_or_b64 exec, exec, s[20:21]
                                        ; implicit-def: $vgpr6
.LBB6_6238:                             ;   in Loop: Header=BB6_5404 Depth=2
	s_andn2_saveexec_b64 s[20:21], s[90:91]
	s_cbranch_execz .LBB6_6240
; %bb.6239:                             ;   in Loop: Header=BB6_5404 Depth=2
	v_or_b32_sdwa v2, v6, s51 dst_sel:DWORD dst_unused:UNUSED_PAD src0_sel:BYTE_3 src1_sel:DWORD
	buffer_store_dword v2, off, s[0:3], s33 offset:120 ; 4-byte Folded Spill
.LBB6_6240:                             ;   in Loop: Header=BB6_5404 Depth=2
	s_or_b64 exec, exec, s[20:21]
	v_lshrrev_b32_e32 v36, 24, v32
	v_lshrrev_b32_e32 v2, 24, v26
	v_cmp_lt_u32_e64 s[20:21], s77, v32
	s_and_b64 vcc, exec, s[18:19]
	s_mov_b64 s[90:91], -1
                                        ; implicit-def: $vgpr6
	s_cbranch_vccnz .LBB6_6254
; %bb.6241:                             ;   in Loop: Header=BB6_5404 Depth=2
	v_mov_b32_e32 v6, 0
	v_mov_b32_e32 v4, 0
	s_and_saveexec_b64 s[90:91], s[20:21]
	s_cbranch_execz .LBB6_6247
; %bb.6242:                             ;   in Loop: Header=BB6_5404 Depth=2
	v_cmp_ne_u32_e32 vcc, s49, v36
	v_bfrev_b32_e32 v4, 1
	s_and_saveexec_b64 s[92:93], vcc
	s_cbranch_execz .LBB6_6246
; %bb.6243:                             ;   in Loop: Header=BB6_5404 Depth=2
	v_bfe_u32 v7, v32, 24, 7
	v_cmp_ne_u32_e32 vcc, s51, v7
	v_mov_b32_e32 v4, 0x7f800001
	s_and_saveexec_b64 s[94:95], vcc
	s_cbranch_execz .LBB6_6245
; %bb.6244:                             ;   in Loop: Header=BB6_5404 Depth=2
	v_and_b32_e32 v4, 7, v36
	v_lshrrev_b32_e32 v9, 3, v7
	v_cmp_gt_u32_e32 vcc, 8, v7
	v_ffbh_u32_e32 v7, v4
	v_min_u32_e32 v30, 32, v7
	v_subrev_u32_e32 v7, 28, v30
	v_lshlrev_b64 v[7:8], v7, v[36:37]
	v_sub_u32_e32 v8, 29, v30
	v_and_b32_e32 v7, 7, v7
	v_cndmask_b32_e32 v8, v9, v8, vcc
	v_cndmask_b32_e32 v4, v4, v7, vcc
	v_lshlrev_b32_e32 v7, 24, v36
	v_lshlrev_b32_e32 v4, 20, v4
	v_and_b32_e32 v7, 0x80000000, v7
	v_lshl_add_u32 v8, v8, 23, v5
	v_or3_b32 v4, v7, v8, v4
.LBB6_6245:                             ;   in Loop: Header=BB6_5404 Depth=2
	s_or_b64 exec, exec, s[94:95]
.LBB6_6246:                             ;   in Loop: Header=BB6_5404 Depth=2
	s_or_b64 exec, exec, s[92:93]
.LBB6_6247:                             ;   in Loop: Header=BB6_5404 Depth=2
	s_or_b64 exec, exec, s[90:91]
	v_cmp_lt_u32_e32 vcc, s77, v26
	s_and_saveexec_b64 s[90:91], vcc
	s_cbranch_execz .LBB6_6253
; %bb.6248:                             ;   in Loop: Header=BB6_5404 Depth=2
	v_cmp_ne_u32_e32 vcc, s49, v2
	v_bfrev_b32_e32 v6, 1
	s_and_saveexec_b64 s[92:93], vcc
	s_cbranch_execz .LBB6_6252
; %bb.6249:                             ;   in Loop: Header=BB6_5404 Depth=2
	v_bfe_u32 v7, v26, 24, 7
	v_cmp_ne_u32_e32 vcc, s51, v7
	v_mov_b32_e32 v6, 0x7f800001
	s_and_saveexec_b64 s[94:95], vcc
	s_cbranch_execz .LBB6_6251
; %bb.6250:                             ;   in Loop: Header=BB6_5404 Depth=2
	v_and_b32_e32 v8, 7, v2
	v_ffbh_u32_e32 v6, v8
	v_min_u32_e32 v30, 32, v6
	v_subrev_u32_e32 v6, 28, v30
	v_lshrrev_b32_e32 v9, 3, v7
	v_cmp_gt_u32_e32 vcc, 8, v7
	v_lshlrev_b64 v[6:7], v6, v[2:3]
	v_sub_u32_e32 v7, 29, v30
	v_and_b32_e32 v6, 7, v6
	v_cndmask_b32_e32 v7, v9, v7, vcc
	v_cndmask_b32_e32 v6, v8, v6, vcc
	v_lshlrev_b32_e32 v8, 24, v2
	v_lshlrev_b32_e32 v6, 20, v6
	v_and_b32_e32 v8, 0x80000000, v8
	v_lshl_add_u32 v7, v7, 23, v5
	v_or3_b32 v6, v8, v7, v6
.LBB6_6251:                             ;   in Loop: Header=BB6_5404 Depth=2
	s_or_b64 exec, exec, s[94:95]
.LBB6_6252:                             ;   in Loop: Header=BB6_5404 Depth=2
	s_or_b64 exec, exec, s[92:93]
.LBB6_6253:                             ;   in Loop: Header=BB6_5404 Depth=2
	s_or_b64 exec, exec, s[90:91]
	v_max_f32_e32 v6, v6, v6
	v_max_f32_e32 v4, v4, v4
	;; [unrolled: 1-line block ×3, first 2 shown]
	s_mov_b64 s[90:91], 0
.LBB6_6254:                             ;   in Loop: Header=BB6_5404 Depth=2
	s_and_b64 vcc, exec, s[90:91]
	s_cbranch_vccz .LBB6_6268
; %bb.6255:                             ;   in Loop: Header=BB6_5404 Depth=2
	v_mov_b32_e32 v6, 0
	v_mov_b32_e32 v4, 0
	s_and_saveexec_b64 s[90:91], s[20:21]
	s_cbranch_execz .LBB6_6261
; %bb.6256:                             ;   in Loop: Header=BB6_5404 Depth=2
	v_cmp_ne_u32_e32 vcc, s49, v36
	v_bfrev_b32_e32 v4, 1
	s_and_saveexec_b64 s[20:21], vcc
	s_cbranch_execz .LBB6_6260
; %bb.6257:                             ;   in Loop: Header=BB6_5404 Depth=2
	v_bfe_u32 v7, v32, 24, 7
	v_cmp_ne_u32_e32 vcc, s51, v7
	v_mov_b32_e32 v4, 0x7f800001
	s_and_saveexec_b64 s[92:93], vcc
	s_cbranch_execz .LBB6_6259
; %bb.6258:                             ;   in Loop: Header=BB6_5404 Depth=2
	v_and_b32_e32 v4, 7, v36
	v_lshrrev_b32_e32 v9, 3, v7
	v_cmp_gt_u32_e32 vcc, 8, v7
	v_ffbh_u32_e32 v7, v4
	v_min_u32_e32 v30, 32, v7
	v_subrev_u32_e32 v7, 28, v30
	v_lshlrev_b64 v[7:8], v7, v[36:37]
	v_sub_u32_e32 v8, 29, v30
	v_and_b32_e32 v7, 7, v7
	v_cndmask_b32_e32 v8, v9, v8, vcc
	v_cndmask_b32_e32 v4, v4, v7, vcc
	v_lshlrev_b32_e32 v7, 24, v36
	v_lshlrev_b32_e32 v4, 20, v4
	v_and_b32_e32 v7, 0x80000000, v7
	v_lshl_add_u32 v8, v8, 23, v5
	v_or3_b32 v4, v7, v8, v4
.LBB6_6259:                             ;   in Loop: Header=BB6_5404 Depth=2
	s_or_b64 exec, exec, s[92:93]
.LBB6_6260:                             ;   in Loop: Header=BB6_5404 Depth=2
	s_or_b64 exec, exec, s[20:21]
.LBB6_6261:                             ;   in Loop: Header=BB6_5404 Depth=2
	s_or_b64 exec, exec, s[90:91]
	v_cmp_lt_u32_e32 vcc, s77, v26
	s_and_saveexec_b64 s[20:21], vcc
	s_cbranch_execz .LBB6_6267
; %bb.6262:                             ;   in Loop: Header=BB6_5404 Depth=2
	v_cmp_ne_u32_e32 vcc, s49, v2
	v_bfrev_b32_e32 v6, 1
	s_and_saveexec_b64 s[90:91], vcc
	s_cbranch_execz .LBB6_6266
; %bb.6263:                             ;   in Loop: Header=BB6_5404 Depth=2
	v_bfe_u32 v7, v26, 24, 7
	v_cmp_ne_u32_e32 vcc, s51, v7
	v_mov_b32_e32 v6, 0x7f800001
	s_and_saveexec_b64 s[92:93], vcc
	s_cbranch_execz .LBB6_6265
; %bb.6264:                             ;   in Loop: Header=BB6_5404 Depth=2
	v_and_b32_e32 v8, 7, v2
	v_ffbh_u32_e32 v6, v8
	v_min_u32_e32 v30, 32, v6
	v_subrev_u32_e32 v6, 28, v30
	v_lshrrev_b32_e32 v9, 3, v7
	v_cmp_gt_u32_e32 vcc, 8, v7
	v_lshlrev_b64 v[6:7], v6, v[2:3]
	v_sub_u32_e32 v7, 29, v30
	v_and_b32_e32 v6, 7, v6
	v_cndmask_b32_e32 v7, v9, v7, vcc
	v_cndmask_b32_e32 v6, v8, v6, vcc
	v_lshlrev_b32_e32 v2, 24, v2
	v_lshlrev_b32_e32 v6, 20, v6
	v_and_b32_e32 v2, 0x80000000, v2
	v_lshl_add_u32 v7, v7, 23, v5
	v_or3_b32 v6, v2, v7, v6
.LBB6_6265:                             ;   in Loop: Header=BB6_5404 Depth=2
	s_or_b64 exec, exec, s[92:93]
.LBB6_6266:                             ;   in Loop: Header=BB6_5404 Depth=2
	s_or_b64 exec, exec, s[90:91]
.LBB6_6267:                             ;   in Loop: Header=BB6_5404 Depth=2
	s_or_b64 exec, exec, s[20:21]
	v_max_f32_e32 v2, v6, v6
	v_max_f32_e32 v4, v4, v4
	v_min_f32_e32 v6, v4, v2
.LBB6_6268:                             ;   in Loop: Header=BB6_5404 Depth=2
	v_and_b32_e32 v2, 0x7f800000, v6
	v_cmp_ne_u64_e32 vcc, s[62:63], v[2:3]
                                        ; implicit-def: $vgpr2
                                        ; kill: killed $vgpr2
	s_and_saveexec_b64 s[20:21], vcc
	s_xor_b64 s[90:91], exec, s[20:21]
	s_cbranch_execz .LBB6_6282
; %bb.6269:                             ;   in Loop: Header=BB6_5404 Depth=2
	v_and_b32_e32 v2, 0x7fffffff, v6
	v_cmp_gt_u64_e32 vcc, s[72:73], v[2:3]
	v_and_b32_sdwa v4, v6, s49 dst_sel:DWORD dst_unused:UNUSED_PAD src0_sel:BYTE_3 src1_sel:DWORD
                                        ; implicit-def: $vgpr2
                                        ; kill: killed $vgpr2
	s_and_saveexec_b64 s[20:21], vcc
	s_xor_b64 s[92:93], exec, s[20:21]
	s_cbranch_execz .LBB6_6279
; %bb.6270:                             ;   in Loop: Header=BB6_5404 Depth=2
	v_mov_b32_e32 v2, 0
	v_cmp_ne_u32_e32 vcc, 0, v6
	buffer_store_dword v2, off, s[0:3], s33 offset:124 ; 4-byte Folded Spill
	s_and_saveexec_b64 s[94:95], vcc
	s_cbranch_execz .LBB6_6278
; %bb.6271:                             ;   in Loop: Header=BB6_5404 Depth=2
	v_and_b32_e32 v2, 0x7fffff, v6
	v_bfe_u32 v6, v6, 23, 8
	v_cmp_gt_u32_e64 s[20:21], s53, v6
	v_sub_u32_e32 v7, 0x79, v6
	v_cmp_eq_u32_e32 vcc, 0, v6
	v_cndmask_b32_e64 v7, 0, v7, s[20:21]
	v_mov_b32_e32 v9, 0x78
	v_or_b32_e32 v8, 0x800000, v2
	v_cndmask_b32_e32 v7, v7, v9, vcc
	v_cndmask_b32_e32 v2, v8, v2, vcc
	v_add_u32_e32 v8, 20, v7
	v_lshlrev_b64 v[8:9], v8, -1
	v_add_u32_e32 v30, 19, v7
	v_lshlrev_b64 v[30:31], v30, 1
	v_bfi_b32 v9, v9, 0, 0
	v_bfi_b32 v8, v8, 0, v2
	v_cmp_eq_u64_e64 s[20:21], v[8:9], v[30:31]
	v_lshrrev_b64 v[30:31], v7, v[2:3]
	v_mov_b32_e32 v37, v31
	v_mov_b32_e32 v36, v30
	s_and_saveexec_b64 s[30:31], s[20:21]
; %bb.6272:                             ;   in Loop: Header=BB6_5404 Depth=2
	v_bfe_u32 v2, v30, 20, 1
	v_add_co_u32_e64 v2, s[20:21], v30, v2
	v_add_co_u32_e64 v36, s[20:21], -1, v2
; %bb.6273:                             ;   in Loop: Header=BB6_5404 Depth=2
	s_or_b64 exec, exec, s[30:31]
	v_add_u32_e32 v2, 0xffffff81, v6
	v_cndmask_b32_e32 v2, v2, v59, vcc
	v_lshrrev_b32_e32 v6, 23, v30
	v_add3_u32 v8, v7, v2, v6
	v_add_u32_e32 v7, 6, v8
	v_and_b32_e32 v2, 0xfffff, v36
	v_add_u32_e32 v2, v2, v30
	v_cmp_ne_u32_e32 vcc, 0, v7
                                        ; implicit-def: $vgpr30_vgpr31
                                        ; implicit-def: $vgpr6
	s_and_saveexec_b64 s[20:21], vcc
	s_xor_b64 s[20:21], exec, s[20:21]
; %bb.6274:                             ;   in Loop: Header=BB6_5404 Depth=2
	v_cmp_lt_u64_e32 vcc, s[74:75], v[2:3]
	v_add_u32_e32 v6, 7, v8
	v_cndmask_b32_e32 v6, v7, v6, vcc
	v_cndmask_b32_e64 v7, 0, 1, vcc
	v_lshrrev_b64 v[30:31], v7, v[2:3]
; %bb.6275:                             ;   in Loop: Header=BB6_5404 Depth=2
	s_andn2_saveexec_b64 s[20:21], s[20:21]
; %bb.6276:                             ;   in Loop: Header=BB6_5404 Depth=2
	v_mov_b32_e32 v31, v3
	v_bfe_u32 v6, v2, 23, 1
	v_mov_b32_e32 v30, v2
; %bb.6277:                             ;   in Loop: Header=BB6_5404 Depth=2
	s_or_b64 exec, exec, s[20:21]
	v_lshrrev_b64 v[7:8], 20, v[30:31]
	v_cmp_gt_i32_e32 vcc, 16, v6
	v_cndmask_b32_e32 v8, 0, v8, vcc
	v_cndmask_b32_e32 v7, 7, v7, vcc
	v_min_i32_e32 v2, 15, v6
	v_cmp_eq_u64_e64 s[20:21], 0, v[7:8]
	v_lshlrev_b32_e32 v2, 3, v2
	v_cmp_eq_u32_e32 vcc, 0, v6
	v_and_b32_e32 v2, 0xf8, v2
	v_and_or_b32 v2, v7, 7, v2
	s_and_b64 s[20:21], vcc, s[20:21]
	v_cndmask_b32_e64 v2, v2, 0, s[20:21]
	v_or_b32_e32 v2, v2, v4
	buffer_store_dword v2, off, s[0:3], s33 offset:124 ; 4-byte Folded Spill
.LBB6_6278:                             ;   in Loop: Header=BB6_5404 Depth=2
	s_or_b64 exec, exec, s[94:95]
                                        ; implicit-def: $vgpr4
.LBB6_6279:                             ;   in Loop: Header=BB6_5404 Depth=2
	s_andn2_saveexec_b64 s[20:21], s[92:93]
	s_cbranch_execz .LBB6_6281
; %bb.6280:                             ;   in Loop: Header=BB6_5404 Depth=2
	v_or_b32_e32 v2, 0x7e, v4
	buffer_store_dword v2, off, s[0:3], s33 offset:124 ; 4-byte Folded Spill
.LBB6_6281:                             ;   in Loop: Header=BB6_5404 Depth=2
	s_or_b64 exec, exec, s[20:21]
                                        ; implicit-def: $vgpr6
.LBB6_6282:                             ;   in Loop: Header=BB6_5404 Depth=2
	s_andn2_saveexec_b64 s[20:21], s[90:91]
	s_cbranch_execz .LBB6_6284
; %bb.6283:                             ;   in Loop: Header=BB6_5404 Depth=2
	v_or_b32_sdwa v2, v6, s51 dst_sel:DWORD dst_unused:UNUSED_PAD src0_sel:BYTE_3 src1_sel:DWORD
	buffer_store_dword v2, off, s[0:3], s33 offset:124 ; 4-byte Folded Spill
.LBB6_6284:                             ;   in Loop: Header=BB6_5404 Depth=2
	s_or_b64 exec, exec, s[20:21]
	v_mov_b32_e32 v2, v33
	v_mov_b32_e32 v36, v27
	;; [unrolled: 1-line block ×3, first 2 shown]
	v_cmp_ne_u16_sdwa s[20:21], v33, v3 src0_sel:BYTE_0 src1_sel:DWORD
	s_and_b64 vcc, exec, s[18:19]
	s_mov_b64 s[90:91], -1
                                        ; implicit-def: $vgpr6
	s_cbranch_vccnz .LBB6_6298
; %bb.6285:                             ;   in Loop: Header=BB6_5404 Depth=2
	v_mov_b32_e32 v6, 0
	v_mov_b32_e32 v4, 0
	s_and_saveexec_b64 s[90:91], s[20:21]
	s_cbranch_execz .LBB6_6291
; %bb.6286:                             ;   in Loop: Header=BB6_5404 Depth=2
	v_cmp_ne_u16_sdwa s[94:95], v33, s49 src0_sel:BYTE_0 src1_sel:DWORD
	v_bfrev_b32_e32 v4, 1
	s_and_saveexec_b64 s[92:93], s[94:95]
	s_cbranch_execz .LBB6_6290
; %bb.6287:                             ;   in Loop: Header=BB6_5404 Depth=2
	v_and_b32_e32 v7, 0x7f, v33
	v_cmp_ne_u32_e32 vcc, s51, v7
	v_mov_b32_e32 v4, 0x7f800001
	s_and_saveexec_b64 s[94:95], vcc
	s_cbranch_execz .LBB6_6289
; %bb.6288:                             ;   in Loop: Header=BB6_5404 Depth=2
	v_and_b32_e32 v4, 7, v33
	v_ffbh_u32_e32 v4, v4
	v_min_u32_e32 v4, 32, v4
	v_lshrrev_b32_e32 v8, 3, v7
	v_cmp_gt_u32_e32 vcc, 8, v7
	v_subrev_u32_e32 v7, 28, v4
	v_sub_u32_e32 v4, 29, v4
	v_cndmask_b32_e32 v7, 0, v7, vcc
	v_cndmask_b32_e32 v4, v8, v4, vcc
	v_lshlrev_b64 v[7:8], v7, v[2:3]
	v_lshlrev_b32_e32 v8, 24, v2
	v_lshlrev_b32_e32 v7, 20, v7
	v_and_b32_e32 v7, 0x700000, v7
	v_and_b32_e32 v8, 0x80000000, v8
	v_lshl_add_u32 v4, v4, 23, v5
	v_or3_b32 v4, v8, v4, v7
.LBB6_6289:                             ;   in Loop: Header=BB6_5404 Depth=2
	s_or_b64 exec, exec, s[94:95]
.LBB6_6290:                             ;   in Loop: Header=BB6_5404 Depth=2
	s_or_b64 exec, exec, s[92:93]
.LBB6_6291:                             ;   in Loop: Header=BB6_5404 Depth=2
	s_or_b64 exec, exec, s[90:91]
	v_cmp_ne_u16_sdwa s[92:93], v27, v3 src0_sel:BYTE_0 src1_sel:DWORD
	s_and_saveexec_b64 s[90:91], s[92:93]
	s_cbranch_execz .LBB6_6297
; %bb.6292:                             ;   in Loop: Header=BB6_5404 Depth=2
	v_cmp_ne_u16_sdwa s[94:95], v27, s49 src0_sel:BYTE_0 src1_sel:DWORD
	v_bfrev_b32_e32 v6, 1
	s_and_saveexec_b64 s[92:93], s[94:95]
	s_cbranch_execz .LBB6_6296
; %bb.6293:                             ;   in Loop: Header=BB6_5404 Depth=2
	v_and_b32_e32 v7, 0x7f, v27
	v_cmp_ne_u32_e32 vcc, s51, v7
	v_mov_b32_e32 v6, 0x7f800001
	s_and_saveexec_b64 s[94:95], vcc
	s_cbranch_execz .LBB6_6295
; %bb.6294:                             ;   in Loop: Header=BB6_5404 Depth=2
	v_and_b32_e32 v6, 7, v27
	v_ffbh_u32_e32 v6, v6
	v_min_u32_e32 v6, 32, v6
	v_lshrrev_b32_e32 v8, 3, v7
	v_cmp_gt_u32_e32 vcc, 8, v7
	v_subrev_u32_e32 v7, 28, v6
	v_sub_u32_e32 v6, 29, v6
	v_cndmask_b32_e32 v8, v8, v6, vcc
	v_cndmask_b32_e32 v6, 0, v7, vcc
	v_lshlrev_b64 v[6:7], v6, v[36:37]
	v_lshlrev_b32_e32 v7, 24, v36
	v_lshlrev_b32_e32 v6, 20, v6
	v_and_b32_e32 v6, 0x700000, v6
	v_and_b32_e32 v7, 0x80000000, v7
	v_lshl_add_u32 v8, v8, 23, v5
	v_or3_b32 v6, v7, v8, v6
.LBB6_6295:                             ;   in Loop: Header=BB6_5404 Depth=2
	s_or_b64 exec, exec, s[94:95]
.LBB6_6296:                             ;   in Loop: Header=BB6_5404 Depth=2
	s_or_b64 exec, exec, s[92:93]
.LBB6_6297:                             ;   in Loop: Header=BB6_5404 Depth=2
	s_or_b64 exec, exec, s[90:91]
	v_max_f32_e32 v6, v6, v6
	v_max_f32_e32 v4, v4, v4
	;; [unrolled: 1-line block ×3, first 2 shown]
	s_mov_b64 s[90:91], 0
.LBB6_6298:                             ;   in Loop: Header=BB6_5404 Depth=2
	s_and_b64 vcc, exec, s[90:91]
	s_cbranch_vccz .LBB6_6312
; %bb.6299:                             ;   in Loop: Header=BB6_5404 Depth=2
	v_mov_b32_e32 v6, 0
	v_mov_b32_e32 v4, 0
	s_and_saveexec_b64 s[90:91], s[20:21]
	s_cbranch_execz .LBB6_6305
; %bb.6300:                             ;   in Loop: Header=BB6_5404 Depth=2
	v_cmp_ne_u16_sdwa s[92:93], v33, s49 src0_sel:BYTE_0 src1_sel:DWORD
	v_bfrev_b32_e32 v4, 1
	s_and_saveexec_b64 s[20:21], s[92:93]
	s_cbranch_execz .LBB6_6304
; %bb.6301:                             ;   in Loop: Header=BB6_5404 Depth=2
	v_and_b32_e32 v7, 0x7f, v33
	v_cmp_ne_u32_e32 vcc, s51, v7
	v_mov_b32_e32 v4, 0x7f800001
	s_and_saveexec_b64 s[92:93], vcc
	s_cbranch_execz .LBB6_6303
; %bb.6302:                             ;   in Loop: Header=BB6_5404 Depth=2
	v_and_b32_e32 v4, 7, v33
	v_ffbh_u32_e32 v4, v4
	v_min_u32_e32 v4, 32, v4
	v_lshrrev_b32_e32 v8, 3, v7
	v_cmp_gt_u32_e32 vcc, 8, v7
	v_subrev_u32_e32 v7, 28, v4
	v_sub_u32_e32 v4, 29, v4
	v_cndmask_b32_e32 v7, 0, v7, vcc
	v_cndmask_b32_e32 v4, v8, v4, vcc
	v_lshlrev_b64 v[7:8], v7, v[2:3]
	v_lshlrev_b32_e32 v8, 24, v2
	v_lshlrev_b32_e32 v7, 20, v7
	v_and_b32_e32 v7, 0x700000, v7
	v_and_b32_e32 v8, 0x80000000, v8
	v_lshl_add_u32 v4, v4, 23, v5
	v_or3_b32 v4, v8, v4, v7
.LBB6_6303:                             ;   in Loop: Header=BB6_5404 Depth=2
	s_or_b64 exec, exec, s[92:93]
.LBB6_6304:                             ;   in Loop: Header=BB6_5404 Depth=2
	s_or_b64 exec, exec, s[20:21]
.LBB6_6305:                             ;   in Loop: Header=BB6_5404 Depth=2
	s_or_b64 exec, exec, s[90:91]
	v_cmp_ne_u16_sdwa s[90:91], v27, v3 src0_sel:BYTE_0 src1_sel:DWORD
	s_and_saveexec_b64 s[20:21], s[90:91]
	s_cbranch_execz .LBB6_6311
; %bb.6306:                             ;   in Loop: Header=BB6_5404 Depth=2
	v_cmp_ne_u16_sdwa s[92:93], v27, s49 src0_sel:BYTE_0 src1_sel:DWORD
	v_bfrev_b32_e32 v6, 1
	s_and_saveexec_b64 s[90:91], s[92:93]
	s_cbranch_execz .LBB6_6310
; %bb.6307:                             ;   in Loop: Header=BB6_5404 Depth=2
	v_and_b32_e32 v7, 0x7f, v27
	v_cmp_ne_u32_e32 vcc, s51, v7
	v_mov_b32_e32 v6, 0x7f800001
	s_and_saveexec_b64 s[92:93], vcc
	s_cbranch_execz .LBB6_6309
; %bb.6308:                             ;   in Loop: Header=BB6_5404 Depth=2
	v_and_b32_e32 v6, 7, v27
	v_ffbh_u32_e32 v6, v6
	v_min_u32_e32 v6, 32, v6
	v_lshrrev_b32_e32 v8, 3, v7
	v_cmp_gt_u32_e32 vcc, 8, v7
	v_subrev_u32_e32 v7, 28, v6
	v_sub_u32_e32 v6, 29, v6
	v_cndmask_b32_e32 v8, v8, v6, vcc
	v_cndmask_b32_e32 v6, 0, v7, vcc
	v_lshlrev_b64 v[6:7], v6, v[36:37]
	v_lshlrev_b32_e32 v7, 24, v36
	v_lshlrev_b32_e32 v6, 20, v6
	v_and_b32_e32 v6, 0x700000, v6
	v_and_b32_e32 v7, 0x80000000, v7
	v_lshl_add_u32 v8, v8, 23, v5
	v_or3_b32 v6, v7, v8, v6
.LBB6_6309:                             ;   in Loop: Header=BB6_5404 Depth=2
	s_or_b64 exec, exec, s[92:93]
.LBB6_6310:                             ;   in Loop: Header=BB6_5404 Depth=2
	s_or_b64 exec, exec, s[90:91]
.LBB6_6311:                             ;   in Loop: Header=BB6_5404 Depth=2
	s_or_b64 exec, exec, s[20:21]
	v_max_f32_e32 v6, v6, v6
	v_max_f32_e32 v4, v4, v4
	v_min_f32_e32 v6, v4, v6
.LBB6_6312:                             ;   in Loop: Header=BB6_5404 Depth=2
	v_and_b32_e32 v7, 0x7f800000, v6
	v_mov_b32_e32 v8, v3
	v_cmp_ne_u64_e32 vcc, s[62:63], v[7:8]
                                        ; implicit-def: $vgpr4
                                        ; kill: killed $vgpr4
	s_and_saveexec_b64 s[20:21], vcc
	s_xor_b64 s[90:91], exec, s[20:21]
	s_cbranch_execz .LBB6_6326
; %bb.6313:                             ;   in Loop: Header=BB6_5404 Depth=2
	v_and_b32_e32 v7, 0x7fffffff, v6
	v_mov_b32_e32 v8, v3
	v_cmp_gt_u64_e32 vcc, s[72:73], v[7:8]
	v_and_b32_sdwa v4, v6, s49 dst_sel:DWORD dst_unused:UNUSED_PAD src0_sel:BYTE_3 src1_sel:DWORD
                                        ; implicit-def: $vgpr7
                                        ; kill: killed $vgpr7
	s_and_saveexec_b64 s[20:21], vcc
	s_xor_b64 s[92:93], exec, s[20:21]
	s_cbranch_execz .LBB6_6323
; %bb.6314:                             ;   in Loop: Header=BB6_5404 Depth=2
	v_mov_b32_e32 v7, 0
	v_cmp_ne_u32_e32 vcc, 0, v6
	buffer_store_dword v7, off, s[0:3], s33 offset:128 ; 4-byte Folded Spill
	s_and_saveexec_b64 s[94:95], vcc
	s_cbranch_execz .LBB6_6322
; %bb.6315:                             ;   in Loop: Header=BB6_5404 Depth=2
	v_and_b32_e32 v8, 0x7fffff, v6
	v_bfe_u32 v6, v6, 23, 8
	v_cmp_gt_u32_e64 s[20:21], s53, v6
	v_sub_u32_e32 v7, 0x79, v6
	v_cmp_eq_u32_e32 vcc, 0, v6
	v_cndmask_b32_e64 v7, 0, v7, s[20:21]
	v_mov_b32_e32 v30, 0x78
	v_cndmask_b32_e32 v7, v7, v30, vcc
	v_add_u32_e32 v30, 20, v7
	v_or_b32_e32 v9, 0x800000, v8
	v_lshlrev_b64 v[30:31], v30, -1
	v_add_u32_e32 v37, 19, v7
	v_cndmask_b32_e32 v8, v9, v8, vcc
	v_lshlrev_b64 v[37:38], v37, 1
	v_mov_b32_e32 v9, v3
	v_bfi_b32 v31, v31, 0, 0
	v_bfi_b32 v30, v30, 0, v8
	v_cmp_eq_u64_e64 s[20:21], v[30:31], v[37:38]
	v_lshrrev_b64 v[30:31], v7, v[8:9]
	v_mov_b32_e32 v38, v31
	v_mov_b32_e32 v37, v30
	s_and_saveexec_b64 s[30:31], s[20:21]
; %bb.6316:                             ;   in Loop: Header=BB6_5404 Depth=2
	v_bfe_u32 v8, v30, 20, 1
	v_add_co_u32_e64 v8, s[20:21], v30, v8
	v_add_co_u32_e64 v37, s[20:21], -1, v8
; %bb.6317:                             ;   in Loop: Header=BB6_5404 Depth=2
	s_or_b64 exec, exec, s[30:31]
	v_add_u32_e32 v6, 0xffffff81, v6
	v_cndmask_b32_e32 v6, v6, v59, vcc
	v_lshrrev_b32_e32 v8, 23, v30
	v_add3_u32 v8, v7, v6, v8
	v_add_u32_e32 v7, 6, v8
	v_and_b32_e32 v6, 0xfffff, v37
	v_add_u32_e32 v30, v6, v30
	v_mov_b32_e32 v31, v3
	v_cmp_ne_u32_e32 vcc, 0, v7
                                        ; implicit-def: $vgpr6
	s_and_saveexec_b64 s[20:21], vcc
	s_xor_b64 s[20:21], exec, s[20:21]
; %bb.6318:                             ;   in Loop: Header=BB6_5404 Depth=2
	v_cmp_lt_u64_e32 vcc, s[74:75], v[30:31]
	v_add_u32_e32 v6, 7, v8
	v_cndmask_b32_e32 v6, v7, v6, vcc
	v_cndmask_b32_e64 v7, 0, 1, vcc
	v_lshrrev_b64 v[30:31], v7, v[30:31]
; %bb.6319:                             ;   in Loop: Header=BB6_5404 Depth=2
	s_andn2_saveexec_b64 s[20:21], s[20:21]
; %bb.6320:                             ;   in Loop: Header=BB6_5404 Depth=2
	v_bfe_u32 v6, v30, 23, 1
; %bb.6321:                             ;   in Loop: Header=BB6_5404 Depth=2
	s_or_b64 exec, exec, s[20:21]
	v_lshrrev_b64 v[7:8], 20, v[30:31]
	v_cmp_gt_i32_e32 vcc, 16, v6
	v_cndmask_b32_e32 v8, 0, v8, vcc
	v_cndmask_b32_e32 v7, 7, v7, vcc
	v_cmp_eq_u32_e32 vcc, 0, v6
	v_min_i32_e32 v6, 15, v6
	v_cmp_eq_u64_e64 s[20:21], 0, v[7:8]
	v_lshlrev_b32_e32 v6, 3, v6
	v_and_b32_e32 v6, 0xf8, v6
	v_and_or_b32 v6, v7, 7, v6
	s_and_b64 s[20:21], vcc, s[20:21]
	v_cndmask_b32_e64 v6, v6, 0, s[20:21]
	v_or_b32_e32 v4, v6, v4
	buffer_store_dword v4, off, s[0:3], s33 offset:128 ; 4-byte Folded Spill
.LBB6_6322:                             ;   in Loop: Header=BB6_5404 Depth=2
	s_or_b64 exec, exec, s[94:95]
                                        ; implicit-def: $vgpr4
.LBB6_6323:                             ;   in Loop: Header=BB6_5404 Depth=2
	s_andn2_saveexec_b64 s[20:21], s[92:93]
	s_cbranch_execz .LBB6_6325
; %bb.6324:                             ;   in Loop: Header=BB6_5404 Depth=2
	v_or_b32_e32 v4, 0x7e, v4
	buffer_store_dword v4, off, s[0:3], s33 offset:128 ; 4-byte Folded Spill
.LBB6_6325:                             ;   in Loop: Header=BB6_5404 Depth=2
	s_or_b64 exec, exec, s[20:21]
                                        ; implicit-def: $vgpr6
.LBB6_6326:                             ;   in Loop: Header=BB6_5404 Depth=2
	s_andn2_saveexec_b64 s[20:21], s[90:91]
	s_cbranch_execz .LBB6_6328
; %bb.6327:                             ;   in Loop: Header=BB6_5404 Depth=2
	v_or_b32_sdwa v4, v6, s51 dst_sel:DWORD dst_unused:UNUSED_PAD src0_sel:BYTE_3 src1_sel:DWORD
	buffer_store_dword v4, off, s[0:3], s33 offset:128 ; 4-byte Folded Spill
.LBB6_6328:                             ;   in Loop: Header=BB6_5404 Depth=2
	s_or_b64 exec, exec, s[20:21]
	v_lshrrev_b16_e32 v30, 8, v2
	v_lshrrev_b16_e32 v37, 8, v36
	v_cmp_ne_u16_e64 s[20:21], 0, v30
	s_and_b64 vcc, exec, s[18:19]
	s_mov_b64 s[90:91], -1
                                        ; implicit-def: $vgpr6
	s_cbranch_vccnz .LBB6_6342
; %bb.6329:                             ;   in Loop: Header=BB6_5404 Depth=2
	v_mov_b32_e32 v6, 0
	v_mov_b32_e32 v4, 0
	s_and_saveexec_b64 s[90:91], s[20:21]
	s_cbranch_execz .LBB6_6335
; %bb.6330:                             ;   in Loop: Header=BB6_5404 Depth=2
	v_cmp_ne_u16_e32 vcc, s49, v30
	v_bfrev_b32_e32 v4, 1
	s_and_saveexec_b64 s[92:93], vcc
	s_cbranch_execz .LBB6_6334
; %bb.6331:                             ;   in Loop: Header=BB6_5404 Depth=2
	v_and_b32_e32 v7, 0x7f, v30
	v_cmp_ne_u32_e32 vcc, s51, v7
	v_mov_b32_e32 v4, 0x7f800001
	s_and_saveexec_b64 s[94:95], vcc
	s_cbranch_execz .LBB6_6333
; %bb.6332:                             ;   in Loop: Header=BB6_5404 Depth=2
	v_and_b32_e32 v4, 7, v30
	v_lshrrev_b32_e32 v9, 3, v7
	v_cmp_gt_u32_e32 vcc, 8, v7
	v_ffbh_u32_e32 v7, v4
	v_min_u32_e32 v31, 32, v7
	v_subrev_u32_e32 v7, 28, v31
	v_lshlrev_b64 v[7:8], v7, v[30:31]
	v_sub_u32_e32 v8, 29, v31
	v_and_b32_e32 v7, 7, v7
	v_cndmask_b32_e32 v8, v9, v8, vcc
	v_cndmask_b32_e32 v4, v4, v7, vcc
	v_lshlrev_b32_e32 v7, 16, v2
	v_lshlrev_b32_e32 v4, 20, v4
	v_and_b32_e32 v7, 0x80000000, v7
	v_lshl_add_u32 v8, v8, 23, v5
	v_or3_b32 v4, v7, v8, v4
.LBB6_6333:                             ;   in Loop: Header=BB6_5404 Depth=2
	s_or_b64 exec, exec, s[94:95]
.LBB6_6334:                             ;   in Loop: Header=BB6_5404 Depth=2
	s_or_b64 exec, exec, s[92:93]
.LBB6_6335:                             ;   in Loop: Header=BB6_5404 Depth=2
	s_or_b64 exec, exec, s[90:91]
	v_cmp_ne_u16_e32 vcc, 0, v37
	s_and_saveexec_b64 s[90:91], vcc
	s_cbranch_execz .LBB6_6341
; %bb.6336:                             ;   in Loop: Header=BB6_5404 Depth=2
	v_cmp_ne_u16_e32 vcc, s49, v37
	v_bfrev_b32_e32 v6, 1
	s_and_saveexec_b64 s[92:93], vcc
	s_cbranch_execz .LBB6_6340
; %bb.6337:                             ;   in Loop: Header=BB6_5404 Depth=2
	v_and_b32_e32 v7, 0x7f, v37
	v_cmp_ne_u32_e32 vcc, s51, v7
	v_mov_b32_e32 v6, 0x7f800001
	s_and_saveexec_b64 s[94:95], vcc
	s_cbranch_execz .LBB6_6339
; %bb.6338:                             ;   in Loop: Header=BB6_5404 Depth=2
	v_and_b32_e32 v8, 7, v37
	v_ffbh_u32_e32 v6, v8
	v_min_u32_e32 v31, 32, v6
	v_subrev_u32_e32 v6, 28, v31
	v_lshrrev_b32_e32 v9, 3, v7
	v_cmp_gt_u32_e32 vcc, 8, v7
	v_lshlrev_b64 v[6:7], v6, v[37:38]
	v_sub_u32_e32 v7, 29, v31
	v_and_b32_e32 v6, 7, v6
	v_cndmask_b32_e32 v7, v9, v7, vcc
	v_cndmask_b32_e32 v6, v8, v6, vcc
	v_lshlrev_b32_e32 v8, 16, v36
	v_lshlrev_b32_e32 v6, 20, v6
	v_and_b32_e32 v8, 0x80000000, v8
	v_lshl_add_u32 v7, v7, 23, v5
	v_or3_b32 v6, v8, v7, v6
.LBB6_6339:                             ;   in Loop: Header=BB6_5404 Depth=2
	s_or_b64 exec, exec, s[94:95]
.LBB6_6340:                             ;   in Loop: Header=BB6_5404 Depth=2
	s_or_b64 exec, exec, s[92:93]
.LBB6_6341:                             ;   in Loop: Header=BB6_5404 Depth=2
	s_or_b64 exec, exec, s[90:91]
	v_max_f32_e32 v6, v6, v6
	v_max_f32_e32 v4, v4, v4
	;; [unrolled: 1-line block ×3, first 2 shown]
	s_mov_b64 s[90:91], 0
.LBB6_6342:                             ;   in Loop: Header=BB6_5404 Depth=2
	s_and_b64 vcc, exec, s[90:91]
	s_cbranch_vccz .LBB6_6356
; %bb.6343:                             ;   in Loop: Header=BB6_5404 Depth=2
	v_mov_b32_e32 v6, 0
	v_mov_b32_e32 v4, 0
	s_and_saveexec_b64 s[90:91], s[20:21]
	s_cbranch_execz .LBB6_6349
; %bb.6344:                             ;   in Loop: Header=BB6_5404 Depth=2
	v_cmp_ne_u16_e32 vcc, s49, v30
	v_bfrev_b32_e32 v4, 1
	s_and_saveexec_b64 s[20:21], vcc
	s_cbranch_execz .LBB6_6348
; %bb.6345:                             ;   in Loop: Header=BB6_5404 Depth=2
	v_and_b32_e32 v7, 0x7f, v30
	v_cmp_ne_u32_e32 vcc, s51, v7
	v_mov_b32_e32 v4, 0x7f800001
	s_and_saveexec_b64 s[92:93], vcc
	s_cbranch_execz .LBB6_6347
; %bb.6346:                             ;   in Loop: Header=BB6_5404 Depth=2
	v_and_b32_e32 v4, 7, v30
	v_lshrrev_b32_e32 v9, 3, v7
	v_cmp_gt_u32_e32 vcc, 8, v7
	v_ffbh_u32_e32 v7, v4
	v_min_u32_e32 v31, 32, v7
	v_subrev_u32_e32 v7, 28, v31
	v_lshlrev_b64 v[7:8], v7, v[30:31]
	v_sub_u32_e32 v8, 29, v31
	v_and_b32_e32 v7, 7, v7
	v_cndmask_b32_e32 v8, v9, v8, vcc
	v_cndmask_b32_e32 v4, v4, v7, vcc
	v_lshlrev_b32_e32 v2, 16, v2
	v_lshlrev_b32_e32 v4, 20, v4
	v_and_b32_e32 v2, 0x80000000, v2
	v_lshl_add_u32 v7, v8, 23, v5
	v_or3_b32 v4, v2, v7, v4
.LBB6_6347:                             ;   in Loop: Header=BB6_5404 Depth=2
	s_or_b64 exec, exec, s[92:93]
.LBB6_6348:                             ;   in Loop: Header=BB6_5404 Depth=2
	s_or_b64 exec, exec, s[20:21]
.LBB6_6349:                             ;   in Loop: Header=BB6_5404 Depth=2
	s_or_b64 exec, exec, s[90:91]
	v_cmp_ne_u16_e32 vcc, 0, v37
	s_and_saveexec_b64 s[20:21], vcc
	s_cbranch_execz .LBB6_6355
; %bb.6350:                             ;   in Loop: Header=BB6_5404 Depth=2
	v_cmp_ne_u16_e32 vcc, s49, v37
	v_bfrev_b32_e32 v6, 1
	s_and_saveexec_b64 s[90:91], vcc
	s_cbranch_execz .LBB6_6354
; %bb.6351:                             ;   in Loop: Header=BB6_5404 Depth=2
	v_and_b32_e32 v2, 0x7f, v37
	v_cmp_ne_u32_e32 vcc, s51, v2
	v_mov_b32_e32 v6, 0x7f800001
	s_and_saveexec_b64 s[92:93], vcc
	s_cbranch_execz .LBB6_6353
; %bb.6352:                             ;   in Loop: Header=BB6_5404 Depth=2
	v_and_b32_e32 v8, 7, v37
	v_lshrrev_b32_e32 v9, 3, v2
	v_cmp_gt_u32_e32 vcc, 8, v2
	v_ffbh_u32_e32 v2, v8
	v_min_u32_e32 v2, 32, v2
	v_subrev_u32_e32 v6, 28, v2
	v_lshlrev_b64 v[6:7], v6, v[37:38]
	v_sub_u32_e32 v2, 29, v2
	v_and_b32_e32 v6, 7, v6
	v_cndmask_b32_e32 v2, v9, v2, vcc
	v_cndmask_b32_e32 v6, v8, v6, vcc
	v_lshlrev_b32_e32 v7, 16, v36
	v_lshlrev_b32_e32 v6, 20, v6
	v_and_b32_e32 v7, 0x80000000, v7
	v_lshl_add_u32 v2, v2, 23, v5
	v_or3_b32 v6, v7, v2, v6
.LBB6_6353:                             ;   in Loop: Header=BB6_5404 Depth=2
	s_or_b64 exec, exec, s[92:93]
.LBB6_6354:                             ;   in Loop: Header=BB6_5404 Depth=2
	s_or_b64 exec, exec, s[90:91]
.LBB6_6355:                             ;   in Loop: Header=BB6_5404 Depth=2
	s_or_b64 exec, exec, s[20:21]
	v_max_f32_e32 v2, v6, v6
	v_max_f32_e32 v4, v4, v4
	v_min_f32_e32 v6, v4, v2
.LBB6_6356:                             ;   in Loop: Header=BB6_5404 Depth=2
	v_and_b32_e32 v2, 0x7f800000, v6
	v_cmp_ne_u64_e32 vcc, s[62:63], v[2:3]
                                        ; implicit-def: $vgpr2
                                        ; kill: killed $vgpr2
	s_and_saveexec_b64 s[20:21], vcc
	s_xor_b64 s[90:91], exec, s[20:21]
	s_cbranch_execz .LBB6_6370
; %bb.6357:                             ;   in Loop: Header=BB6_5404 Depth=2
	v_and_b32_e32 v2, 0x7fffffff, v6
	v_cmp_gt_u64_e32 vcc, s[72:73], v[2:3]
	v_and_b32_sdwa v4, v6, s49 dst_sel:DWORD dst_unused:UNUSED_PAD src0_sel:BYTE_3 src1_sel:DWORD
                                        ; implicit-def: $vgpr2
                                        ; kill: killed $vgpr2
	s_and_saveexec_b64 s[20:21], vcc
	s_xor_b64 s[92:93], exec, s[20:21]
	s_cbranch_execz .LBB6_6367
; %bb.6358:                             ;   in Loop: Header=BB6_5404 Depth=2
	v_mov_b32_e32 v2, 0
	v_cmp_ne_u32_e32 vcc, 0, v6
	buffer_store_dword v2, off, s[0:3], s33 offset:132 ; 4-byte Folded Spill
	s_and_saveexec_b64 s[94:95], vcc
	s_cbranch_execz .LBB6_6366
; %bb.6359:                             ;   in Loop: Header=BB6_5404 Depth=2
	v_and_b32_e32 v2, 0x7fffff, v6
	v_bfe_u32 v6, v6, 23, 8
	v_cmp_gt_u32_e64 s[20:21], s53, v6
	v_sub_u32_e32 v7, 0x79, v6
	v_cmp_eq_u32_e32 vcc, 0, v6
	v_cndmask_b32_e64 v7, 0, v7, s[20:21]
	v_mov_b32_e32 v9, 0x78
	v_or_b32_e32 v8, 0x800000, v2
	v_cndmask_b32_e32 v7, v7, v9, vcc
	v_cndmask_b32_e32 v2, v8, v2, vcc
	v_add_u32_e32 v8, 20, v7
	v_lshlrev_b64 v[8:9], v8, -1
	v_add_u32_e32 v30, 19, v7
	v_lshlrev_b64 v[30:31], v30, 1
	v_bfi_b32 v9, v9, 0, 0
	v_bfi_b32 v8, v8, 0, v2
	v_cmp_eq_u64_e64 s[20:21], v[8:9], v[30:31]
	v_lshrrev_b64 v[30:31], v7, v[2:3]
	v_mov_b32_e32 v37, v31
	v_mov_b32_e32 v36, v30
	s_and_saveexec_b64 s[30:31], s[20:21]
; %bb.6360:                             ;   in Loop: Header=BB6_5404 Depth=2
	v_bfe_u32 v2, v30, 20, 1
	v_add_co_u32_e64 v2, s[20:21], v30, v2
	v_add_co_u32_e64 v36, s[20:21], -1, v2
; %bb.6361:                             ;   in Loop: Header=BB6_5404 Depth=2
	s_or_b64 exec, exec, s[30:31]
	v_add_u32_e32 v2, 0xffffff81, v6
	v_cndmask_b32_e32 v2, v2, v59, vcc
	v_lshrrev_b32_e32 v6, 23, v30
	v_add3_u32 v8, v7, v2, v6
	v_add_u32_e32 v7, 6, v8
	v_and_b32_e32 v2, 0xfffff, v36
	v_add_u32_e32 v2, v2, v30
	v_cmp_ne_u32_e32 vcc, 0, v7
                                        ; implicit-def: $vgpr30_vgpr31
                                        ; implicit-def: $vgpr6
	s_and_saveexec_b64 s[20:21], vcc
	s_xor_b64 s[20:21], exec, s[20:21]
; %bb.6362:                             ;   in Loop: Header=BB6_5404 Depth=2
	v_cmp_lt_u64_e32 vcc, s[74:75], v[2:3]
	v_add_u32_e32 v6, 7, v8
	v_cndmask_b32_e32 v6, v7, v6, vcc
	v_cndmask_b32_e64 v7, 0, 1, vcc
	v_lshrrev_b64 v[30:31], v7, v[2:3]
; %bb.6363:                             ;   in Loop: Header=BB6_5404 Depth=2
	s_andn2_saveexec_b64 s[20:21], s[20:21]
; %bb.6364:                             ;   in Loop: Header=BB6_5404 Depth=2
	v_mov_b32_e32 v31, v3
	v_bfe_u32 v6, v2, 23, 1
	v_mov_b32_e32 v30, v2
; %bb.6365:                             ;   in Loop: Header=BB6_5404 Depth=2
	s_or_b64 exec, exec, s[20:21]
	v_lshrrev_b64 v[7:8], 20, v[30:31]
	v_cmp_gt_i32_e32 vcc, 16, v6
	v_cndmask_b32_e32 v8, 0, v8, vcc
	v_cndmask_b32_e32 v7, 7, v7, vcc
	v_min_i32_e32 v2, 15, v6
	v_cmp_eq_u64_e64 s[20:21], 0, v[7:8]
	v_lshlrev_b32_e32 v2, 3, v2
	v_cmp_eq_u32_e32 vcc, 0, v6
	v_and_b32_e32 v2, 0xf8, v2
	v_and_or_b32 v2, v7, 7, v2
	s_and_b64 s[20:21], vcc, s[20:21]
	v_cndmask_b32_e64 v2, v2, 0, s[20:21]
	v_or_b32_e32 v2, v2, v4
	buffer_store_dword v2, off, s[0:3], s33 offset:132 ; 4-byte Folded Spill
.LBB6_6366:                             ;   in Loop: Header=BB6_5404 Depth=2
	s_or_b64 exec, exec, s[94:95]
                                        ; implicit-def: $vgpr4
.LBB6_6367:                             ;   in Loop: Header=BB6_5404 Depth=2
	s_andn2_saveexec_b64 s[20:21], s[92:93]
	s_cbranch_execz .LBB6_6369
; %bb.6368:                             ;   in Loop: Header=BB6_5404 Depth=2
	v_or_b32_e32 v2, 0x7e, v4
	buffer_store_dword v2, off, s[0:3], s33 offset:132 ; 4-byte Folded Spill
.LBB6_6369:                             ;   in Loop: Header=BB6_5404 Depth=2
	s_or_b64 exec, exec, s[20:21]
                                        ; implicit-def: $vgpr6
.LBB6_6370:                             ;   in Loop: Header=BB6_5404 Depth=2
	s_andn2_saveexec_b64 s[20:21], s[90:91]
	s_cbranch_execz .LBB6_6372
; %bb.6371:                             ;   in Loop: Header=BB6_5404 Depth=2
	v_or_b32_sdwa v2, v6, s51 dst_sel:DWORD dst_unused:UNUSED_PAD src0_sel:BYTE_3 src1_sel:DWORD
	buffer_store_dword v2, off, s[0:3], s33 offset:132 ; 4-byte Folded Spill
.LBB6_6372:                             ;   in Loop: Header=BB6_5404 Depth=2
	s_or_b64 exec, exec, s[20:21]
	v_lshrrev_b32_e32 v36, 16, v33
	v_lshrrev_b32_e32 v2, 16, v27
	v_cmp_ne_u16_sdwa s[20:21], v36, v3 src0_sel:BYTE_0 src1_sel:DWORD
	s_and_b64 vcc, exec, s[18:19]
	s_mov_b64 s[90:91], -1
                                        ; implicit-def: $vgpr6
	s_cbranch_vccnz .LBB6_6386
; %bb.6373:                             ;   in Loop: Header=BB6_5404 Depth=2
	v_mov_b32_e32 v6, 0
	v_mov_b32_e32 v4, 0
	s_and_saveexec_b64 s[90:91], s[20:21]
	s_cbranch_execz .LBB6_6379
; %bb.6374:                             ;   in Loop: Header=BB6_5404 Depth=2
	v_cmp_ne_u16_sdwa s[94:95], v36, s49 src0_sel:BYTE_0 src1_sel:DWORD
	v_bfrev_b32_e32 v4, 1
	s_and_saveexec_b64 s[92:93], s[94:95]
	s_cbranch_execz .LBB6_6378
; %bb.6375:                             ;   in Loop: Header=BB6_5404 Depth=2
	v_bfe_u32 v7, v33, 16, 7
	v_cmp_ne_u32_e32 vcc, s51, v7
	v_mov_b32_e32 v4, 0x7f800001
	s_and_saveexec_b64 s[94:95], vcc
	s_cbranch_execz .LBB6_6377
; %bb.6376:                             ;   in Loop: Header=BB6_5404 Depth=2
	v_and_b32_e32 v4, 7, v36
	v_lshrrev_b32_e32 v9, 3, v7
	v_cmp_gt_u32_e32 vcc, 8, v7
	v_ffbh_u32_e32 v7, v4
	v_min_u32_e32 v30, 32, v7
	v_subrev_u32_e32 v7, 28, v30
	v_lshlrev_b64 v[7:8], v7, v[36:37]
	v_sub_u32_e32 v8, 29, v30
	v_and_b32_e32 v7, 7, v7
	v_cndmask_b32_e32 v8, v9, v8, vcc
	v_cndmask_b32_e32 v4, v4, v7, vcc
	v_lshlrev_b32_e32 v7, 24, v36
	v_lshlrev_b32_e32 v4, 20, v4
	v_and_b32_e32 v7, 0x80000000, v7
	v_lshl_add_u32 v8, v8, 23, v5
	v_or3_b32 v4, v7, v8, v4
.LBB6_6377:                             ;   in Loop: Header=BB6_5404 Depth=2
	s_or_b64 exec, exec, s[94:95]
.LBB6_6378:                             ;   in Loop: Header=BB6_5404 Depth=2
	s_or_b64 exec, exec, s[92:93]
.LBB6_6379:                             ;   in Loop: Header=BB6_5404 Depth=2
	s_or_b64 exec, exec, s[90:91]
	v_cmp_ne_u16_sdwa s[92:93], v2, v3 src0_sel:BYTE_0 src1_sel:DWORD
	s_and_saveexec_b64 s[90:91], s[92:93]
	s_cbranch_execz .LBB6_6385
; %bb.6380:                             ;   in Loop: Header=BB6_5404 Depth=2
	v_cmp_ne_u16_sdwa s[94:95], v2, s49 src0_sel:BYTE_0 src1_sel:DWORD
	v_bfrev_b32_e32 v6, 1
	s_and_saveexec_b64 s[92:93], s[94:95]
	s_cbranch_execz .LBB6_6384
; %bb.6381:                             ;   in Loop: Header=BB6_5404 Depth=2
	v_bfe_u32 v7, v27, 16, 7
	v_cmp_ne_u32_e32 vcc, s51, v7
	v_mov_b32_e32 v6, 0x7f800001
	s_and_saveexec_b64 s[94:95], vcc
	s_cbranch_execz .LBB6_6383
; %bb.6382:                             ;   in Loop: Header=BB6_5404 Depth=2
	v_and_b32_e32 v8, 7, v2
	v_ffbh_u32_e32 v6, v8
	v_min_u32_e32 v30, 32, v6
	v_subrev_u32_e32 v6, 28, v30
	v_lshrrev_b32_e32 v9, 3, v7
	v_cmp_gt_u32_e32 vcc, 8, v7
	v_lshlrev_b64 v[6:7], v6, v[2:3]
	v_sub_u32_e32 v7, 29, v30
	v_and_b32_e32 v6, 7, v6
	v_cndmask_b32_e32 v7, v9, v7, vcc
	v_cndmask_b32_e32 v6, v8, v6, vcc
	v_lshlrev_b32_e32 v8, 24, v2
	v_lshlrev_b32_e32 v6, 20, v6
	v_and_b32_e32 v8, 0x80000000, v8
	v_lshl_add_u32 v7, v7, 23, v5
	v_or3_b32 v6, v8, v7, v6
.LBB6_6383:                             ;   in Loop: Header=BB6_5404 Depth=2
	s_or_b64 exec, exec, s[94:95]
.LBB6_6384:                             ;   in Loop: Header=BB6_5404 Depth=2
	s_or_b64 exec, exec, s[92:93]
.LBB6_6385:                             ;   in Loop: Header=BB6_5404 Depth=2
	s_or_b64 exec, exec, s[90:91]
	v_max_f32_e32 v6, v6, v6
	v_max_f32_e32 v4, v4, v4
	;; [unrolled: 1-line block ×3, first 2 shown]
	s_mov_b64 s[90:91], 0
.LBB6_6386:                             ;   in Loop: Header=BB6_5404 Depth=2
	s_and_b64 vcc, exec, s[90:91]
	s_cbranch_vccz .LBB6_6400
; %bb.6387:                             ;   in Loop: Header=BB6_5404 Depth=2
	v_mov_b32_e32 v6, 0
	v_mov_b32_e32 v4, 0
	s_and_saveexec_b64 s[90:91], s[20:21]
	s_cbranch_execz .LBB6_6393
; %bb.6388:                             ;   in Loop: Header=BB6_5404 Depth=2
	v_cmp_ne_u16_sdwa s[92:93], v36, s49 src0_sel:BYTE_0 src1_sel:DWORD
	v_bfrev_b32_e32 v4, 1
	s_and_saveexec_b64 s[20:21], s[92:93]
	s_cbranch_execz .LBB6_6392
; %bb.6389:                             ;   in Loop: Header=BB6_5404 Depth=2
	v_bfe_u32 v7, v33, 16, 7
	v_cmp_ne_u32_e32 vcc, s51, v7
	v_mov_b32_e32 v4, 0x7f800001
	s_and_saveexec_b64 s[92:93], vcc
	s_cbranch_execz .LBB6_6391
; %bb.6390:                             ;   in Loop: Header=BB6_5404 Depth=2
	v_and_b32_e32 v4, 7, v36
	v_lshrrev_b32_e32 v9, 3, v7
	v_cmp_gt_u32_e32 vcc, 8, v7
	v_ffbh_u32_e32 v7, v4
	v_min_u32_e32 v30, 32, v7
	v_subrev_u32_e32 v7, 28, v30
	v_lshlrev_b64 v[7:8], v7, v[36:37]
	v_sub_u32_e32 v8, 29, v30
	v_and_b32_e32 v7, 7, v7
	v_cndmask_b32_e32 v8, v9, v8, vcc
	v_cndmask_b32_e32 v4, v4, v7, vcc
	v_lshlrev_b32_e32 v7, 24, v36
	v_lshlrev_b32_e32 v4, 20, v4
	v_and_b32_e32 v7, 0x80000000, v7
	v_lshl_add_u32 v8, v8, 23, v5
	v_or3_b32 v4, v7, v8, v4
.LBB6_6391:                             ;   in Loop: Header=BB6_5404 Depth=2
	s_or_b64 exec, exec, s[92:93]
.LBB6_6392:                             ;   in Loop: Header=BB6_5404 Depth=2
	s_or_b64 exec, exec, s[20:21]
.LBB6_6393:                             ;   in Loop: Header=BB6_5404 Depth=2
	s_or_b64 exec, exec, s[90:91]
	v_cmp_ne_u16_sdwa s[90:91], v2, v3 src0_sel:BYTE_0 src1_sel:DWORD
	s_and_saveexec_b64 s[20:21], s[90:91]
	s_cbranch_execz .LBB6_6399
; %bb.6394:                             ;   in Loop: Header=BB6_5404 Depth=2
	v_cmp_ne_u16_sdwa s[92:93], v2, s49 src0_sel:BYTE_0 src1_sel:DWORD
	v_bfrev_b32_e32 v6, 1
	s_and_saveexec_b64 s[90:91], s[92:93]
	s_cbranch_execz .LBB6_6398
; %bb.6395:                             ;   in Loop: Header=BB6_5404 Depth=2
	v_bfe_u32 v7, v27, 16, 7
	v_cmp_ne_u32_e32 vcc, s51, v7
	v_mov_b32_e32 v6, 0x7f800001
	s_and_saveexec_b64 s[92:93], vcc
	s_cbranch_execz .LBB6_6397
; %bb.6396:                             ;   in Loop: Header=BB6_5404 Depth=2
	v_and_b32_e32 v8, 7, v2
	v_ffbh_u32_e32 v6, v8
	v_min_u32_e32 v30, 32, v6
	v_subrev_u32_e32 v6, 28, v30
	v_lshrrev_b32_e32 v9, 3, v7
	v_cmp_gt_u32_e32 vcc, 8, v7
	v_lshlrev_b64 v[6:7], v6, v[2:3]
	v_sub_u32_e32 v7, 29, v30
	v_and_b32_e32 v6, 7, v6
	v_cndmask_b32_e32 v7, v9, v7, vcc
	v_cndmask_b32_e32 v6, v8, v6, vcc
	v_lshlrev_b32_e32 v2, 24, v2
	v_lshlrev_b32_e32 v6, 20, v6
	v_and_b32_e32 v2, 0x80000000, v2
	v_lshl_add_u32 v7, v7, 23, v5
	v_or3_b32 v6, v2, v7, v6
.LBB6_6397:                             ;   in Loop: Header=BB6_5404 Depth=2
	s_or_b64 exec, exec, s[92:93]
.LBB6_6398:                             ;   in Loop: Header=BB6_5404 Depth=2
	s_or_b64 exec, exec, s[90:91]
.LBB6_6399:                             ;   in Loop: Header=BB6_5404 Depth=2
	s_or_b64 exec, exec, s[20:21]
	v_max_f32_e32 v2, v6, v6
	v_max_f32_e32 v4, v4, v4
	v_min_f32_e32 v6, v4, v2
.LBB6_6400:                             ;   in Loop: Header=BB6_5404 Depth=2
	v_and_b32_e32 v2, 0x7f800000, v6
	v_cmp_ne_u64_e32 vcc, s[62:63], v[2:3]
                                        ; implicit-def: $vgpr2
                                        ; kill: killed $vgpr2
	s_and_saveexec_b64 s[20:21], vcc
	s_xor_b64 s[90:91], exec, s[20:21]
	s_cbranch_execz .LBB6_6414
; %bb.6401:                             ;   in Loop: Header=BB6_5404 Depth=2
	v_and_b32_e32 v2, 0x7fffffff, v6
	v_cmp_gt_u64_e32 vcc, s[72:73], v[2:3]
	v_and_b32_sdwa v4, v6, s49 dst_sel:DWORD dst_unused:UNUSED_PAD src0_sel:BYTE_3 src1_sel:DWORD
                                        ; implicit-def: $vgpr2
                                        ; kill: killed $vgpr2
	s_and_saveexec_b64 s[20:21], vcc
	s_xor_b64 s[92:93], exec, s[20:21]
	s_cbranch_execz .LBB6_6411
; %bb.6402:                             ;   in Loop: Header=BB6_5404 Depth=2
	v_mov_b32_e32 v2, 0
	v_cmp_ne_u32_e32 vcc, 0, v6
	buffer_store_dword v2, off, s[0:3], s33 offset:136 ; 4-byte Folded Spill
	s_and_saveexec_b64 s[94:95], vcc
	s_cbranch_execz .LBB6_6410
; %bb.6403:                             ;   in Loop: Header=BB6_5404 Depth=2
	v_and_b32_e32 v2, 0x7fffff, v6
	v_bfe_u32 v6, v6, 23, 8
	v_cmp_gt_u32_e64 s[20:21], s53, v6
	v_sub_u32_e32 v7, 0x79, v6
	v_cmp_eq_u32_e32 vcc, 0, v6
	v_cndmask_b32_e64 v7, 0, v7, s[20:21]
	v_mov_b32_e32 v9, 0x78
	v_or_b32_e32 v8, 0x800000, v2
	v_cndmask_b32_e32 v7, v7, v9, vcc
	v_cndmask_b32_e32 v2, v8, v2, vcc
	v_add_u32_e32 v8, 20, v7
	v_lshlrev_b64 v[8:9], v8, -1
	v_add_u32_e32 v30, 19, v7
	v_lshlrev_b64 v[30:31], v30, 1
	v_bfi_b32 v9, v9, 0, 0
	v_bfi_b32 v8, v8, 0, v2
	v_cmp_eq_u64_e64 s[20:21], v[8:9], v[30:31]
	v_lshrrev_b64 v[30:31], v7, v[2:3]
	v_mov_b32_e32 v37, v31
	v_mov_b32_e32 v36, v30
	s_and_saveexec_b64 s[30:31], s[20:21]
; %bb.6404:                             ;   in Loop: Header=BB6_5404 Depth=2
	v_bfe_u32 v2, v30, 20, 1
	v_add_co_u32_e64 v2, s[20:21], v30, v2
	v_add_co_u32_e64 v36, s[20:21], -1, v2
; %bb.6405:                             ;   in Loop: Header=BB6_5404 Depth=2
	s_or_b64 exec, exec, s[30:31]
	v_add_u32_e32 v2, 0xffffff81, v6
	v_cndmask_b32_e32 v2, v2, v59, vcc
	v_lshrrev_b32_e32 v6, 23, v30
	v_add3_u32 v8, v7, v2, v6
	v_add_u32_e32 v7, 6, v8
	v_and_b32_e32 v2, 0xfffff, v36
	v_add_u32_e32 v2, v2, v30
	v_cmp_ne_u32_e32 vcc, 0, v7
                                        ; implicit-def: $vgpr30_vgpr31
                                        ; implicit-def: $vgpr6
	s_and_saveexec_b64 s[20:21], vcc
	s_xor_b64 s[20:21], exec, s[20:21]
; %bb.6406:                             ;   in Loop: Header=BB6_5404 Depth=2
	v_cmp_lt_u64_e32 vcc, s[74:75], v[2:3]
	v_add_u32_e32 v6, 7, v8
	v_cndmask_b32_e32 v6, v7, v6, vcc
	v_cndmask_b32_e64 v7, 0, 1, vcc
	v_lshrrev_b64 v[30:31], v7, v[2:3]
; %bb.6407:                             ;   in Loop: Header=BB6_5404 Depth=2
	s_andn2_saveexec_b64 s[20:21], s[20:21]
; %bb.6408:                             ;   in Loop: Header=BB6_5404 Depth=2
	v_mov_b32_e32 v31, v3
	v_bfe_u32 v6, v2, 23, 1
	v_mov_b32_e32 v30, v2
; %bb.6409:                             ;   in Loop: Header=BB6_5404 Depth=2
	s_or_b64 exec, exec, s[20:21]
	v_lshrrev_b64 v[7:8], 20, v[30:31]
	v_cmp_gt_i32_e32 vcc, 16, v6
	v_cndmask_b32_e32 v8, 0, v8, vcc
	v_cndmask_b32_e32 v7, 7, v7, vcc
	v_min_i32_e32 v2, 15, v6
	v_cmp_eq_u64_e64 s[20:21], 0, v[7:8]
	v_lshlrev_b32_e32 v2, 3, v2
	v_cmp_eq_u32_e32 vcc, 0, v6
	v_and_b32_e32 v2, 0xf8, v2
	v_and_or_b32 v2, v7, 7, v2
	s_and_b64 s[20:21], vcc, s[20:21]
	v_cndmask_b32_e64 v2, v2, 0, s[20:21]
	v_or_b32_e32 v2, v2, v4
	buffer_store_dword v2, off, s[0:3], s33 offset:136 ; 4-byte Folded Spill
.LBB6_6410:                             ;   in Loop: Header=BB6_5404 Depth=2
	s_or_b64 exec, exec, s[94:95]
                                        ; implicit-def: $vgpr4
.LBB6_6411:                             ;   in Loop: Header=BB6_5404 Depth=2
	s_andn2_saveexec_b64 s[20:21], s[92:93]
	s_cbranch_execz .LBB6_6413
; %bb.6412:                             ;   in Loop: Header=BB6_5404 Depth=2
	v_or_b32_e32 v2, 0x7e, v4
	buffer_store_dword v2, off, s[0:3], s33 offset:136 ; 4-byte Folded Spill
.LBB6_6413:                             ;   in Loop: Header=BB6_5404 Depth=2
	s_or_b64 exec, exec, s[20:21]
                                        ; implicit-def: $vgpr6
.LBB6_6414:                             ;   in Loop: Header=BB6_5404 Depth=2
	s_andn2_saveexec_b64 s[20:21], s[90:91]
	s_cbranch_execz .LBB6_6416
; %bb.6415:                             ;   in Loop: Header=BB6_5404 Depth=2
	v_or_b32_sdwa v2, v6, s51 dst_sel:DWORD dst_unused:UNUSED_PAD src0_sel:BYTE_3 src1_sel:DWORD
	buffer_store_dword v2, off, s[0:3], s33 offset:136 ; 4-byte Folded Spill
.LBB6_6416:                             ;   in Loop: Header=BB6_5404 Depth=2
	s_or_b64 exec, exec, s[20:21]
	v_cmp_lt_u64_e64 s[20:21], s[76:77], v[32:33]
	v_lshrrev_b32_e32 v36, 24, v33
	v_lshrrev_b32_e32 v2, 24, v27
	s_and_b64 vcc, exec, s[18:19]
	s_mov_b64 s[90:91], -1
                                        ; implicit-def: $vgpr6
	s_cbranch_vccnz .LBB6_6430
; %bb.6417:                             ;   in Loop: Header=BB6_5404 Depth=2
	v_mov_b32_e32 v6, 0
	v_mov_b32_e32 v4, 0
	s_and_saveexec_b64 s[90:91], s[20:21]
	s_cbranch_execz .LBB6_6423
; %bb.6418:                             ;   in Loop: Header=BB6_5404 Depth=2
	v_cmp_ne_u32_e32 vcc, s49, v36
	v_bfrev_b32_e32 v4, 1
	s_and_saveexec_b64 s[92:93], vcc
	s_cbranch_execz .LBB6_6422
; %bb.6419:                             ;   in Loop: Header=BB6_5404 Depth=2
	v_bfe_u32 v7, v33, 24, 7
	v_cmp_ne_u32_e32 vcc, s51, v7
	v_mov_b32_e32 v4, 0x7f800001
	s_and_saveexec_b64 s[94:95], vcc
	s_cbranch_execz .LBB6_6421
; %bb.6420:                             ;   in Loop: Header=BB6_5404 Depth=2
	v_and_b32_e32 v4, 7, v36
	v_lshrrev_b32_e32 v9, 3, v7
	v_cmp_gt_u32_e32 vcc, 8, v7
	v_ffbh_u32_e32 v7, v4
	v_min_u32_e32 v30, 32, v7
	v_subrev_u32_e32 v7, 28, v30
	v_lshlrev_b64 v[7:8], v7, v[36:37]
	v_sub_u32_e32 v8, 29, v30
	v_and_b32_e32 v7, 7, v7
	v_cndmask_b32_e32 v8, v9, v8, vcc
	v_cndmask_b32_e32 v4, v4, v7, vcc
	v_lshlrev_b32_e32 v7, 24, v36
	v_lshlrev_b32_e32 v4, 20, v4
	v_and_b32_e32 v7, 0x80000000, v7
	v_lshl_add_u32 v8, v8, 23, v5
	v_or3_b32 v4, v7, v8, v4
.LBB6_6421:                             ;   in Loop: Header=BB6_5404 Depth=2
	s_or_b64 exec, exec, s[94:95]
.LBB6_6422:                             ;   in Loop: Header=BB6_5404 Depth=2
	s_or_b64 exec, exec, s[92:93]
.LBB6_6423:                             ;   in Loop: Header=BB6_5404 Depth=2
	s_or_b64 exec, exec, s[90:91]
	v_cmp_lt_u64_e32 vcc, s[76:77], v[26:27]
	s_and_saveexec_b64 s[90:91], vcc
	s_cbranch_execz .LBB6_6429
; %bb.6424:                             ;   in Loop: Header=BB6_5404 Depth=2
	v_cmp_ne_u32_e32 vcc, s49, v2
	v_bfrev_b32_e32 v6, 1
	s_and_saveexec_b64 s[92:93], vcc
	s_cbranch_execz .LBB6_6428
; %bb.6425:                             ;   in Loop: Header=BB6_5404 Depth=2
	v_bfe_u32 v7, v27, 24, 7
	v_cmp_ne_u32_e32 vcc, s51, v7
	v_mov_b32_e32 v6, 0x7f800001
	s_and_saveexec_b64 s[94:95], vcc
	s_cbranch_execz .LBB6_6427
; %bb.6426:                             ;   in Loop: Header=BB6_5404 Depth=2
	v_and_b32_e32 v8, 7, v2
	v_ffbh_u32_e32 v6, v8
	v_min_u32_e32 v30, 32, v6
	v_subrev_u32_e32 v6, 28, v30
	v_lshrrev_b32_e32 v9, 3, v7
	v_cmp_gt_u32_e32 vcc, 8, v7
	v_lshlrev_b64 v[6:7], v6, v[2:3]
	v_sub_u32_e32 v7, 29, v30
	v_and_b32_e32 v6, 7, v6
	v_cndmask_b32_e32 v7, v9, v7, vcc
	v_cndmask_b32_e32 v6, v8, v6, vcc
	v_lshlrev_b32_e32 v8, 24, v2
	v_lshlrev_b32_e32 v6, 20, v6
	v_and_b32_e32 v8, 0x80000000, v8
	v_lshl_add_u32 v7, v7, 23, v5
	v_or3_b32 v6, v8, v7, v6
.LBB6_6427:                             ;   in Loop: Header=BB6_5404 Depth=2
	s_or_b64 exec, exec, s[94:95]
.LBB6_6428:                             ;   in Loop: Header=BB6_5404 Depth=2
	s_or_b64 exec, exec, s[92:93]
.LBB6_6429:                             ;   in Loop: Header=BB6_5404 Depth=2
	s_or_b64 exec, exec, s[90:91]
	v_max_f32_e32 v6, v6, v6
	v_max_f32_e32 v4, v4, v4
	;; [unrolled: 1-line block ×3, first 2 shown]
	s_mov_b64 s[90:91], 0
.LBB6_6430:                             ;   in Loop: Header=BB6_5404 Depth=2
	s_and_b64 vcc, exec, s[90:91]
	s_cbranch_vccz .LBB6_6444
; %bb.6431:                             ;   in Loop: Header=BB6_5404 Depth=2
	v_mov_b32_e32 v6, 0
	v_mov_b32_e32 v4, 0
	s_and_saveexec_b64 s[90:91], s[20:21]
	s_cbranch_execz .LBB6_6437
; %bb.6432:                             ;   in Loop: Header=BB6_5404 Depth=2
	v_cmp_ne_u32_e32 vcc, s49, v36
	v_bfrev_b32_e32 v4, 1
	s_and_saveexec_b64 s[20:21], vcc
	s_cbranch_execz .LBB6_6436
; %bb.6433:                             ;   in Loop: Header=BB6_5404 Depth=2
	v_bfe_u32 v7, v33, 24, 7
	v_cmp_ne_u32_e32 vcc, s51, v7
	v_mov_b32_e32 v4, 0x7f800001
	s_and_saveexec_b64 s[92:93], vcc
	s_cbranch_execz .LBB6_6435
; %bb.6434:                             ;   in Loop: Header=BB6_5404 Depth=2
	v_and_b32_e32 v4, 7, v36
	v_lshrrev_b32_e32 v9, 3, v7
	v_cmp_gt_u32_e32 vcc, 8, v7
	v_ffbh_u32_e32 v7, v4
	v_min_u32_e32 v30, 32, v7
	v_subrev_u32_e32 v7, 28, v30
	v_lshlrev_b64 v[7:8], v7, v[36:37]
	v_sub_u32_e32 v8, 29, v30
	v_and_b32_e32 v7, 7, v7
	v_cndmask_b32_e32 v8, v9, v8, vcc
	v_cndmask_b32_e32 v4, v4, v7, vcc
	v_lshlrev_b32_e32 v7, 24, v36
	v_lshlrev_b32_e32 v4, 20, v4
	v_and_b32_e32 v7, 0x80000000, v7
	v_lshl_add_u32 v8, v8, 23, v5
	v_or3_b32 v4, v7, v8, v4
.LBB6_6435:                             ;   in Loop: Header=BB6_5404 Depth=2
	s_or_b64 exec, exec, s[92:93]
.LBB6_6436:                             ;   in Loop: Header=BB6_5404 Depth=2
	s_or_b64 exec, exec, s[20:21]
.LBB6_6437:                             ;   in Loop: Header=BB6_5404 Depth=2
	s_or_b64 exec, exec, s[90:91]
	v_cmp_lt_u64_e32 vcc, s[76:77], v[26:27]
	s_and_saveexec_b64 s[20:21], vcc
	s_cbranch_execz .LBB6_6443
; %bb.6438:                             ;   in Loop: Header=BB6_5404 Depth=2
	v_cmp_ne_u32_e32 vcc, s49, v2
	v_bfrev_b32_e32 v6, 1
	s_and_saveexec_b64 s[90:91], vcc
	s_cbranch_execz .LBB6_6442
; %bb.6439:                             ;   in Loop: Header=BB6_5404 Depth=2
	v_bfe_u32 v7, v27, 24, 7
	v_cmp_ne_u32_e32 vcc, s51, v7
	v_mov_b32_e32 v6, 0x7f800001
	s_and_saveexec_b64 s[92:93], vcc
	s_cbranch_execz .LBB6_6441
; %bb.6440:                             ;   in Loop: Header=BB6_5404 Depth=2
	v_and_b32_e32 v8, 7, v2
	v_ffbh_u32_e32 v6, v8
	v_min_u32_e32 v26, 32, v6
	v_subrev_u32_e32 v6, 28, v26
	v_lshrrev_b32_e32 v9, 3, v7
	v_cmp_gt_u32_e32 vcc, 8, v7
	v_lshlrev_b64 v[6:7], v6, v[2:3]
	v_sub_u32_e32 v7, 29, v26
	v_and_b32_e32 v6, 7, v6
	v_cndmask_b32_e32 v7, v9, v7, vcc
	v_cndmask_b32_e32 v6, v8, v6, vcc
	v_lshlrev_b32_e32 v2, 24, v2
	v_lshlrev_b32_e32 v6, 20, v6
	v_and_b32_e32 v2, 0x80000000, v2
	v_lshl_add_u32 v7, v7, 23, v5
	v_or3_b32 v6, v2, v7, v6
.LBB6_6441:                             ;   in Loop: Header=BB6_5404 Depth=2
	s_or_b64 exec, exec, s[92:93]
.LBB6_6442:                             ;   in Loop: Header=BB6_5404 Depth=2
	s_or_b64 exec, exec, s[90:91]
.LBB6_6443:                             ;   in Loop: Header=BB6_5404 Depth=2
	s_or_b64 exec, exec, s[20:21]
	v_max_f32_e32 v2, v6, v6
	v_max_f32_e32 v4, v4, v4
	v_min_f32_e32 v6, v4, v2
.LBB6_6444:                             ;   in Loop: Header=BB6_5404 Depth=2
	v_and_b32_e32 v2, 0x7f800000, v6
	v_cmp_ne_u64_e32 vcc, s[62:63], v[2:3]
                                        ; implicit-def: $vgpr33
	s_and_saveexec_b64 s[20:21], vcc
	s_xor_b64 s[90:91], exec, s[20:21]
	s_cbranch_execz .LBB6_6458
; %bb.6445:                             ;   in Loop: Header=BB6_5404 Depth=2
	v_and_b32_e32 v2, 0x7fffffff, v6
	v_cmp_gt_u64_e32 vcc, s[72:73], v[2:3]
	v_and_b32_sdwa v4, v6, s49 dst_sel:DWORD dst_unused:UNUSED_PAD src0_sel:BYTE_3 src1_sel:DWORD
                                        ; implicit-def: $vgpr33
	s_and_saveexec_b64 s[20:21], vcc
	s_xor_b64 s[92:93], exec, s[20:21]
	s_cbranch_execz .LBB6_6455
; %bb.6446:                             ;   in Loop: Header=BB6_5404 Depth=2
	v_mov_b32_e32 v33, 0
	v_cmp_ne_u32_e32 vcc, 0, v6
	s_and_saveexec_b64 s[94:95], vcc
	s_cbranch_execz .LBB6_6454
; %bb.6447:                             ;   in Loop: Header=BB6_5404 Depth=2
	v_and_b32_e32 v2, 0x7fffff, v6
	v_bfe_u32 v6, v6, 23, 8
	v_cmp_gt_u32_e64 s[20:21], s53, v6
	v_sub_u32_e32 v7, 0x79, v6
	v_cmp_eq_u32_e32 vcc, 0, v6
	v_cndmask_b32_e64 v7, 0, v7, s[20:21]
	v_mov_b32_e32 v9, 0x78
	v_or_b32_e32 v8, 0x800000, v2
	v_cndmask_b32_e32 v7, v7, v9, vcc
	v_cndmask_b32_e32 v2, v8, v2, vcc
	v_add_u32_e32 v8, 20, v7
	v_lshlrev_b64 v[8:9], v8, -1
	v_add_u32_e32 v26, 19, v7
	v_lshlrev_b64 v[26:27], v26, 1
	v_bfi_b32 v9, v9, 0, 0
	v_bfi_b32 v8, v8, 0, v2
	v_cmp_eq_u64_e64 s[20:21], v[8:9], v[26:27]
	v_lshrrev_b64 v[26:27], v7, v[2:3]
	v_mov_b32_e32 v31, v27
	v_mov_b32_e32 v30, v26
	s_and_saveexec_b64 s[30:31], s[20:21]
; %bb.6448:                             ;   in Loop: Header=BB6_5404 Depth=2
	v_bfe_u32 v2, v26, 20, 1
	v_add_co_u32_e64 v2, s[20:21], v26, v2
	v_add_co_u32_e64 v30, s[20:21], -1, v2
; %bb.6449:                             ;   in Loop: Header=BB6_5404 Depth=2
	s_or_b64 exec, exec, s[30:31]
	v_add_u32_e32 v2, 0xffffff81, v6
	v_cndmask_b32_e32 v2, v2, v59, vcc
	v_lshrrev_b32_e32 v6, 23, v26
	v_add3_u32 v8, v7, v2, v6
	v_add_u32_e32 v7, 6, v8
	v_and_b32_e32 v2, 0xfffff, v30
	v_add_u32_e32 v2, v2, v26
	v_cmp_ne_u32_e32 vcc, 0, v7
                                        ; implicit-def: $vgpr26_vgpr27
                                        ; implicit-def: $vgpr6
	s_and_saveexec_b64 s[20:21], vcc
	s_xor_b64 s[20:21], exec, s[20:21]
; %bb.6450:                             ;   in Loop: Header=BB6_5404 Depth=2
	v_cmp_lt_u64_e32 vcc, s[74:75], v[2:3]
	v_add_u32_e32 v6, 7, v8
	v_cndmask_b32_e32 v6, v7, v6, vcc
	v_cndmask_b32_e64 v7, 0, 1, vcc
	v_lshrrev_b64 v[26:27], v7, v[2:3]
; %bb.6451:                             ;   in Loop: Header=BB6_5404 Depth=2
	s_andn2_saveexec_b64 s[20:21], s[20:21]
; %bb.6452:                             ;   in Loop: Header=BB6_5404 Depth=2
	v_mov_b32_e32 v27, v3
	v_bfe_u32 v6, v2, 23, 1
	v_mov_b32_e32 v26, v2
; %bb.6453:                             ;   in Loop: Header=BB6_5404 Depth=2
	s_or_b64 exec, exec, s[20:21]
	v_lshrrev_b64 v[7:8], 20, v[26:27]
	v_cmp_gt_i32_e32 vcc, 16, v6
	v_cndmask_b32_e32 v8, 0, v8, vcc
	v_cndmask_b32_e32 v7, 7, v7, vcc
	v_min_i32_e32 v2, 15, v6
	v_cmp_eq_u64_e64 s[20:21], 0, v[7:8]
	v_lshlrev_b32_e32 v2, 3, v2
	v_cmp_eq_u32_e32 vcc, 0, v6
	v_and_b32_e32 v2, 0xf8, v2
	v_and_or_b32 v2, v7, 7, v2
	s_and_b64 s[20:21], vcc, s[20:21]
	v_cndmask_b32_e64 v2, v2, 0, s[20:21]
	v_or_b32_e32 v33, v2, v4
.LBB6_6454:                             ;   in Loop: Header=BB6_5404 Depth=2
	s_or_b64 exec, exec, s[94:95]
                                        ; implicit-def: $vgpr4
.LBB6_6455:                             ;   in Loop: Header=BB6_5404 Depth=2
	s_andn2_saveexec_b64 s[20:21], s[92:93]
; %bb.6456:                             ;   in Loop: Header=BB6_5404 Depth=2
	v_or_b32_e32 v33, 0x7e, v4
; %bb.6457:                             ;   in Loop: Header=BB6_5404 Depth=2
	s_or_b64 exec, exec, s[20:21]
                                        ; implicit-def: $vgpr6
.LBB6_6458:                             ;   in Loop: Header=BB6_5404 Depth=2
	s_andn2_saveexec_b64 s[20:21], s[90:91]
; %bb.6459:                             ;   in Loop: Header=BB6_5404 Depth=2
	v_or_b32_sdwa v33, v6, s51 dst_sel:DWORD dst_unused:UNUSED_PAD src0_sel:BYTE_3 src1_sel:DWORD
; %bb.6460:                             ;   in Loop: Header=BB6_5404 Depth=2
	s_or_b64 exec, exec, s[20:21]
	v_cmp_ne_u16_sdwa s[20:21], v34, v3 src0_sel:BYTE_0 src1_sel:DWORD
	s_and_b64 vcc, exec, s[18:19]
	s_mov_b64 s[90:91], -1
                                        ; implicit-def: $vgpr6
	s_cbranch_vccnz .LBB6_6474
; %bb.6461:                             ;   in Loop: Header=BB6_5404 Depth=2
	v_mov_b32_e32 v4, 0
	v_mov_b32_e32 v2, 0
	s_and_saveexec_b64 s[90:91], s[20:21]
	s_cbranch_execz .LBB6_6467
; %bb.6462:                             ;   in Loop: Header=BB6_5404 Depth=2
	v_cmp_ne_u16_sdwa s[94:95], v34, s49 src0_sel:BYTE_0 src1_sel:DWORD
	v_bfrev_b32_e32 v2, 1
	s_and_saveexec_b64 s[92:93], s[94:95]
	s_cbranch_execz .LBB6_6466
; %bb.6463:                             ;   in Loop: Header=BB6_5404 Depth=2
	v_and_b32_e32 v6, 0x7f, v34
	v_cmp_ne_u32_e32 vcc, s51, v6
	v_mov_b32_e32 v2, 0x7f800001
	s_and_saveexec_b64 s[94:95], vcc
	s_cbranch_execz .LBB6_6465
; %bb.6464:                             ;   in Loop: Header=BB6_5404 Depth=2
	v_and_b32_e32 v2, 7, v34
	v_ffbh_u32_e32 v2, v2
	v_min_u32_e32 v2, 32, v2
	v_lshrrev_b32_e32 v7, 3, v6
	v_cmp_gt_u32_e32 vcc, 8, v6
	v_subrev_u32_e32 v6, 28, v2
	v_sub_u32_e32 v2, 29, v2
	v_cndmask_b32_e32 v6, 0, v6, vcc
	v_cndmask_b32_e32 v2, v7, v2, vcc
	v_lshlrev_b64 v[6:7], v6, v[34:35]
	v_lshlrev_b32_e32 v7, 24, v34
	v_lshlrev_b32_e32 v6, 20, v6
	v_and_b32_e32 v6, 0x700000, v6
	v_and_b32_e32 v7, 0x80000000, v7
	v_lshl_add_u32 v2, v2, 23, v5
	v_or3_b32 v2, v7, v2, v6
.LBB6_6465:                             ;   in Loop: Header=BB6_5404 Depth=2
	s_or_b64 exec, exec, s[94:95]
.LBB6_6466:                             ;   in Loop: Header=BB6_5404 Depth=2
	s_or_b64 exec, exec, s[92:93]
.LBB6_6467:                             ;   in Loop: Header=BB6_5404 Depth=2
	s_or_b64 exec, exec, s[90:91]
	v_cmp_ne_u16_sdwa s[92:93], v28, v3 src0_sel:BYTE_0 src1_sel:DWORD
	s_and_saveexec_b64 s[90:91], s[92:93]
	s_cbranch_execz .LBB6_6473
; %bb.6468:                             ;   in Loop: Header=BB6_5404 Depth=2
	v_cmp_ne_u16_sdwa s[94:95], v28, s49 src0_sel:BYTE_0 src1_sel:DWORD
	v_bfrev_b32_e32 v4, 1
	s_and_saveexec_b64 s[92:93], s[94:95]
	s_cbranch_execz .LBB6_6472
; %bb.6469:                             ;   in Loop: Header=BB6_5404 Depth=2
	v_and_b32_e32 v6, 0x7f, v28
	v_cmp_ne_u32_e32 vcc, s51, v6
	v_mov_b32_e32 v4, 0x7f800001
	s_and_saveexec_b64 s[94:95], vcc
	s_cbranch_execz .LBB6_6471
; %bb.6470:                             ;   in Loop: Header=BB6_5404 Depth=2
	v_and_b32_e32 v4, 7, v28
	v_ffbh_u32_e32 v4, v4
	v_min_u32_e32 v4, 32, v4
	v_lshrrev_b32_e32 v7, 3, v6
	v_cmp_gt_u32_e32 vcc, 8, v6
	v_subrev_u32_e32 v6, 28, v4
	v_sub_u32_e32 v4, 29, v4
	v_cndmask_b32_e32 v6, 0, v6, vcc
	v_cndmask_b32_e32 v4, v7, v4, vcc
	v_lshlrev_b64 v[6:7], v6, v[28:29]
	v_lshlrev_b32_e32 v7, 24, v28
	v_lshlrev_b32_e32 v6, 20, v6
	v_and_b32_e32 v6, 0x700000, v6
	v_and_b32_e32 v7, 0x80000000, v7
	v_lshl_add_u32 v4, v4, 23, v5
	v_or3_b32 v4, v7, v4, v6
.LBB6_6471:                             ;   in Loop: Header=BB6_5404 Depth=2
	s_or_b64 exec, exec, s[94:95]
.LBB6_6472:                             ;   in Loop: Header=BB6_5404 Depth=2
	s_or_b64 exec, exec, s[92:93]
.LBB6_6473:                             ;   in Loop: Header=BB6_5404 Depth=2
	s_or_b64 exec, exec, s[90:91]
	v_max_f32_e32 v4, v4, v4
	v_max_f32_e32 v2, v2, v2
	;; [unrolled: 1-line block ×3, first 2 shown]
	s_mov_b64 s[90:91], 0
.LBB6_6474:                             ;   in Loop: Header=BB6_5404 Depth=2
	s_and_b64 vcc, exec, s[90:91]
	s_cbranch_vccz .LBB6_6488
; %bb.6475:                             ;   in Loop: Header=BB6_5404 Depth=2
	v_mov_b32_e32 v4, 0
	v_mov_b32_e32 v2, 0
	s_and_saveexec_b64 s[90:91], s[20:21]
	s_cbranch_execz .LBB6_6481
; %bb.6476:                             ;   in Loop: Header=BB6_5404 Depth=2
	v_cmp_ne_u16_sdwa s[92:93], v34, s49 src0_sel:BYTE_0 src1_sel:DWORD
	v_bfrev_b32_e32 v2, 1
	s_and_saveexec_b64 s[20:21], s[92:93]
	s_cbranch_execz .LBB6_6480
; %bb.6477:                             ;   in Loop: Header=BB6_5404 Depth=2
	v_and_b32_e32 v6, 0x7f, v34
	v_cmp_ne_u32_e32 vcc, s51, v6
	v_mov_b32_e32 v2, 0x7f800001
	s_and_saveexec_b64 s[92:93], vcc
	s_cbranch_execz .LBB6_6479
; %bb.6478:                             ;   in Loop: Header=BB6_5404 Depth=2
	v_and_b32_e32 v2, 7, v34
	v_ffbh_u32_e32 v2, v2
	v_min_u32_e32 v2, 32, v2
	v_lshrrev_b32_e32 v7, 3, v6
	v_cmp_gt_u32_e32 vcc, 8, v6
	v_subrev_u32_e32 v6, 28, v2
	v_sub_u32_e32 v2, 29, v2
	v_cndmask_b32_e32 v6, 0, v6, vcc
	v_cndmask_b32_e32 v2, v7, v2, vcc
	v_lshlrev_b64 v[6:7], v6, v[34:35]
	v_lshlrev_b32_e32 v7, 24, v34
	v_lshlrev_b32_e32 v6, 20, v6
	v_and_b32_e32 v6, 0x700000, v6
	v_and_b32_e32 v7, 0x80000000, v7
	v_lshl_add_u32 v2, v2, 23, v5
	v_or3_b32 v2, v7, v2, v6
.LBB6_6479:                             ;   in Loop: Header=BB6_5404 Depth=2
	s_or_b64 exec, exec, s[92:93]
.LBB6_6480:                             ;   in Loop: Header=BB6_5404 Depth=2
	s_or_b64 exec, exec, s[20:21]
.LBB6_6481:                             ;   in Loop: Header=BB6_5404 Depth=2
	s_or_b64 exec, exec, s[90:91]
	v_cmp_ne_u16_sdwa s[90:91], v28, v3 src0_sel:BYTE_0 src1_sel:DWORD
	s_and_saveexec_b64 s[20:21], s[90:91]
	s_cbranch_execz .LBB6_6487
; %bb.6482:                             ;   in Loop: Header=BB6_5404 Depth=2
	v_cmp_ne_u16_sdwa s[92:93], v28, s49 src0_sel:BYTE_0 src1_sel:DWORD
	v_bfrev_b32_e32 v4, 1
	s_and_saveexec_b64 s[90:91], s[92:93]
	s_cbranch_execz .LBB6_6486
; %bb.6483:                             ;   in Loop: Header=BB6_5404 Depth=2
	v_and_b32_e32 v6, 0x7f, v28
	v_cmp_ne_u32_e32 vcc, s51, v6
	v_mov_b32_e32 v4, 0x7f800001
	s_and_saveexec_b64 s[92:93], vcc
	s_cbranch_execz .LBB6_6485
; %bb.6484:                             ;   in Loop: Header=BB6_5404 Depth=2
	v_and_b32_e32 v4, 7, v28
	v_ffbh_u32_e32 v4, v4
	v_min_u32_e32 v4, 32, v4
	v_lshrrev_b32_e32 v7, 3, v6
	v_cmp_gt_u32_e32 vcc, 8, v6
	v_subrev_u32_e32 v6, 28, v4
	v_sub_u32_e32 v4, 29, v4
	v_cndmask_b32_e32 v6, 0, v6, vcc
	v_cndmask_b32_e32 v4, v7, v4, vcc
	v_lshlrev_b64 v[6:7], v6, v[28:29]
	v_lshlrev_b32_e32 v7, 24, v28
	v_lshlrev_b32_e32 v6, 20, v6
	v_and_b32_e32 v6, 0x700000, v6
	v_and_b32_e32 v7, 0x80000000, v7
	v_lshl_add_u32 v4, v4, 23, v5
	v_or3_b32 v4, v7, v4, v6
.LBB6_6485:                             ;   in Loop: Header=BB6_5404 Depth=2
	s_or_b64 exec, exec, s[92:93]
.LBB6_6486:                             ;   in Loop: Header=BB6_5404 Depth=2
	s_or_b64 exec, exec, s[90:91]
.LBB6_6487:                             ;   in Loop: Header=BB6_5404 Depth=2
	s_or_b64 exec, exec, s[20:21]
	v_max_f32_e32 v4, v4, v4
	v_max_f32_e32 v2, v2, v2
	v_min_f32_e32 v6, v2, v4
.LBB6_6488:                             ;   in Loop: Header=BB6_5404 Depth=2
	v_and_b32_e32 v2, 0x7f800000, v6
	v_cmp_ne_u64_e32 vcc, s[62:63], v[2:3]
                                        ; implicit-def: $vgpr2
                                        ; kill: killed $vgpr2
	s_and_saveexec_b64 s[20:21], vcc
	s_xor_b64 s[90:91], exec, s[20:21]
	s_cbranch_execz .LBB6_6502
; %bb.6489:                             ;   in Loop: Header=BB6_5404 Depth=2
	v_and_b32_e32 v2, 0x7fffffff, v6
	v_cmp_gt_u64_e32 vcc, s[72:73], v[2:3]
	v_and_b32_sdwa v4, v6, s49 dst_sel:DWORD dst_unused:UNUSED_PAD src0_sel:BYTE_3 src1_sel:DWORD
                                        ; implicit-def: $vgpr2
                                        ; kill: killed $vgpr2
	s_and_saveexec_b64 s[20:21], vcc
	s_xor_b64 s[92:93], exec, s[20:21]
	s_cbranch_execz .LBB6_6499
; %bb.6490:                             ;   in Loop: Header=BB6_5404 Depth=2
	v_mov_b32_e32 v2, 0
	v_cmp_ne_u32_e32 vcc, 0, v6
	buffer_store_dword v2, off, s[0:3], s33 offset:140 ; 4-byte Folded Spill
	s_and_saveexec_b64 s[94:95], vcc
	s_cbranch_execz .LBB6_6498
; %bb.6491:                             ;   in Loop: Header=BB6_5404 Depth=2
	v_and_b32_e32 v2, 0x7fffff, v6
	v_bfe_u32 v6, v6, 23, 8
	v_cmp_gt_u32_e64 s[20:21], s53, v6
	v_sub_u32_e32 v7, 0x79, v6
	v_cmp_eq_u32_e32 vcc, 0, v6
	v_cndmask_b32_e64 v7, 0, v7, s[20:21]
	v_mov_b32_e32 v9, 0x78
	v_or_b32_e32 v8, 0x800000, v2
	v_cndmask_b32_e32 v7, v7, v9, vcc
	v_cndmask_b32_e32 v2, v8, v2, vcc
	v_add_u32_e32 v8, 20, v7
	v_lshlrev_b64 v[8:9], v8, -1
	v_add_u32_e32 v26, 19, v7
	v_lshlrev_b64 v[26:27], v26, 1
	v_bfi_b32 v9, v9, 0, 0
	v_bfi_b32 v8, v8, 0, v2
	v_cmp_eq_u64_e64 s[20:21], v[8:9], v[26:27]
	v_lshrrev_b64 v[26:27], v7, v[2:3]
	v_mov_b32_e32 v31, v27
	v_mov_b32_e32 v30, v26
	s_and_saveexec_b64 s[30:31], s[20:21]
; %bb.6492:                             ;   in Loop: Header=BB6_5404 Depth=2
	v_bfe_u32 v2, v26, 20, 1
	v_add_co_u32_e64 v2, s[20:21], v26, v2
	v_add_co_u32_e64 v30, s[20:21], -1, v2
; %bb.6493:                             ;   in Loop: Header=BB6_5404 Depth=2
	s_or_b64 exec, exec, s[30:31]
	v_add_u32_e32 v2, 0xffffff81, v6
	v_cndmask_b32_e32 v2, v2, v59, vcc
	v_lshrrev_b32_e32 v6, 23, v26
	v_add3_u32 v8, v7, v2, v6
	v_add_u32_e32 v7, 6, v8
	v_and_b32_e32 v2, 0xfffff, v30
	v_add_u32_e32 v2, v2, v26
	v_cmp_ne_u32_e32 vcc, 0, v7
                                        ; implicit-def: $vgpr26_vgpr27
                                        ; implicit-def: $vgpr6
	s_and_saveexec_b64 s[20:21], vcc
	s_xor_b64 s[20:21], exec, s[20:21]
; %bb.6494:                             ;   in Loop: Header=BB6_5404 Depth=2
	v_cmp_lt_u64_e32 vcc, s[74:75], v[2:3]
	v_add_u32_e32 v6, 7, v8
	v_cndmask_b32_e32 v6, v7, v6, vcc
	v_cndmask_b32_e64 v7, 0, 1, vcc
	v_lshrrev_b64 v[26:27], v7, v[2:3]
; %bb.6495:                             ;   in Loop: Header=BB6_5404 Depth=2
	s_andn2_saveexec_b64 s[20:21], s[20:21]
; %bb.6496:                             ;   in Loop: Header=BB6_5404 Depth=2
	v_mov_b32_e32 v27, v3
	v_bfe_u32 v6, v2, 23, 1
	v_mov_b32_e32 v26, v2
; %bb.6497:                             ;   in Loop: Header=BB6_5404 Depth=2
	s_or_b64 exec, exec, s[20:21]
	v_lshrrev_b64 v[7:8], 20, v[26:27]
	v_cmp_gt_i32_e32 vcc, 16, v6
	v_cndmask_b32_e32 v8, 0, v8, vcc
	v_cndmask_b32_e32 v7, 7, v7, vcc
	v_min_i32_e32 v2, 15, v6
	v_cmp_eq_u64_e64 s[20:21], 0, v[7:8]
	v_lshlrev_b32_e32 v2, 3, v2
	v_cmp_eq_u32_e32 vcc, 0, v6
	v_and_b32_e32 v2, 0xf8, v2
	v_and_or_b32 v2, v7, 7, v2
	s_and_b64 s[20:21], vcc, s[20:21]
	v_cndmask_b32_e64 v2, v2, 0, s[20:21]
	v_or_b32_e32 v2, v2, v4
	buffer_store_dword v2, off, s[0:3], s33 offset:140 ; 4-byte Folded Spill
.LBB6_6498:                             ;   in Loop: Header=BB6_5404 Depth=2
	s_or_b64 exec, exec, s[94:95]
                                        ; implicit-def: $vgpr4
.LBB6_6499:                             ;   in Loop: Header=BB6_5404 Depth=2
	s_andn2_saveexec_b64 s[20:21], s[92:93]
	s_cbranch_execz .LBB6_6501
; %bb.6500:                             ;   in Loop: Header=BB6_5404 Depth=2
	v_or_b32_e32 v2, 0x7e, v4
	buffer_store_dword v2, off, s[0:3], s33 offset:140 ; 4-byte Folded Spill
.LBB6_6501:                             ;   in Loop: Header=BB6_5404 Depth=2
	s_or_b64 exec, exec, s[20:21]
                                        ; implicit-def: $vgpr6
.LBB6_6502:                             ;   in Loop: Header=BB6_5404 Depth=2
	s_andn2_saveexec_b64 s[20:21], s[90:91]
	s_cbranch_execz .LBB6_6504
; %bb.6503:                             ;   in Loop: Header=BB6_5404 Depth=2
	v_or_b32_sdwa v2, v6, s51 dst_sel:DWORD dst_unused:UNUSED_PAD src0_sel:BYTE_3 src1_sel:DWORD
	buffer_store_dword v2, off, s[0:3], s33 offset:140 ; 4-byte Folded Spill
.LBB6_6504:                             ;   in Loop: Header=BB6_5404 Depth=2
	s_or_b64 exec, exec, s[20:21]
	v_lshrrev_b16_e32 v26, 8, v34
	v_lshrrev_b16_e32 v2, 8, v28
	v_cmp_ne_u16_e64 s[20:21], 0, v26
	s_and_b64 vcc, exec, s[18:19]
	s_mov_b64 s[90:91], -1
                                        ; implicit-def: $vgpr6
	s_cbranch_vccnz .LBB6_6518
; %bb.6505:                             ;   in Loop: Header=BB6_5404 Depth=2
	v_mov_b32_e32 v6, 0
	v_mov_b32_e32 v4, 0
	s_and_saveexec_b64 s[90:91], s[20:21]
	s_cbranch_execz .LBB6_6511
; %bb.6506:                             ;   in Loop: Header=BB6_5404 Depth=2
	v_cmp_ne_u16_e32 vcc, s49, v26
	v_bfrev_b32_e32 v4, 1
	s_and_saveexec_b64 s[92:93], vcc
	s_cbranch_execz .LBB6_6510
; %bb.6507:                             ;   in Loop: Header=BB6_5404 Depth=2
	v_and_b32_e32 v7, 0x7f, v26
	v_cmp_ne_u32_e32 vcc, s51, v7
	v_mov_b32_e32 v4, 0x7f800001
	s_and_saveexec_b64 s[94:95], vcc
	s_cbranch_execz .LBB6_6509
; %bb.6508:                             ;   in Loop: Header=BB6_5404 Depth=2
	v_and_b32_e32 v4, 7, v26
	v_lshrrev_b32_e32 v9, 3, v7
	v_cmp_gt_u32_e32 vcc, 8, v7
	v_ffbh_u32_e32 v7, v4
	v_min_u32_e32 v27, 32, v7
	v_subrev_u32_e32 v7, 28, v27
	v_lshlrev_b64 v[7:8], v7, v[26:27]
	v_sub_u32_e32 v8, 29, v27
	v_and_b32_e32 v7, 7, v7
	v_cndmask_b32_e32 v8, v9, v8, vcc
	v_cndmask_b32_e32 v4, v4, v7, vcc
	v_lshlrev_b32_e32 v7, 16, v34
	v_lshlrev_b32_e32 v4, 20, v4
	v_and_b32_e32 v7, 0x80000000, v7
	v_lshl_add_u32 v8, v8, 23, v5
	v_or3_b32 v4, v7, v8, v4
.LBB6_6509:                             ;   in Loop: Header=BB6_5404 Depth=2
	s_or_b64 exec, exec, s[94:95]
.LBB6_6510:                             ;   in Loop: Header=BB6_5404 Depth=2
	s_or_b64 exec, exec, s[92:93]
.LBB6_6511:                             ;   in Loop: Header=BB6_5404 Depth=2
	s_or_b64 exec, exec, s[90:91]
	v_cmp_ne_u16_e32 vcc, 0, v2
	s_and_saveexec_b64 s[90:91], vcc
	s_cbranch_execz .LBB6_6517
; %bb.6512:                             ;   in Loop: Header=BB6_5404 Depth=2
	v_cmp_ne_u16_e32 vcc, s49, v2
	v_bfrev_b32_e32 v6, 1
	s_and_saveexec_b64 s[92:93], vcc
	s_cbranch_execz .LBB6_6516
; %bb.6513:                             ;   in Loop: Header=BB6_5404 Depth=2
	v_and_b32_e32 v7, 0x7f, v2
	v_cmp_ne_u32_e32 vcc, s51, v7
	v_mov_b32_e32 v6, 0x7f800001
	s_and_saveexec_b64 s[94:95], vcc
	s_cbranch_execz .LBB6_6515
; %bb.6514:                             ;   in Loop: Header=BB6_5404 Depth=2
	v_and_b32_e32 v8, 7, v2
	v_ffbh_u32_e32 v6, v8
	v_min_u32_e32 v27, 32, v6
	v_subrev_u32_e32 v6, 28, v27
	v_lshrrev_b32_e32 v9, 3, v7
	v_cmp_gt_u32_e32 vcc, 8, v7
	v_lshlrev_b64 v[6:7], v6, v[2:3]
	v_sub_u32_e32 v7, 29, v27
	v_and_b32_e32 v6, 7, v6
	v_cndmask_b32_e32 v7, v9, v7, vcc
	v_cndmask_b32_e32 v6, v8, v6, vcc
	v_lshlrev_b32_e32 v8, 16, v28
	v_lshlrev_b32_e32 v6, 20, v6
	v_and_b32_e32 v8, 0x80000000, v8
	v_lshl_add_u32 v7, v7, 23, v5
	v_or3_b32 v6, v8, v7, v6
.LBB6_6515:                             ;   in Loop: Header=BB6_5404 Depth=2
	s_or_b64 exec, exec, s[94:95]
.LBB6_6516:                             ;   in Loop: Header=BB6_5404 Depth=2
	s_or_b64 exec, exec, s[92:93]
.LBB6_6517:                             ;   in Loop: Header=BB6_5404 Depth=2
	s_or_b64 exec, exec, s[90:91]
	v_max_f32_e32 v6, v6, v6
	v_max_f32_e32 v4, v4, v4
	;; [unrolled: 1-line block ×3, first 2 shown]
	s_mov_b64 s[90:91], 0
.LBB6_6518:                             ;   in Loop: Header=BB6_5404 Depth=2
	s_and_b64 vcc, exec, s[90:91]
	s_cbranch_vccz .LBB6_6532
; %bb.6519:                             ;   in Loop: Header=BB6_5404 Depth=2
	v_mov_b32_e32 v6, 0
	v_mov_b32_e32 v4, 0
	s_and_saveexec_b64 s[90:91], s[20:21]
	s_cbranch_execz .LBB6_6525
; %bb.6520:                             ;   in Loop: Header=BB6_5404 Depth=2
	v_cmp_ne_u16_e32 vcc, s49, v26
	v_bfrev_b32_e32 v4, 1
	s_and_saveexec_b64 s[20:21], vcc
	s_cbranch_execz .LBB6_6524
; %bb.6521:                             ;   in Loop: Header=BB6_5404 Depth=2
	v_and_b32_e32 v7, 0x7f, v26
	v_cmp_ne_u32_e32 vcc, s51, v7
	v_mov_b32_e32 v4, 0x7f800001
	s_and_saveexec_b64 s[92:93], vcc
	s_cbranch_execz .LBB6_6523
; %bb.6522:                             ;   in Loop: Header=BB6_5404 Depth=2
	v_and_b32_e32 v4, 7, v26
	v_lshrrev_b32_e32 v9, 3, v7
	v_cmp_gt_u32_e32 vcc, 8, v7
	v_ffbh_u32_e32 v7, v4
	v_min_u32_e32 v27, 32, v7
	v_subrev_u32_e32 v7, 28, v27
	v_lshlrev_b64 v[7:8], v7, v[26:27]
	v_sub_u32_e32 v8, 29, v27
	v_and_b32_e32 v7, 7, v7
	v_cndmask_b32_e32 v8, v9, v8, vcc
	v_cndmask_b32_e32 v4, v4, v7, vcc
	v_lshlrev_b32_e32 v7, 16, v34
	v_lshlrev_b32_e32 v4, 20, v4
	v_and_b32_e32 v7, 0x80000000, v7
	v_lshl_add_u32 v8, v8, 23, v5
	v_or3_b32 v4, v7, v8, v4
.LBB6_6523:                             ;   in Loop: Header=BB6_5404 Depth=2
	s_or_b64 exec, exec, s[92:93]
.LBB6_6524:                             ;   in Loop: Header=BB6_5404 Depth=2
	s_or_b64 exec, exec, s[20:21]
.LBB6_6525:                             ;   in Loop: Header=BB6_5404 Depth=2
	s_or_b64 exec, exec, s[90:91]
	v_cmp_ne_u16_e32 vcc, 0, v2
	s_and_saveexec_b64 s[20:21], vcc
	s_cbranch_execz .LBB6_6531
; %bb.6526:                             ;   in Loop: Header=BB6_5404 Depth=2
	v_cmp_ne_u16_e32 vcc, s49, v2
	v_bfrev_b32_e32 v6, 1
	s_and_saveexec_b64 s[90:91], vcc
	s_cbranch_execz .LBB6_6530
; %bb.6527:                             ;   in Loop: Header=BB6_5404 Depth=2
	v_and_b32_e32 v7, 0x7f, v2
	v_cmp_ne_u32_e32 vcc, s51, v7
	v_mov_b32_e32 v6, 0x7f800001
	s_and_saveexec_b64 s[92:93], vcc
	s_cbranch_execz .LBB6_6529
; %bb.6528:                             ;   in Loop: Header=BB6_5404 Depth=2
	v_and_b32_e32 v8, 7, v2
	v_ffbh_u32_e32 v6, v8
	v_min_u32_e32 v26, 32, v6
	v_subrev_u32_e32 v6, 28, v26
	v_lshrrev_b32_e32 v9, 3, v7
	v_cmp_gt_u32_e32 vcc, 8, v7
	v_lshlrev_b64 v[6:7], v6, v[2:3]
	v_sub_u32_e32 v2, 29, v26
	v_and_b32_e32 v6, 7, v6
	v_cndmask_b32_e32 v2, v9, v2, vcc
	v_cndmask_b32_e32 v6, v8, v6, vcc
	v_lshlrev_b32_e32 v7, 16, v28
	v_lshlrev_b32_e32 v6, 20, v6
	v_and_b32_e32 v7, 0x80000000, v7
	v_lshl_add_u32 v2, v2, 23, v5
	v_or3_b32 v6, v7, v2, v6
.LBB6_6529:                             ;   in Loop: Header=BB6_5404 Depth=2
	s_or_b64 exec, exec, s[92:93]
.LBB6_6530:                             ;   in Loop: Header=BB6_5404 Depth=2
	s_or_b64 exec, exec, s[90:91]
.LBB6_6531:                             ;   in Loop: Header=BB6_5404 Depth=2
	s_or_b64 exec, exec, s[20:21]
	v_max_f32_e32 v2, v6, v6
	v_max_f32_e32 v4, v4, v4
	v_min_f32_e32 v6, v4, v2
.LBB6_6532:                             ;   in Loop: Header=BB6_5404 Depth=2
	v_and_b32_e32 v2, 0x7f800000, v6
	v_cmp_ne_u64_e32 vcc, s[62:63], v[2:3]
                                        ; implicit-def: $vgpr2
                                        ; kill: killed $vgpr2
	s_and_saveexec_b64 s[20:21], vcc
	s_xor_b64 s[90:91], exec, s[20:21]
	s_cbranch_execz .LBB6_6546
; %bb.6533:                             ;   in Loop: Header=BB6_5404 Depth=2
	v_and_b32_e32 v2, 0x7fffffff, v6
	v_cmp_gt_u64_e32 vcc, s[72:73], v[2:3]
	v_and_b32_sdwa v4, v6, s49 dst_sel:DWORD dst_unused:UNUSED_PAD src0_sel:BYTE_3 src1_sel:DWORD
                                        ; implicit-def: $vgpr2
                                        ; kill: killed $vgpr2
	s_and_saveexec_b64 s[20:21], vcc
	s_xor_b64 s[92:93], exec, s[20:21]
	s_cbranch_execz .LBB6_6543
; %bb.6534:                             ;   in Loop: Header=BB6_5404 Depth=2
	v_mov_b32_e32 v2, 0
	v_cmp_ne_u32_e32 vcc, 0, v6
	buffer_store_dword v2, off, s[0:3], s33 offset:144 ; 4-byte Folded Spill
	s_and_saveexec_b64 s[94:95], vcc
	s_cbranch_execz .LBB6_6542
; %bb.6535:                             ;   in Loop: Header=BB6_5404 Depth=2
	v_and_b32_e32 v2, 0x7fffff, v6
	v_bfe_u32 v6, v6, 23, 8
	v_cmp_gt_u32_e64 s[20:21], s53, v6
	v_sub_u32_e32 v7, 0x79, v6
	v_cmp_eq_u32_e32 vcc, 0, v6
	v_cndmask_b32_e64 v7, 0, v7, s[20:21]
	v_mov_b32_e32 v9, 0x78
	v_or_b32_e32 v8, 0x800000, v2
	v_cndmask_b32_e32 v7, v7, v9, vcc
	v_cndmask_b32_e32 v2, v8, v2, vcc
	v_add_u32_e32 v8, 20, v7
	v_lshlrev_b64 v[8:9], v8, -1
	v_add_u32_e32 v26, 19, v7
	v_lshlrev_b64 v[26:27], v26, 1
	v_bfi_b32 v9, v9, 0, 0
	v_bfi_b32 v8, v8, 0, v2
	v_cmp_eq_u64_e64 s[20:21], v[8:9], v[26:27]
	v_lshrrev_b64 v[26:27], v7, v[2:3]
	v_mov_b32_e32 v31, v27
	v_mov_b32_e32 v30, v26
	s_and_saveexec_b64 s[30:31], s[20:21]
; %bb.6536:                             ;   in Loop: Header=BB6_5404 Depth=2
	v_bfe_u32 v2, v26, 20, 1
	v_add_co_u32_e64 v2, s[20:21], v26, v2
	v_add_co_u32_e64 v30, s[20:21], -1, v2
; %bb.6537:                             ;   in Loop: Header=BB6_5404 Depth=2
	s_or_b64 exec, exec, s[30:31]
	v_add_u32_e32 v2, 0xffffff81, v6
	v_cndmask_b32_e32 v2, v2, v59, vcc
	v_lshrrev_b32_e32 v6, 23, v26
	v_add3_u32 v8, v7, v2, v6
	v_add_u32_e32 v7, 6, v8
	v_and_b32_e32 v2, 0xfffff, v30
	v_add_u32_e32 v2, v2, v26
	v_cmp_ne_u32_e32 vcc, 0, v7
                                        ; implicit-def: $vgpr26_vgpr27
                                        ; implicit-def: $vgpr6
	s_and_saveexec_b64 s[20:21], vcc
	s_xor_b64 s[20:21], exec, s[20:21]
; %bb.6538:                             ;   in Loop: Header=BB6_5404 Depth=2
	v_cmp_lt_u64_e32 vcc, s[74:75], v[2:3]
	v_add_u32_e32 v6, 7, v8
	v_cndmask_b32_e32 v6, v7, v6, vcc
	v_cndmask_b32_e64 v7, 0, 1, vcc
	v_lshrrev_b64 v[26:27], v7, v[2:3]
; %bb.6539:                             ;   in Loop: Header=BB6_5404 Depth=2
	s_andn2_saveexec_b64 s[20:21], s[20:21]
; %bb.6540:                             ;   in Loop: Header=BB6_5404 Depth=2
	v_mov_b32_e32 v27, v3
	v_bfe_u32 v6, v2, 23, 1
	v_mov_b32_e32 v26, v2
; %bb.6541:                             ;   in Loop: Header=BB6_5404 Depth=2
	s_or_b64 exec, exec, s[20:21]
	v_lshrrev_b64 v[7:8], 20, v[26:27]
	v_cmp_gt_i32_e32 vcc, 16, v6
	v_cndmask_b32_e32 v8, 0, v8, vcc
	v_cndmask_b32_e32 v7, 7, v7, vcc
	v_min_i32_e32 v2, 15, v6
	v_cmp_eq_u64_e64 s[20:21], 0, v[7:8]
	v_lshlrev_b32_e32 v2, 3, v2
	v_cmp_eq_u32_e32 vcc, 0, v6
	v_and_b32_e32 v2, 0xf8, v2
	v_and_or_b32 v2, v7, 7, v2
	s_and_b64 s[20:21], vcc, s[20:21]
	v_cndmask_b32_e64 v2, v2, 0, s[20:21]
	v_or_b32_e32 v2, v2, v4
	buffer_store_dword v2, off, s[0:3], s33 offset:144 ; 4-byte Folded Spill
.LBB6_6542:                             ;   in Loop: Header=BB6_5404 Depth=2
	s_or_b64 exec, exec, s[94:95]
                                        ; implicit-def: $vgpr4
.LBB6_6543:                             ;   in Loop: Header=BB6_5404 Depth=2
	s_andn2_saveexec_b64 s[20:21], s[92:93]
	s_cbranch_execz .LBB6_6545
; %bb.6544:                             ;   in Loop: Header=BB6_5404 Depth=2
	v_or_b32_e32 v2, 0x7e, v4
	buffer_store_dword v2, off, s[0:3], s33 offset:144 ; 4-byte Folded Spill
.LBB6_6545:                             ;   in Loop: Header=BB6_5404 Depth=2
	s_or_b64 exec, exec, s[20:21]
                                        ; implicit-def: $vgpr6
.LBB6_6546:                             ;   in Loop: Header=BB6_5404 Depth=2
	s_andn2_saveexec_b64 s[20:21], s[90:91]
	s_cbranch_execz .LBB6_6548
; %bb.6547:                             ;   in Loop: Header=BB6_5404 Depth=2
	v_or_b32_sdwa v2, v6, s51 dst_sel:DWORD dst_unused:UNUSED_PAD src0_sel:BYTE_3 src1_sel:DWORD
	buffer_store_dword v2, off, s[0:3], s33 offset:144 ; 4-byte Folded Spill
.LBB6_6548:                             ;   in Loop: Header=BB6_5404 Depth=2
	s_or_b64 exec, exec, s[20:21]
	v_lshrrev_b32_e32 v26, 16, v34
	v_lshrrev_b32_e32 v2, 16, v28
	v_cmp_ne_u16_sdwa s[20:21], v26, v3 src0_sel:BYTE_0 src1_sel:DWORD
	s_and_b64 vcc, exec, s[18:19]
	s_mov_b64 s[90:91], -1
                                        ; implicit-def: $vgpr6
	s_cbranch_vccnz .LBB6_6562
; %bb.6549:                             ;   in Loop: Header=BB6_5404 Depth=2
	v_mov_b32_e32 v6, 0
	v_mov_b32_e32 v4, 0
	s_and_saveexec_b64 s[90:91], s[20:21]
	s_cbranch_execz .LBB6_6555
; %bb.6550:                             ;   in Loop: Header=BB6_5404 Depth=2
	v_cmp_ne_u16_sdwa s[94:95], v26, s49 src0_sel:BYTE_0 src1_sel:DWORD
	v_bfrev_b32_e32 v4, 1
	s_and_saveexec_b64 s[92:93], s[94:95]
	s_cbranch_execz .LBB6_6554
; %bb.6551:                             ;   in Loop: Header=BB6_5404 Depth=2
	v_bfe_u32 v7, v34, 16, 7
	v_cmp_ne_u32_e32 vcc, s51, v7
	v_mov_b32_e32 v4, 0x7f800001
	s_and_saveexec_b64 s[94:95], vcc
	s_cbranch_execz .LBB6_6553
; %bb.6552:                             ;   in Loop: Header=BB6_5404 Depth=2
	v_and_b32_e32 v4, 7, v26
	v_lshrrev_b32_e32 v9, 3, v7
	v_cmp_gt_u32_e32 vcc, 8, v7
	v_ffbh_u32_e32 v7, v4
	v_min_u32_e32 v27, 32, v7
	v_subrev_u32_e32 v7, 28, v27
	v_lshlrev_b64 v[7:8], v7, v[26:27]
	v_sub_u32_e32 v8, 29, v27
	v_and_b32_e32 v7, 7, v7
	v_cndmask_b32_e32 v8, v9, v8, vcc
	v_cndmask_b32_e32 v4, v4, v7, vcc
	v_lshlrev_b32_e32 v7, 24, v26
	v_lshlrev_b32_e32 v4, 20, v4
	v_and_b32_e32 v7, 0x80000000, v7
	v_lshl_add_u32 v8, v8, 23, v5
	v_or3_b32 v4, v7, v8, v4
.LBB6_6553:                             ;   in Loop: Header=BB6_5404 Depth=2
	s_or_b64 exec, exec, s[94:95]
.LBB6_6554:                             ;   in Loop: Header=BB6_5404 Depth=2
	s_or_b64 exec, exec, s[92:93]
.LBB6_6555:                             ;   in Loop: Header=BB6_5404 Depth=2
	s_or_b64 exec, exec, s[90:91]
	v_cmp_ne_u16_sdwa s[92:93], v2, v3 src0_sel:BYTE_0 src1_sel:DWORD
	s_and_saveexec_b64 s[90:91], s[92:93]
	s_cbranch_execz .LBB6_6561
; %bb.6556:                             ;   in Loop: Header=BB6_5404 Depth=2
	v_cmp_ne_u16_sdwa s[94:95], v2, s49 src0_sel:BYTE_0 src1_sel:DWORD
	v_bfrev_b32_e32 v6, 1
	s_and_saveexec_b64 s[92:93], s[94:95]
	s_cbranch_execz .LBB6_6560
; %bb.6557:                             ;   in Loop: Header=BB6_5404 Depth=2
	v_bfe_u32 v7, v28, 16, 7
	v_cmp_ne_u32_e32 vcc, s51, v7
	v_mov_b32_e32 v6, 0x7f800001
	s_and_saveexec_b64 s[94:95], vcc
	s_cbranch_execz .LBB6_6559
; %bb.6558:                             ;   in Loop: Header=BB6_5404 Depth=2
	v_and_b32_e32 v8, 7, v2
	v_ffbh_u32_e32 v6, v8
	v_min_u32_e32 v27, 32, v6
	v_subrev_u32_e32 v6, 28, v27
	v_lshrrev_b32_e32 v9, 3, v7
	v_cmp_gt_u32_e32 vcc, 8, v7
	v_lshlrev_b64 v[6:7], v6, v[2:3]
	v_sub_u32_e32 v7, 29, v27
	v_and_b32_e32 v6, 7, v6
	v_cndmask_b32_e32 v7, v9, v7, vcc
	v_cndmask_b32_e32 v6, v8, v6, vcc
	v_lshlrev_b32_e32 v8, 24, v2
	v_lshlrev_b32_e32 v6, 20, v6
	v_and_b32_e32 v8, 0x80000000, v8
	v_lshl_add_u32 v7, v7, 23, v5
	v_or3_b32 v6, v8, v7, v6
.LBB6_6559:                             ;   in Loop: Header=BB6_5404 Depth=2
	s_or_b64 exec, exec, s[94:95]
.LBB6_6560:                             ;   in Loop: Header=BB6_5404 Depth=2
	s_or_b64 exec, exec, s[92:93]
.LBB6_6561:                             ;   in Loop: Header=BB6_5404 Depth=2
	s_or_b64 exec, exec, s[90:91]
	v_max_f32_e32 v6, v6, v6
	v_max_f32_e32 v4, v4, v4
	;; [unrolled: 1-line block ×3, first 2 shown]
	s_mov_b64 s[90:91], 0
.LBB6_6562:                             ;   in Loop: Header=BB6_5404 Depth=2
	s_and_b64 vcc, exec, s[90:91]
	s_cbranch_vccz .LBB6_6576
; %bb.6563:                             ;   in Loop: Header=BB6_5404 Depth=2
	v_mov_b32_e32 v6, 0
	v_mov_b32_e32 v4, 0
	s_and_saveexec_b64 s[90:91], s[20:21]
	s_cbranch_execz .LBB6_6569
; %bb.6564:                             ;   in Loop: Header=BB6_5404 Depth=2
	v_cmp_ne_u16_sdwa s[92:93], v26, s49 src0_sel:BYTE_0 src1_sel:DWORD
	v_bfrev_b32_e32 v4, 1
	s_and_saveexec_b64 s[20:21], s[92:93]
	s_cbranch_execz .LBB6_6568
; %bb.6565:                             ;   in Loop: Header=BB6_5404 Depth=2
	v_bfe_u32 v7, v34, 16, 7
	v_cmp_ne_u32_e32 vcc, s51, v7
	v_mov_b32_e32 v4, 0x7f800001
	s_and_saveexec_b64 s[92:93], vcc
	s_cbranch_execz .LBB6_6567
; %bb.6566:                             ;   in Loop: Header=BB6_5404 Depth=2
	v_and_b32_e32 v4, 7, v26
	v_lshrrev_b32_e32 v9, 3, v7
	v_cmp_gt_u32_e32 vcc, 8, v7
	v_ffbh_u32_e32 v7, v4
	v_min_u32_e32 v27, 32, v7
	v_subrev_u32_e32 v7, 28, v27
	v_lshlrev_b64 v[7:8], v7, v[26:27]
	v_sub_u32_e32 v8, 29, v27
	v_and_b32_e32 v7, 7, v7
	v_cndmask_b32_e32 v8, v9, v8, vcc
	v_cndmask_b32_e32 v4, v4, v7, vcc
	v_lshlrev_b32_e32 v7, 24, v26
	v_lshlrev_b32_e32 v4, 20, v4
	v_and_b32_e32 v7, 0x80000000, v7
	v_lshl_add_u32 v8, v8, 23, v5
	v_or3_b32 v4, v7, v8, v4
.LBB6_6567:                             ;   in Loop: Header=BB6_5404 Depth=2
	s_or_b64 exec, exec, s[92:93]
.LBB6_6568:                             ;   in Loop: Header=BB6_5404 Depth=2
	s_or_b64 exec, exec, s[20:21]
.LBB6_6569:                             ;   in Loop: Header=BB6_5404 Depth=2
	s_or_b64 exec, exec, s[90:91]
	v_cmp_ne_u16_sdwa s[90:91], v2, v3 src0_sel:BYTE_0 src1_sel:DWORD
	s_and_saveexec_b64 s[20:21], s[90:91]
	s_cbranch_execz .LBB6_6575
; %bb.6570:                             ;   in Loop: Header=BB6_5404 Depth=2
	v_cmp_ne_u16_sdwa s[92:93], v2, s49 src0_sel:BYTE_0 src1_sel:DWORD
	v_bfrev_b32_e32 v6, 1
	s_and_saveexec_b64 s[90:91], s[92:93]
	s_cbranch_execz .LBB6_6574
; %bb.6571:                             ;   in Loop: Header=BB6_5404 Depth=2
	v_bfe_u32 v7, v28, 16, 7
	v_cmp_ne_u32_e32 vcc, s51, v7
	v_mov_b32_e32 v6, 0x7f800001
	s_and_saveexec_b64 s[92:93], vcc
	s_cbranch_execz .LBB6_6573
; %bb.6572:                             ;   in Loop: Header=BB6_5404 Depth=2
	v_and_b32_e32 v8, 7, v2
	v_ffbh_u32_e32 v6, v8
	v_min_u32_e32 v26, 32, v6
	v_subrev_u32_e32 v6, 28, v26
	v_lshrrev_b32_e32 v9, 3, v7
	v_cmp_gt_u32_e32 vcc, 8, v7
	v_lshlrev_b64 v[6:7], v6, v[2:3]
	v_sub_u32_e32 v7, 29, v26
	v_and_b32_e32 v6, 7, v6
	v_cndmask_b32_e32 v7, v9, v7, vcc
	v_cndmask_b32_e32 v6, v8, v6, vcc
	v_lshlrev_b32_e32 v2, 24, v2
	v_lshlrev_b32_e32 v6, 20, v6
	v_and_b32_e32 v2, 0x80000000, v2
	v_lshl_add_u32 v7, v7, 23, v5
	v_or3_b32 v6, v2, v7, v6
.LBB6_6573:                             ;   in Loop: Header=BB6_5404 Depth=2
	s_or_b64 exec, exec, s[92:93]
.LBB6_6574:                             ;   in Loop: Header=BB6_5404 Depth=2
	s_or_b64 exec, exec, s[90:91]
.LBB6_6575:                             ;   in Loop: Header=BB6_5404 Depth=2
	s_or_b64 exec, exec, s[20:21]
	v_max_f32_e32 v2, v6, v6
	v_max_f32_e32 v4, v4, v4
	v_min_f32_e32 v6, v4, v2
.LBB6_6576:                             ;   in Loop: Header=BB6_5404 Depth=2
	v_and_b32_e32 v2, 0x7f800000, v6
	v_cmp_ne_u64_e32 vcc, s[62:63], v[2:3]
                                        ; implicit-def: $vgpr2
                                        ; kill: killed $vgpr2
	s_and_saveexec_b64 s[20:21], vcc
	s_xor_b64 s[90:91], exec, s[20:21]
	s_cbranch_execz .LBB6_6590
; %bb.6577:                             ;   in Loop: Header=BB6_5404 Depth=2
	v_and_b32_e32 v2, 0x7fffffff, v6
	v_cmp_gt_u64_e32 vcc, s[72:73], v[2:3]
	v_and_b32_sdwa v4, v6, s49 dst_sel:DWORD dst_unused:UNUSED_PAD src0_sel:BYTE_3 src1_sel:DWORD
                                        ; implicit-def: $vgpr2
                                        ; kill: killed $vgpr2
	s_and_saveexec_b64 s[20:21], vcc
	s_xor_b64 s[92:93], exec, s[20:21]
	s_cbranch_execz .LBB6_6587
; %bb.6578:                             ;   in Loop: Header=BB6_5404 Depth=2
	v_mov_b32_e32 v2, 0
	v_cmp_ne_u32_e32 vcc, 0, v6
	buffer_store_dword v2, off, s[0:3], s33 offset:148 ; 4-byte Folded Spill
	s_and_saveexec_b64 s[94:95], vcc
	s_cbranch_execz .LBB6_6586
; %bb.6579:                             ;   in Loop: Header=BB6_5404 Depth=2
	v_and_b32_e32 v2, 0x7fffff, v6
	v_bfe_u32 v6, v6, 23, 8
	v_cmp_gt_u32_e64 s[20:21], s53, v6
	v_sub_u32_e32 v7, 0x79, v6
	v_cmp_eq_u32_e32 vcc, 0, v6
	v_cndmask_b32_e64 v7, 0, v7, s[20:21]
	v_mov_b32_e32 v9, 0x78
	v_or_b32_e32 v8, 0x800000, v2
	v_cndmask_b32_e32 v7, v7, v9, vcc
	v_cndmask_b32_e32 v2, v8, v2, vcc
	v_add_u32_e32 v8, 20, v7
	v_lshlrev_b64 v[8:9], v8, -1
	v_add_u32_e32 v26, 19, v7
	v_lshlrev_b64 v[26:27], v26, 1
	v_bfi_b32 v9, v9, 0, 0
	v_bfi_b32 v8, v8, 0, v2
	v_cmp_eq_u64_e64 s[20:21], v[8:9], v[26:27]
	v_lshrrev_b64 v[26:27], v7, v[2:3]
	v_mov_b32_e32 v31, v27
	v_mov_b32_e32 v30, v26
	s_and_saveexec_b64 s[30:31], s[20:21]
; %bb.6580:                             ;   in Loop: Header=BB6_5404 Depth=2
	v_bfe_u32 v2, v26, 20, 1
	v_add_co_u32_e64 v2, s[20:21], v26, v2
	v_add_co_u32_e64 v30, s[20:21], -1, v2
; %bb.6581:                             ;   in Loop: Header=BB6_5404 Depth=2
	s_or_b64 exec, exec, s[30:31]
	v_add_u32_e32 v2, 0xffffff81, v6
	v_cndmask_b32_e32 v2, v2, v59, vcc
	v_lshrrev_b32_e32 v6, 23, v26
	v_add3_u32 v8, v7, v2, v6
	v_add_u32_e32 v7, 6, v8
	v_and_b32_e32 v2, 0xfffff, v30
	v_add_u32_e32 v2, v2, v26
	v_cmp_ne_u32_e32 vcc, 0, v7
                                        ; implicit-def: $vgpr26_vgpr27
                                        ; implicit-def: $vgpr6
	s_and_saveexec_b64 s[20:21], vcc
	s_xor_b64 s[20:21], exec, s[20:21]
; %bb.6582:                             ;   in Loop: Header=BB6_5404 Depth=2
	v_cmp_lt_u64_e32 vcc, s[74:75], v[2:3]
	v_add_u32_e32 v6, 7, v8
	v_cndmask_b32_e32 v6, v7, v6, vcc
	v_cndmask_b32_e64 v7, 0, 1, vcc
	v_lshrrev_b64 v[26:27], v7, v[2:3]
; %bb.6583:                             ;   in Loop: Header=BB6_5404 Depth=2
	s_andn2_saveexec_b64 s[20:21], s[20:21]
; %bb.6584:                             ;   in Loop: Header=BB6_5404 Depth=2
	v_mov_b32_e32 v27, v3
	v_bfe_u32 v6, v2, 23, 1
	v_mov_b32_e32 v26, v2
; %bb.6585:                             ;   in Loop: Header=BB6_5404 Depth=2
	s_or_b64 exec, exec, s[20:21]
	v_lshrrev_b64 v[7:8], 20, v[26:27]
	v_cmp_gt_i32_e32 vcc, 16, v6
	v_cndmask_b32_e32 v8, 0, v8, vcc
	v_cndmask_b32_e32 v7, 7, v7, vcc
	v_min_i32_e32 v2, 15, v6
	v_cmp_eq_u64_e64 s[20:21], 0, v[7:8]
	v_lshlrev_b32_e32 v2, 3, v2
	v_cmp_eq_u32_e32 vcc, 0, v6
	v_and_b32_e32 v2, 0xf8, v2
	v_and_or_b32 v2, v7, 7, v2
	s_and_b64 s[20:21], vcc, s[20:21]
	v_cndmask_b32_e64 v2, v2, 0, s[20:21]
	v_or_b32_e32 v2, v2, v4
	buffer_store_dword v2, off, s[0:3], s33 offset:148 ; 4-byte Folded Spill
.LBB6_6586:                             ;   in Loop: Header=BB6_5404 Depth=2
	s_or_b64 exec, exec, s[94:95]
                                        ; implicit-def: $vgpr4
.LBB6_6587:                             ;   in Loop: Header=BB6_5404 Depth=2
	s_andn2_saveexec_b64 s[20:21], s[92:93]
	s_cbranch_execz .LBB6_6589
; %bb.6588:                             ;   in Loop: Header=BB6_5404 Depth=2
	v_or_b32_e32 v2, 0x7e, v4
	buffer_store_dword v2, off, s[0:3], s33 offset:148 ; 4-byte Folded Spill
.LBB6_6589:                             ;   in Loop: Header=BB6_5404 Depth=2
	s_or_b64 exec, exec, s[20:21]
                                        ; implicit-def: $vgpr6
.LBB6_6590:                             ;   in Loop: Header=BB6_5404 Depth=2
	s_andn2_saveexec_b64 s[20:21], s[90:91]
	s_cbranch_execz .LBB6_6592
; %bb.6591:                             ;   in Loop: Header=BB6_5404 Depth=2
	v_or_b32_sdwa v2, v6, s51 dst_sel:DWORD dst_unused:UNUSED_PAD src0_sel:BYTE_3 src1_sel:DWORD
	buffer_store_dword v2, off, s[0:3], s33 offset:148 ; 4-byte Folded Spill
.LBB6_6592:                             ;   in Loop: Header=BB6_5404 Depth=2
	s_or_b64 exec, exec, s[20:21]
	v_lshrrev_b32_e32 v26, 24, v34
	v_lshrrev_b32_e32 v2, 24, v28
	v_cmp_lt_u32_e64 s[20:21], s77, v34
	s_and_b64 vcc, exec, s[18:19]
	s_mov_b64 s[90:91], -1
                                        ; implicit-def: $vgpr6
	s_cbranch_vccnz .LBB6_6606
; %bb.6593:                             ;   in Loop: Header=BB6_5404 Depth=2
	v_mov_b32_e32 v6, 0
	v_mov_b32_e32 v4, 0
	s_and_saveexec_b64 s[90:91], s[20:21]
	s_cbranch_execz .LBB6_6599
; %bb.6594:                             ;   in Loop: Header=BB6_5404 Depth=2
	v_cmp_ne_u32_e32 vcc, s49, v26
	v_bfrev_b32_e32 v4, 1
	s_and_saveexec_b64 s[92:93], vcc
	s_cbranch_execz .LBB6_6598
; %bb.6595:                             ;   in Loop: Header=BB6_5404 Depth=2
	v_bfe_u32 v7, v34, 24, 7
	v_cmp_ne_u32_e32 vcc, s51, v7
	v_mov_b32_e32 v4, 0x7f800001
	s_and_saveexec_b64 s[94:95], vcc
	s_cbranch_execz .LBB6_6597
; %bb.6596:                             ;   in Loop: Header=BB6_5404 Depth=2
	v_and_b32_e32 v4, 7, v26
	v_lshrrev_b32_e32 v9, 3, v7
	v_cmp_gt_u32_e32 vcc, 8, v7
	v_ffbh_u32_e32 v7, v4
	v_min_u32_e32 v27, 32, v7
	v_subrev_u32_e32 v7, 28, v27
	v_lshlrev_b64 v[7:8], v7, v[26:27]
	v_sub_u32_e32 v8, 29, v27
	v_and_b32_e32 v7, 7, v7
	v_cndmask_b32_e32 v8, v9, v8, vcc
	v_cndmask_b32_e32 v4, v4, v7, vcc
	v_lshlrev_b32_e32 v7, 24, v26
	v_lshlrev_b32_e32 v4, 20, v4
	v_and_b32_e32 v7, 0x80000000, v7
	v_lshl_add_u32 v8, v8, 23, v5
	v_or3_b32 v4, v7, v8, v4
.LBB6_6597:                             ;   in Loop: Header=BB6_5404 Depth=2
	s_or_b64 exec, exec, s[94:95]
.LBB6_6598:                             ;   in Loop: Header=BB6_5404 Depth=2
	s_or_b64 exec, exec, s[92:93]
.LBB6_6599:                             ;   in Loop: Header=BB6_5404 Depth=2
	s_or_b64 exec, exec, s[90:91]
	v_cmp_lt_u32_e32 vcc, s77, v28
	s_and_saveexec_b64 s[90:91], vcc
	s_cbranch_execz .LBB6_6605
; %bb.6600:                             ;   in Loop: Header=BB6_5404 Depth=2
	v_cmp_ne_u32_e32 vcc, s49, v2
	v_bfrev_b32_e32 v6, 1
	s_and_saveexec_b64 s[92:93], vcc
	s_cbranch_execz .LBB6_6604
; %bb.6601:                             ;   in Loop: Header=BB6_5404 Depth=2
	v_bfe_u32 v7, v28, 24, 7
	v_cmp_ne_u32_e32 vcc, s51, v7
	v_mov_b32_e32 v6, 0x7f800001
	s_and_saveexec_b64 s[94:95], vcc
	s_cbranch_execz .LBB6_6603
; %bb.6602:                             ;   in Loop: Header=BB6_5404 Depth=2
	v_and_b32_e32 v8, 7, v2
	v_ffbh_u32_e32 v6, v8
	v_min_u32_e32 v27, 32, v6
	v_subrev_u32_e32 v6, 28, v27
	v_lshrrev_b32_e32 v9, 3, v7
	v_cmp_gt_u32_e32 vcc, 8, v7
	v_lshlrev_b64 v[6:7], v6, v[2:3]
	v_sub_u32_e32 v7, 29, v27
	v_and_b32_e32 v6, 7, v6
	v_cndmask_b32_e32 v7, v9, v7, vcc
	v_cndmask_b32_e32 v6, v8, v6, vcc
	v_lshlrev_b32_e32 v8, 24, v2
	v_lshlrev_b32_e32 v6, 20, v6
	v_and_b32_e32 v8, 0x80000000, v8
	v_lshl_add_u32 v7, v7, 23, v5
	v_or3_b32 v6, v8, v7, v6
.LBB6_6603:                             ;   in Loop: Header=BB6_5404 Depth=2
	s_or_b64 exec, exec, s[94:95]
.LBB6_6604:                             ;   in Loop: Header=BB6_5404 Depth=2
	s_or_b64 exec, exec, s[92:93]
.LBB6_6605:                             ;   in Loop: Header=BB6_5404 Depth=2
	s_or_b64 exec, exec, s[90:91]
	v_max_f32_e32 v6, v6, v6
	v_max_f32_e32 v4, v4, v4
	;; [unrolled: 1-line block ×3, first 2 shown]
	s_mov_b64 s[90:91], 0
.LBB6_6606:                             ;   in Loop: Header=BB6_5404 Depth=2
	s_and_b64 vcc, exec, s[90:91]
	s_cbranch_vccz .LBB6_6620
; %bb.6607:                             ;   in Loop: Header=BB6_5404 Depth=2
	v_mov_b32_e32 v6, 0
	v_mov_b32_e32 v4, 0
	s_and_saveexec_b64 s[90:91], s[20:21]
	s_cbranch_execz .LBB6_6613
; %bb.6608:                             ;   in Loop: Header=BB6_5404 Depth=2
	v_cmp_ne_u32_e32 vcc, s49, v26
	v_bfrev_b32_e32 v4, 1
	s_and_saveexec_b64 s[20:21], vcc
	s_cbranch_execz .LBB6_6612
; %bb.6609:                             ;   in Loop: Header=BB6_5404 Depth=2
	v_bfe_u32 v7, v34, 24, 7
	v_cmp_ne_u32_e32 vcc, s51, v7
	v_mov_b32_e32 v4, 0x7f800001
	s_and_saveexec_b64 s[92:93], vcc
	s_cbranch_execz .LBB6_6611
; %bb.6610:                             ;   in Loop: Header=BB6_5404 Depth=2
	v_and_b32_e32 v4, 7, v26
	v_lshrrev_b32_e32 v9, 3, v7
	v_cmp_gt_u32_e32 vcc, 8, v7
	v_ffbh_u32_e32 v7, v4
	v_min_u32_e32 v27, 32, v7
	v_subrev_u32_e32 v7, 28, v27
	v_lshlrev_b64 v[7:8], v7, v[26:27]
	v_sub_u32_e32 v8, 29, v27
	v_and_b32_e32 v7, 7, v7
	v_cndmask_b32_e32 v8, v9, v8, vcc
	v_cndmask_b32_e32 v4, v4, v7, vcc
	v_lshlrev_b32_e32 v7, 24, v26
	v_lshlrev_b32_e32 v4, 20, v4
	v_and_b32_e32 v7, 0x80000000, v7
	v_lshl_add_u32 v8, v8, 23, v5
	v_or3_b32 v4, v7, v8, v4
.LBB6_6611:                             ;   in Loop: Header=BB6_5404 Depth=2
	s_or_b64 exec, exec, s[92:93]
.LBB6_6612:                             ;   in Loop: Header=BB6_5404 Depth=2
	s_or_b64 exec, exec, s[20:21]
.LBB6_6613:                             ;   in Loop: Header=BB6_5404 Depth=2
	s_or_b64 exec, exec, s[90:91]
	v_cmp_lt_u32_e32 vcc, s77, v28
	s_and_saveexec_b64 s[20:21], vcc
	s_cbranch_execz .LBB6_6619
; %bb.6614:                             ;   in Loop: Header=BB6_5404 Depth=2
	v_cmp_ne_u32_e32 vcc, s49, v2
	v_bfrev_b32_e32 v6, 1
	s_and_saveexec_b64 s[90:91], vcc
	s_cbranch_execz .LBB6_6618
; %bb.6615:                             ;   in Loop: Header=BB6_5404 Depth=2
	v_bfe_u32 v7, v28, 24, 7
	v_cmp_ne_u32_e32 vcc, s51, v7
	v_mov_b32_e32 v6, 0x7f800001
	s_and_saveexec_b64 s[92:93], vcc
	s_cbranch_execz .LBB6_6617
; %bb.6616:                             ;   in Loop: Header=BB6_5404 Depth=2
	v_and_b32_e32 v8, 7, v2
	v_ffbh_u32_e32 v6, v8
	v_min_u32_e32 v26, 32, v6
	v_subrev_u32_e32 v6, 28, v26
	v_lshrrev_b32_e32 v9, 3, v7
	v_cmp_gt_u32_e32 vcc, 8, v7
	v_lshlrev_b64 v[6:7], v6, v[2:3]
	v_sub_u32_e32 v7, 29, v26
	v_and_b32_e32 v6, 7, v6
	v_cndmask_b32_e32 v7, v9, v7, vcc
	v_cndmask_b32_e32 v6, v8, v6, vcc
	v_lshlrev_b32_e32 v2, 24, v2
	v_lshlrev_b32_e32 v6, 20, v6
	v_and_b32_e32 v2, 0x80000000, v2
	v_lshl_add_u32 v7, v7, 23, v5
	v_or3_b32 v6, v2, v7, v6
.LBB6_6617:                             ;   in Loop: Header=BB6_5404 Depth=2
	s_or_b64 exec, exec, s[92:93]
.LBB6_6618:                             ;   in Loop: Header=BB6_5404 Depth=2
	s_or_b64 exec, exec, s[90:91]
.LBB6_6619:                             ;   in Loop: Header=BB6_5404 Depth=2
	s_or_b64 exec, exec, s[20:21]
	v_max_f32_e32 v2, v6, v6
	v_max_f32_e32 v4, v4, v4
	v_min_f32_e32 v6, v4, v2
.LBB6_6620:                             ;   in Loop: Header=BB6_5404 Depth=2
	v_and_b32_e32 v2, 0x7f800000, v6
	v_cmp_ne_u64_e32 vcc, s[62:63], v[2:3]
                                        ; implicit-def: $vgpr2
                                        ; kill: killed $vgpr2
	s_and_saveexec_b64 s[20:21], vcc
	s_xor_b64 s[90:91], exec, s[20:21]
	s_cbranch_execz .LBB6_6634
; %bb.6621:                             ;   in Loop: Header=BB6_5404 Depth=2
	v_and_b32_e32 v2, 0x7fffffff, v6
	v_cmp_gt_u64_e32 vcc, s[72:73], v[2:3]
	v_and_b32_sdwa v4, v6, s49 dst_sel:DWORD dst_unused:UNUSED_PAD src0_sel:BYTE_3 src1_sel:DWORD
                                        ; implicit-def: $vgpr2
                                        ; kill: killed $vgpr2
	s_and_saveexec_b64 s[20:21], vcc
	s_xor_b64 s[92:93], exec, s[20:21]
	s_cbranch_execz .LBB6_6631
; %bb.6622:                             ;   in Loop: Header=BB6_5404 Depth=2
	v_mov_b32_e32 v2, 0
	v_cmp_ne_u32_e32 vcc, 0, v6
	buffer_store_dword v2, off, s[0:3], s33 offset:152 ; 4-byte Folded Spill
	s_and_saveexec_b64 s[94:95], vcc
	s_cbranch_execz .LBB6_6630
; %bb.6623:                             ;   in Loop: Header=BB6_5404 Depth=2
	v_and_b32_e32 v2, 0x7fffff, v6
	v_bfe_u32 v6, v6, 23, 8
	v_cmp_gt_u32_e64 s[20:21], s53, v6
	v_sub_u32_e32 v7, 0x79, v6
	v_cmp_eq_u32_e32 vcc, 0, v6
	v_cndmask_b32_e64 v7, 0, v7, s[20:21]
	v_mov_b32_e32 v9, 0x78
	v_or_b32_e32 v8, 0x800000, v2
	v_cndmask_b32_e32 v7, v7, v9, vcc
	v_cndmask_b32_e32 v2, v8, v2, vcc
	v_add_u32_e32 v8, 20, v7
	v_lshlrev_b64 v[8:9], v8, -1
	v_add_u32_e32 v26, 19, v7
	v_lshlrev_b64 v[26:27], v26, 1
	v_bfi_b32 v9, v9, 0, 0
	v_bfi_b32 v8, v8, 0, v2
	v_cmp_eq_u64_e64 s[20:21], v[8:9], v[26:27]
	v_lshrrev_b64 v[26:27], v7, v[2:3]
	v_mov_b32_e32 v31, v27
	v_mov_b32_e32 v30, v26
	s_and_saveexec_b64 s[30:31], s[20:21]
; %bb.6624:                             ;   in Loop: Header=BB6_5404 Depth=2
	v_bfe_u32 v2, v26, 20, 1
	v_add_co_u32_e64 v2, s[20:21], v26, v2
	v_add_co_u32_e64 v30, s[20:21], -1, v2
; %bb.6625:                             ;   in Loop: Header=BB6_5404 Depth=2
	s_or_b64 exec, exec, s[30:31]
	v_add_u32_e32 v2, 0xffffff81, v6
	v_cndmask_b32_e32 v2, v2, v59, vcc
	v_lshrrev_b32_e32 v6, 23, v26
	v_add3_u32 v8, v7, v2, v6
	v_add_u32_e32 v7, 6, v8
	v_and_b32_e32 v2, 0xfffff, v30
	v_add_u32_e32 v2, v2, v26
	v_cmp_ne_u32_e32 vcc, 0, v7
                                        ; implicit-def: $vgpr26_vgpr27
                                        ; implicit-def: $vgpr6
	s_and_saveexec_b64 s[20:21], vcc
	s_xor_b64 s[20:21], exec, s[20:21]
; %bb.6626:                             ;   in Loop: Header=BB6_5404 Depth=2
	v_cmp_lt_u64_e32 vcc, s[74:75], v[2:3]
	v_add_u32_e32 v6, 7, v8
	v_cndmask_b32_e32 v6, v7, v6, vcc
	v_cndmask_b32_e64 v7, 0, 1, vcc
	v_lshrrev_b64 v[26:27], v7, v[2:3]
; %bb.6627:                             ;   in Loop: Header=BB6_5404 Depth=2
	s_andn2_saveexec_b64 s[20:21], s[20:21]
; %bb.6628:                             ;   in Loop: Header=BB6_5404 Depth=2
	v_mov_b32_e32 v27, v3
	v_bfe_u32 v6, v2, 23, 1
	v_mov_b32_e32 v26, v2
; %bb.6629:                             ;   in Loop: Header=BB6_5404 Depth=2
	s_or_b64 exec, exec, s[20:21]
	v_lshrrev_b64 v[7:8], 20, v[26:27]
	v_cmp_gt_i32_e32 vcc, 16, v6
	v_cndmask_b32_e32 v8, 0, v8, vcc
	v_cndmask_b32_e32 v7, 7, v7, vcc
	v_min_i32_e32 v2, 15, v6
	v_cmp_eq_u64_e64 s[20:21], 0, v[7:8]
	v_lshlrev_b32_e32 v2, 3, v2
	v_cmp_eq_u32_e32 vcc, 0, v6
	v_and_b32_e32 v2, 0xf8, v2
	v_and_or_b32 v2, v7, 7, v2
	s_and_b64 s[20:21], vcc, s[20:21]
	v_cndmask_b32_e64 v2, v2, 0, s[20:21]
	v_or_b32_e32 v2, v2, v4
	buffer_store_dword v2, off, s[0:3], s33 offset:152 ; 4-byte Folded Spill
.LBB6_6630:                             ;   in Loop: Header=BB6_5404 Depth=2
	s_or_b64 exec, exec, s[94:95]
                                        ; implicit-def: $vgpr4
.LBB6_6631:                             ;   in Loop: Header=BB6_5404 Depth=2
	s_andn2_saveexec_b64 s[20:21], s[92:93]
	s_cbranch_execz .LBB6_6633
; %bb.6632:                             ;   in Loop: Header=BB6_5404 Depth=2
	v_or_b32_e32 v2, 0x7e, v4
	buffer_store_dword v2, off, s[0:3], s33 offset:152 ; 4-byte Folded Spill
.LBB6_6633:                             ;   in Loop: Header=BB6_5404 Depth=2
	s_or_b64 exec, exec, s[20:21]
                                        ; implicit-def: $vgpr6
.LBB6_6634:                             ;   in Loop: Header=BB6_5404 Depth=2
	s_andn2_saveexec_b64 s[20:21], s[90:91]
	s_cbranch_execz .LBB6_6636
; %bb.6635:                             ;   in Loop: Header=BB6_5404 Depth=2
	v_or_b32_sdwa v2, v6, s51 dst_sel:DWORD dst_unused:UNUSED_PAD src0_sel:BYTE_3 src1_sel:DWORD
	buffer_store_dword v2, off, s[0:3], s33 offset:152 ; 4-byte Folded Spill
.LBB6_6636:                             ;   in Loop: Header=BB6_5404 Depth=2
	s_or_b64 exec, exec, s[20:21]
	v_mov_b32_e32 v2, v35
	v_mov_b32_e32 v26, v29
	;; [unrolled: 1-line block ×3, first 2 shown]
	v_cmp_ne_u16_sdwa s[20:21], v35, v3 src0_sel:BYTE_0 src1_sel:DWORD
	s_and_b64 vcc, exec, s[18:19]
	s_mov_b64 s[90:91], -1
                                        ; implicit-def: $vgpr6
	s_cbranch_vccnz .LBB6_6650
; %bb.6637:                             ;   in Loop: Header=BB6_5404 Depth=2
	v_mov_b32_e32 v6, 0
	v_mov_b32_e32 v4, 0
	s_and_saveexec_b64 s[90:91], s[20:21]
	s_cbranch_execz .LBB6_6643
; %bb.6638:                             ;   in Loop: Header=BB6_5404 Depth=2
	v_cmp_ne_u16_sdwa s[94:95], v35, s49 src0_sel:BYTE_0 src1_sel:DWORD
	v_bfrev_b32_e32 v4, 1
	s_and_saveexec_b64 s[92:93], s[94:95]
	s_cbranch_execz .LBB6_6642
; %bb.6639:                             ;   in Loop: Header=BB6_5404 Depth=2
	v_and_b32_e32 v7, 0x7f, v35
	v_cmp_ne_u32_e32 vcc, s51, v7
	v_mov_b32_e32 v4, 0x7f800001
	s_and_saveexec_b64 s[94:95], vcc
	s_cbranch_execz .LBB6_6641
; %bb.6640:                             ;   in Loop: Header=BB6_5404 Depth=2
	v_and_b32_e32 v4, 7, v35
	v_ffbh_u32_e32 v4, v4
	v_min_u32_e32 v4, 32, v4
	v_lshrrev_b32_e32 v8, 3, v7
	v_cmp_gt_u32_e32 vcc, 8, v7
	v_subrev_u32_e32 v7, 28, v4
	v_sub_u32_e32 v4, 29, v4
	v_cndmask_b32_e32 v7, 0, v7, vcc
	v_cndmask_b32_e32 v4, v8, v4, vcc
	v_lshlrev_b64 v[7:8], v7, v[2:3]
	v_lshlrev_b32_e32 v8, 24, v2
	v_lshlrev_b32_e32 v7, 20, v7
	v_and_b32_e32 v7, 0x700000, v7
	v_and_b32_e32 v8, 0x80000000, v8
	v_lshl_add_u32 v4, v4, 23, v5
	v_or3_b32 v4, v8, v4, v7
.LBB6_6641:                             ;   in Loop: Header=BB6_5404 Depth=2
	s_or_b64 exec, exec, s[94:95]
.LBB6_6642:                             ;   in Loop: Header=BB6_5404 Depth=2
	s_or_b64 exec, exec, s[92:93]
.LBB6_6643:                             ;   in Loop: Header=BB6_5404 Depth=2
	s_or_b64 exec, exec, s[90:91]
	v_cmp_ne_u16_sdwa s[92:93], v29, v3 src0_sel:BYTE_0 src1_sel:DWORD
	s_and_saveexec_b64 s[90:91], s[92:93]
	s_cbranch_execz .LBB6_6649
; %bb.6644:                             ;   in Loop: Header=BB6_5404 Depth=2
	v_cmp_ne_u16_sdwa s[94:95], v29, s49 src0_sel:BYTE_0 src1_sel:DWORD
	v_bfrev_b32_e32 v6, 1
	s_and_saveexec_b64 s[92:93], s[94:95]
	s_cbranch_execz .LBB6_6648
; %bb.6645:                             ;   in Loop: Header=BB6_5404 Depth=2
	v_and_b32_e32 v7, 0x7f, v29
	v_cmp_ne_u32_e32 vcc, s51, v7
	v_mov_b32_e32 v6, 0x7f800001
	s_and_saveexec_b64 s[94:95], vcc
	s_cbranch_execz .LBB6_6647
; %bb.6646:                             ;   in Loop: Header=BB6_5404 Depth=2
	v_and_b32_e32 v6, 7, v29
	v_ffbh_u32_e32 v6, v6
	v_min_u32_e32 v6, 32, v6
	v_lshrrev_b32_e32 v8, 3, v7
	v_cmp_gt_u32_e32 vcc, 8, v7
	v_subrev_u32_e32 v7, 28, v6
	v_sub_u32_e32 v6, 29, v6
	v_cndmask_b32_e32 v8, v8, v6, vcc
	v_cndmask_b32_e32 v6, 0, v7, vcc
	v_lshlrev_b64 v[6:7], v6, v[26:27]
	v_lshlrev_b32_e32 v7, 24, v26
	v_lshlrev_b32_e32 v6, 20, v6
	v_and_b32_e32 v6, 0x700000, v6
	v_and_b32_e32 v7, 0x80000000, v7
	v_lshl_add_u32 v8, v8, 23, v5
	v_or3_b32 v6, v7, v8, v6
.LBB6_6647:                             ;   in Loop: Header=BB6_5404 Depth=2
	s_or_b64 exec, exec, s[94:95]
.LBB6_6648:                             ;   in Loop: Header=BB6_5404 Depth=2
	s_or_b64 exec, exec, s[92:93]
.LBB6_6649:                             ;   in Loop: Header=BB6_5404 Depth=2
	s_or_b64 exec, exec, s[90:91]
	v_max_f32_e32 v6, v6, v6
	v_max_f32_e32 v4, v4, v4
	;; [unrolled: 1-line block ×3, first 2 shown]
	s_mov_b64 s[90:91], 0
.LBB6_6650:                             ;   in Loop: Header=BB6_5404 Depth=2
	s_and_b64 vcc, exec, s[90:91]
	s_cbranch_vccz .LBB6_6664
; %bb.6651:                             ;   in Loop: Header=BB6_5404 Depth=2
	v_mov_b32_e32 v6, 0
	v_mov_b32_e32 v4, 0
	s_and_saveexec_b64 s[90:91], s[20:21]
	s_cbranch_execz .LBB6_6657
; %bb.6652:                             ;   in Loop: Header=BB6_5404 Depth=2
	v_cmp_ne_u16_sdwa s[92:93], v35, s49 src0_sel:BYTE_0 src1_sel:DWORD
	v_bfrev_b32_e32 v4, 1
	s_and_saveexec_b64 s[20:21], s[92:93]
	s_cbranch_execz .LBB6_6656
; %bb.6653:                             ;   in Loop: Header=BB6_5404 Depth=2
	v_and_b32_e32 v7, 0x7f, v35
	v_cmp_ne_u32_e32 vcc, s51, v7
	v_mov_b32_e32 v4, 0x7f800001
	s_and_saveexec_b64 s[92:93], vcc
	s_cbranch_execz .LBB6_6655
; %bb.6654:                             ;   in Loop: Header=BB6_5404 Depth=2
	v_and_b32_e32 v4, 7, v35
	v_ffbh_u32_e32 v4, v4
	v_min_u32_e32 v4, 32, v4
	v_lshrrev_b32_e32 v8, 3, v7
	v_cmp_gt_u32_e32 vcc, 8, v7
	v_subrev_u32_e32 v7, 28, v4
	v_sub_u32_e32 v4, 29, v4
	v_cndmask_b32_e32 v7, 0, v7, vcc
	v_cndmask_b32_e32 v4, v8, v4, vcc
	v_lshlrev_b64 v[7:8], v7, v[2:3]
	v_lshlrev_b32_e32 v8, 24, v2
	v_lshlrev_b32_e32 v7, 20, v7
	v_and_b32_e32 v7, 0x700000, v7
	v_and_b32_e32 v8, 0x80000000, v8
	v_lshl_add_u32 v4, v4, 23, v5
	v_or3_b32 v4, v8, v4, v7
.LBB6_6655:                             ;   in Loop: Header=BB6_5404 Depth=2
	s_or_b64 exec, exec, s[92:93]
.LBB6_6656:                             ;   in Loop: Header=BB6_5404 Depth=2
	s_or_b64 exec, exec, s[20:21]
.LBB6_6657:                             ;   in Loop: Header=BB6_5404 Depth=2
	s_or_b64 exec, exec, s[90:91]
	v_cmp_ne_u16_sdwa s[90:91], v29, v3 src0_sel:BYTE_0 src1_sel:DWORD
	s_and_saveexec_b64 s[20:21], s[90:91]
	s_cbranch_execz .LBB6_6663
; %bb.6658:                             ;   in Loop: Header=BB6_5404 Depth=2
	v_cmp_ne_u16_sdwa s[92:93], v29, s49 src0_sel:BYTE_0 src1_sel:DWORD
	v_bfrev_b32_e32 v6, 1
	s_and_saveexec_b64 s[90:91], s[92:93]
	s_cbranch_execz .LBB6_6662
; %bb.6659:                             ;   in Loop: Header=BB6_5404 Depth=2
	v_and_b32_e32 v7, 0x7f, v29
	v_cmp_ne_u32_e32 vcc, s51, v7
	v_mov_b32_e32 v6, 0x7f800001
	s_and_saveexec_b64 s[92:93], vcc
	s_cbranch_execz .LBB6_6661
; %bb.6660:                             ;   in Loop: Header=BB6_5404 Depth=2
	v_and_b32_e32 v6, 7, v29
	v_ffbh_u32_e32 v6, v6
	v_min_u32_e32 v6, 32, v6
	v_lshrrev_b32_e32 v8, 3, v7
	v_cmp_gt_u32_e32 vcc, 8, v7
	v_subrev_u32_e32 v7, 28, v6
	v_sub_u32_e32 v6, 29, v6
	v_cndmask_b32_e32 v8, v8, v6, vcc
	v_cndmask_b32_e32 v6, 0, v7, vcc
	v_lshlrev_b64 v[6:7], v6, v[26:27]
	v_lshlrev_b32_e32 v7, 24, v26
	v_lshlrev_b32_e32 v6, 20, v6
	v_and_b32_e32 v6, 0x700000, v6
	v_and_b32_e32 v7, 0x80000000, v7
	v_lshl_add_u32 v8, v8, 23, v5
	v_or3_b32 v6, v7, v8, v6
.LBB6_6661:                             ;   in Loop: Header=BB6_5404 Depth=2
	s_or_b64 exec, exec, s[92:93]
.LBB6_6662:                             ;   in Loop: Header=BB6_5404 Depth=2
	s_or_b64 exec, exec, s[90:91]
.LBB6_6663:                             ;   in Loop: Header=BB6_5404 Depth=2
	s_or_b64 exec, exec, s[20:21]
	v_max_f32_e32 v6, v6, v6
	v_max_f32_e32 v4, v4, v4
	v_min_f32_e32 v6, v4, v6
.LBB6_6664:                             ;   in Loop: Header=BB6_5404 Depth=2
	v_and_b32_e32 v7, 0x7f800000, v6
	v_mov_b32_e32 v8, v3
	v_cmp_ne_u64_e32 vcc, s[62:63], v[7:8]
                                        ; implicit-def: $vgpr32
	s_and_saveexec_b64 s[20:21], vcc
	s_xor_b64 s[90:91], exec, s[20:21]
	s_cbranch_execz .LBB6_6678
; %bb.6665:                             ;   in Loop: Header=BB6_5404 Depth=2
	v_and_b32_e32 v7, 0x7fffffff, v6
	v_mov_b32_e32 v8, v3
	v_cmp_gt_u64_e32 vcc, s[72:73], v[7:8]
	v_and_b32_sdwa v4, v6, s49 dst_sel:DWORD dst_unused:UNUSED_PAD src0_sel:BYTE_3 src1_sel:DWORD
                                        ; implicit-def: $vgpr32
	s_and_saveexec_b64 s[20:21], vcc
	s_xor_b64 s[92:93], exec, s[20:21]
	s_cbranch_execz .LBB6_6675
; %bb.6666:                             ;   in Loop: Header=BB6_5404 Depth=2
	v_mov_b32_e32 v32, 0
	v_cmp_ne_u32_e32 vcc, 0, v6
	s_and_saveexec_b64 s[94:95], vcc
	s_cbranch_execz .LBB6_6674
; %bb.6667:                             ;   in Loop: Header=BB6_5404 Depth=2
	v_and_b32_e32 v8, 0x7fffff, v6
	v_bfe_u32 v6, v6, 23, 8
	v_cmp_gt_u32_e64 s[20:21], s53, v6
	v_sub_u32_e32 v7, 0x79, v6
	v_cmp_eq_u32_e32 vcc, 0, v6
	v_cndmask_b32_e64 v7, 0, v7, s[20:21]
	v_mov_b32_e32 v27, 0x78
	v_cndmask_b32_e32 v7, v7, v27, vcc
	v_add_u32_e32 v27, 20, v7
	v_or_b32_e32 v9, 0x800000, v8
	v_lshlrev_b64 v[30:31], v27, -1
	v_add_u32_e32 v27, 19, v7
	v_cndmask_b32_e32 v8, v9, v8, vcc
	v_lshlrev_b64 v[38:39], v27, 1
	v_mov_b32_e32 v9, v3
	v_bfi_b32 v31, v31, 0, 0
	v_bfi_b32 v30, v30, 0, v8
	v_cmp_eq_u64_e64 s[20:21], v[30:31], v[38:39]
	v_lshrrev_b64 v[30:31], v7, v[8:9]
	v_mov_b32_e32 v32, v31
	v_mov_b32_e32 v31, v30
	s_and_saveexec_b64 s[30:31], s[20:21]
; %bb.6668:                             ;   in Loop: Header=BB6_5404 Depth=2
	v_bfe_u32 v8, v30, 20, 1
	v_add_co_u32_e64 v8, s[20:21], v30, v8
	v_add_co_u32_e64 v31, s[20:21], -1, v8
; %bb.6669:                             ;   in Loop: Header=BB6_5404 Depth=2
	s_or_b64 exec, exec, s[30:31]
	v_add_u32_e32 v6, 0xffffff81, v6
	v_cndmask_b32_e32 v6, v6, v59, vcc
	v_lshrrev_b32_e32 v8, 23, v30
	v_add3_u32 v8, v7, v6, v8
	v_add_u32_e32 v7, 6, v8
	v_and_b32_e32 v6, 0xfffff, v31
	v_add_u32_e32 v30, v6, v30
	v_mov_b32_e32 v31, v3
	v_cmp_ne_u32_e32 vcc, 0, v7
                                        ; implicit-def: $vgpr6
	s_and_saveexec_b64 s[20:21], vcc
	s_xor_b64 s[20:21], exec, s[20:21]
; %bb.6670:                             ;   in Loop: Header=BB6_5404 Depth=2
	v_cmp_lt_u64_e32 vcc, s[74:75], v[30:31]
	v_add_u32_e32 v6, 7, v8
	v_cndmask_b32_e32 v6, v7, v6, vcc
	v_cndmask_b32_e64 v7, 0, 1, vcc
	v_lshrrev_b64 v[30:31], v7, v[30:31]
; %bb.6671:                             ;   in Loop: Header=BB6_5404 Depth=2
	s_andn2_saveexec_b64 s[20:21], s[20:21]
; %bb.6672:                             ;   in Loop: Header=BB6_5404 Depth=2
	v_bfe_u32 v6, v30, 23, 1
; %bb.6673:                             ;   in Loop: Header=BB6_5404 Depth=2
	s_or_b64 exec, exec, s[20:21]
	v_lshrrev_b64 v[7:8], 20, v[30:31]
	v_cmp_gt_i32_e32 vcc, 16, v6
	v_cndmask_b32_e32 v8, 0, v8, vcc
	v_cndmask_b32_e32 v7, 7, v7, vcc
	v_cmp_eq_u32_e32 vcc, 0, v6
	v_min_i32_e32 v6, 15, v6
	v_cmp_eq_u64_e64 s[20:21], 0, v[7:8]
	v_lshlrev_b32_e32 v6, 3, v6
	v_and_b32_e32 v6, 0xf8, v6
	v_and_or_b32 v6, v7, 7, v6
	s_and_b64 s[20:21], vcc, s[20:21]
	v_cndmask_b32_e64 v6, v6, 0, s[20:21]
	v_or_b32_e32 v32, v6, v4
.LBB6_6674:                             ;   in Loop: Header=BB6_5404 Depth=2
	s_or_b64 exec, exec, s[94:95]
                                        ; implicit-def: $vgpr4
.LBB6_6675:                             ;   in Loop: Header=BB6_5404 Depth=2
	s_andn2_saveexec_b64 s[20:21], s[92:93]
; %bb.6676:                             ;   in Loop: Header=BB6_5404 Depth=2
	v_or_b32_e32 v32, 0x7e, v4
; %bb.6677:                             ;   in Loop: Header=BB6_5404 Depth=2
	s_or_b64 exec, exec, s[20:21]
                                        ; implicit-def: $vgpr6
.LBB6_6678:                             ;   in Loop: Header=BB6_5404 Depth=2
	s_andn2_saveexec_b64 s[20:21], s[90:91]
; %bb.6679:                             ;   in Loop: Header=BB6_5404 Depth=2
	v_or_b32_sdwa v32, v6, s51 dst_sel:DWORD dst_unused:UNUSED_PAD src0_sel:BYTE_3 src1_sel:DWORD
; %bb.6680:                             ;   in Loop: Header=BB6_5404 Depth=2
	s_or_b64 exec, exec, s[20:21]
	v_lshrrev_b16_e32 v30, 8, v2
	v_lshrrev_b16_e32 v27, 8, v26
	v_cmp_ne_u16_e64 s[20:21], 0, v30
	s_and_b64 vcc, exec, s[18:19]
	s_mov_b64 s[90:91], -1
                                        ; implicit-def: $vgpr6
	s_cbranch_vccnz .LBB6_6694
; %bb.6681:                             ;   in Loop: Header=BB6_5404 Depth=2
	v_mov_b32_e32 v6, 0
	v_mov_b32_e32 v4, 0
	s_and_saveexec_b64 s[90:91], s[20:21]
	s_cbranch_execz .LBB6_6687
; %bb.6682:                             ;   in Loop: Header=BB6_5404 Depth=2
	v_cmp_ne_u16_e32 vcc, s49, v30
	v_bfrev_b32_e32 v4, 1
	s_and_saveexec_b64 s[92:93], vcc
	s_cbranch_execz .LBB6_6686
; %bb.6683:                             ;   in Loop: Header=BB6_5404 Depth=2
	v_and_b32_e32 v7, 0x7f, v30
	v_cmp_ne_u32_e32 vcc, s51, v7
	v_mov_b32_e32 v4, 0x7f800001
	s_and_saveexec_b64 s[94:95], vcc
	s_cbranch_execz .LBB6_6685
; %bb.6684:                             ;   in Loop: Header=BB6_5404 Depth=2
	v_and_b32_e32 v4, 7, v30
	v_lshrrev_b32_e32 v9, 3, v7
	v_cmp_gt_u32_e32 vcc, 8, v7
	v_ffbh_u32_e32 v7, v4
	v_min_u32_e32 v31, 32, v7
	v_subrev_u32_e32 v7, 28, v31
	v_lshlrev_b64 v[7:8], v7, v[30:31]
	v_sub_u32_e32 v8, 29, v31
	v_and_b32_e32 v7, 7, v7
	v_cndmask_b32_e32 v8, v9, v8, vcc
	v_cndmask_b32_e32 v4, v4, v7, vcc
	v_lshlrev_b32_e32 v7, 16, v2
	v_lshlrev_b32_e32 v4, 20, v4
	v_and_b32_e32 v7, 0x80000000, v7
	v_lshl_add_u32 v8, v8, 23, v5
	v_or3_b32 v4, v7, v8, v4
.LBB6_6685:                             ;   in Loop: Header=BB6_5404 Depth=2
	s_or_b64 exec, exec, s[94:95]
.LBB6_6686:                             ;   in Loop: Header=BB6_5404 Depth=2
	s_or_b64 exec, exec, s[92:93]
.LBB6_6687:                             ;   in Loop: Header=BB6_5404 Depth=2
	s_or_b64 exec, exec, s[90:91]
	v_cmp_ne_u16_e32 vcc, 0, v27
	s_and_saveexec_b64 s[90:91], vcc
	s_cbranch_execz .LBB6_6693
; %bb.6688:                             ;   in Loop: Header=BB6_5404 Depth=2
	v_cmp_ne_u16_e32 vcc, s49, v27
	v_bfrev_b32_e32 v6, 1
	s_and_saveexec_b64 s[92:93], vcc
	s_cbranch_execz .LBB6_6692
; %bb.6689:                             ;   in Loop: Header=BB6_5404 Depth=2
	v_and_b32_e32 v7, 0x7f, v27
	v_cmp_ne_u32_e32 vcc, s51, v7
	v_mov_b32_e32 v6, 0x7f800001
	s_and_saveexec_b64 s[94:95], vcc
	s_cbranch_execz .LBB6_6691
; %bb.6690:                             ;   in Loop: Header=BB6_5404 Depth=2
	v_and_b32_e32 v8, 7, v27
	v_ffbh_u32_e32 v6, v8
	v_min_u32_e32 v31, 32, v6
	v_subrev_u32_e32 v6, 28, v31
	v_lshrrev_b32_e32 v9, 3, v7
	v_cmp_gt_u32_e32 vcc, 8, v7
	v_lshlrev_b64 v[6:7], v6, v[27:28]
	v_sub_u32_e32 v7, 29, v31
	v_and_b32_e32 v6, 7, v6
	v_cndmask_b32_e32 v7, v9, v7, vcc
	v_cndmask_b32_e32 v6, v8, v6, vcc
	v_lshlrev_b32_e32 v8, 16, v26
	v_lshlrev_b32_e32 v6, 20, v6
	v_and_b32_e32 v8, 0x80000000, v8
	v_lshl_add_u32 v7, v7, 23, v5
	v_or3_b32 v6, v8, v7, v6
.LBB6_6691:                             ;   in Loop: Header=BB6_5404 Depth=2
	s_or_b64 exec, exec, s[94:95]
.LBB6_6692:                             ;   in Loop: Header=BB6_5404 Depth=2
	s_or_b64 exec, exec, s[92:93]
.LBB6_6693:                             ;   in Loop: Header=BB6_5404 Depth=2
	s_or_b64 exec, exec, s[90:91]
	v_max_f32_e32 v6, v6, v6
	v_max_f32_e32 v4, v4, v4
	v_max_f32_e32 v6, v4, v6
	s_mov_b64 s[90:91], 0
.LBB6_6694:                             ;   in Loop: Header=BB6_5404 Depth=2
	s_and_b64 vcc, exec, s[90:91]
	s_cbranch_vccz .LBB6_6708
; %bb.6695:                             ;   in Loop: Header=BB6_5404 Depth=2
	v_mov_b32_e32 v6, 0
	v_mov_b32_e32 v4, 0
	s_and_saveexec_b64 s[90:91], s[20:21]
	s_cbranch_execz .LBB6_6701
; %bb.6696:                             ;   in Loop: Header=BB6_5404 Depth=2
	v_cmp_ne_u16_e32 vcc, s49, v30
	v_bfrev_b32_e32 v4, 1
	s_and_saveexec_b64 s[20:21], vcc
	s_cbranch_execz .LBB6_6700
; %bb.6697:                             ;   in Loop: Header=BB6_5404 Depth=2
	v_and_b32_e32 v7, 0x7f, v30
	v_cmp_ne_u32_e32 vcc, s51, v7
	v_mov_b32_e32 v4, 0x7f800001
	s_and_saveexec_b64 s[92:93], vcc
	s_cbranch_execz .LBB6_6699
; %bb.6698:                             ;   in Loop: Header=BB6_5404 Depth=2
	v_and_b32_e32 v4, 7, v30
	v_lshrrev_b32_e32 v9, 3, v7
	v_cmp_gt_u32_e32 vcc, 8, v7
	v_ffbh_u32_e32 v7, v4
	v_min_u32_e32 v31, 32, v7
	v_subrev_u32_e32 v7, 28, v31
	v_lshlrev_b64 v[7:8], v7, v[30:31]
	v_sub_u32_e32 v8, 29, v31
	v_and_b32_e32 v7, 7, v7
	v_cndmask_b32_e32 v8, v9, v8, vcc
	v_cndmask_b32_e32 v4, v4, v7, vcc
	v_lshlrev_b32_e32 v2, 16, v2
	v_lshlrev_b32_e32 v4, 20, v4
	v_and_b32_e32 v2, 0x80000000, v2
	v_lshl_add_u32 v7, v8, 23, v5
	v_or3_b32 v4, v2, v7, v4
.LBB6_6699:                             ;   in Loop: Header=BB6_5404 Depth=2
	s_or_b64 exec, exec, s[92:93]
.LBB6_6700:                             ;   in Loop: Header=BB6_5404 Depth=2
	s_or_b64 exec, exec, s[20:21]
.LBB6_6701:                             ;   in Loop: Header=BB6_5404 Depth=2
	s_or_b64 exec, exec, s[90:91]
	v_cmp_ne_u16_e32 vcc, 0, v27
	s_and_saveexec_b64 s[20:21], vcc
	s_cbranch_execz .LBB6_6707
; %bb.6702:                             ;   in Loop: Header=BB6_5404 Depth=2
	v_cmp_ne_u16_e32 vcc, s49, v27
	v_bfrev_b32_e32 v6, 1
	s_and_saveexec_b64 s[90:91], vcc
	s_cbranch_execz .LBB6_6706
; %bb.6703:                             ;   in Loop: Header=BB6_5404 Depth=2
	v_and_b32_e32 v2, 0x7f, v27
	v_cmp_ne_u32_e32 vcc, s51, v2
	v_mov_b32_e32 v6, 0x7f800001
	s_and_saveexec_b64 s[92:93], vcc
	s_cbranch_execz .LBB6_6705
; %bb.6704:                             ;   in Loop: Header=BB6_5404 Depth=2
	v_and_b32_e32 v8, 7, v27
	v_lshrrev_b32_e32 v9, 3, v2
	v_cmp_gt_u32_e32 vcc, 8, v2
	v_ffbh_u32_e32 v2, v8
	v_min_u32_e32 v2, 32, v2
	v_subrev_u32_e32 v6, 28, v2
	v_lshlrev_b64 v[6:7], v6, v[27:28]
	v_sub_u32_e32 v2, 29, v2
	v_and_b32_e32 v6, 7, v6
	v_cndmask_b32_e32 v2, v9, v2, vcc
	v_cndmask_b32_e32 v6, v8, v6, vcc
	v_lshlrev_b32_e32 v7, 16, v26
	v_lshlrev_b32_e32 v6, 20, v6
	v_and_b32_e32 v7, 0x80000000, v7
	v_lshl_add_u32 v2, v2, 23, v5
	v_or3_b32 v6, v7, v2, v6
.LBB6_6705:                             ;   in Loop: Header=BB6_5404 Depth=2
	s_or_b64 exec, exec, s[92:93]
.LBB6_6706:                             ;   in Loop: Header=BB6_5404 Depth=2
	s_or_b64 exec, exec, s[90:91]
.LBB6_6707:                             ;   in Loop: Header=BB6_5404 Depth=2
	s_or_b64 exec, exec, s[20:21]
	v_max_f32_e32 v2, v6, v6
	v_max_f32_e32 v4, v4, v4
	v_min_f32_e32 v6, v4, v2
.LBB6_6708:                             ;   in Loop: Header=BB6_5404 Depth=2
	v_and_b32_e32 v2, 0x7f800000, v6
	v_cmp_ne_u64_e32 vcc, s[62:63], v[2:3]
                                        ; implicit-def: $vgpr37
	s_and_saveexec_b64 s[20:21], vcc
	s_xor_b64 s[90:91], exec, s[20:21]
	s_cbranch_execz .LBB6_6722
; %bb.6709:                             ;   in Loop: Header=BB6_5404 Depth=2
	v_and_b32_e32 v2, 0x7fffffff, v6
	v_cmp_gt_u64_e32 vcc, s[72:73], v[2:3]
	v_and_b32_sdwa v4, v6, s49 dst_sel:DWORD dst_unused:UNUSED_PAD src0_sel:BYTE_3 src1_sel:DWORD
                                        ; implicit-def: $vgpr37
	s_and_saveexec_b64 s[20:21], vcc
	s_xor_b64 s[92:93], exec, s[20:21]
	s_cbranch_execz .LBB6_6719
; %bb.6710:                             ;   in Loop: Header=BB6_5404 Depth=2
	v_mov_b32_e32 v37, 0
	v_cmp_ne_u32_e32 vcc, 0, v6
	s_and_saveexec_b64 s[94:95], vcc
	s_cbranch_execz .LBB6_6718
; %bb.6711:                             ;   in Loop: Header=BB6_5404 Depth=2
	v_and_b32_e32 v2, 0x7fffff, v6
	v_bfe_u32 v6, v6, 23, 8
	v_cmp_gt_u32_e64 s[20:21], s53, v6
	v_sub_u32_e32 v7, 0x79, v6
	v_cmp_eq_u32_e32 vcc, 0, v6
	v_cndmask_b32_e64 v7, 0, v7, s[20:21]
	v_mov_b32_e32 v9, 0x78
	v_or_b32_e32 v8, 0x800000, v2
	v_cndmask_b32_e32 v7, v7, v9, vcc
	v_cndmask_b32_e32 v2, v8, v2, vcc
	v_add_u32_e32 v8, 20, v7
	v_lshlrev_b64 v[8:9], v8, -1
	v_add_u32_e32 v26, 19, v7
	v_lshlrev_b64 v[26:27], v26, 1
	v_bfi_b32 v9, v9, 0, 0
	v_bfi_b32 v8, v8, 0, v2
	v_cmp_eq_u64_e64 s[20:21], v[8:9], v[26:27]
	v_lshrrev_b64 v[26:27], v7, v[2:3]
	v_mov_b32_e32 v31, v27
	v_mov_b32_e32 v30, v26
	s_and_saveexec_b64 s[30:31], s[20:21]
; %bb.6712:                             ;   in Loop: Header=BB6_5404 Depth=2
	v_bfe_u32 v2, v26, 20, 1
	v_add_co_u32_e64 v2, s[20:21], v26, v2
	v_add_co_u32_e64 v30, s[20:21], -1, v2
; %bb.6713:                             ;   in Loop: Header=BB6_5404 Depth=2
	s_or_b64 exec, exec, s[30:31]
	v_add_u32_e32 v2, 0xffffff81, v6
	v_cndmask_b32_e32 v2, v2, v59, vcc
	v_lshrrev_b32_e32 v6, 23, v26
	v_add3_u32 v8, v7, v2, v6
	v_add_u32_e32 v7, 6, v8
	v_and_b32_e32 v2, 0xfffff, v30
	v_add_u32_e32 v2, v2, v26
	v_cmp_ne_u32_e32 vcc, 0, v7
                                        ; implicit-def: $vgpr26_vgpr27
                                        ; implicit-def: $vgpr6
	s_and_saveexec_b64 s[20:21], vcc
	s_xor_b64 s[20:21], exec, s[20:21]
; %bb.6714:                             ;   in Loop: Header=BB6_5404 Depth=2
	v_cmp_lt_u64_e32 vcc, s[74:75], v[2:3]
	v_add_u32_e32 v6, 7, v8
	v_cndmask_b32_e32 v6, v7, v6, vcc
	v_cndmask_b32_e64 v7, 0, 1, vcc
	v_lshrrev_b64 v[26:27], v7, v[2:3]
; %bb.6715:                             ;   in Loop: Header=BB6_5404 Depth=2
	s_andn2_saveexec_b64 s[20:21], s[20:21]
; %bb.6716:                             ;   in Loop: Header=BB6_5404 Depth=2
	v_mov_b32_e32 v27, v3
	v_bfe_u32 v6, v2, 23, 1
	v_mov_b32_e32 v26, v2
; %bb.6717:                             ;   in Loop: Header=BB6_5404 Depth=2
	s_or_b64 exec, exec, s[20:21]
	v_lshrrev_b64 v[7:8], 20, v[26:27]
	v_cmp_gt_i32_e32 vcc, 16, v6
	v_cndmask_b32_e32 v8, 0, v8, vcc
	v_cndmask_b32_e32 v7, 7, v7, vcc
	v_min_i32_e32 v2, 15, v6
	v_cmp_eq_u64_e64 s[20:21], 0, v[7:8]
	v_lshlrev_b32_e32 v2, 3, v2
	v_cmp_eq_u32_e32 vcc, 0, v6
	v_and_b32_e32 v2, 0xf8, v2
	v_and_or_b32 v2, v7, 7, v2
	s_and_b64 s[20:21], vcc, s[20:21]
	v_cndmask_b32_e64 v2, v2, 0, s[20:21]
	v_or_b32_e32 v37, v2, v4
.LBB6_6718:                             ;   in Loop: Header=BB6_5404 Depth=2
	s_or_b64 exec, exec, s[94:95]
                                        ; implicit-def: $vgpr4
.LBB6_6719:                             ;   in Loop: Header=BB6_5404 Depth=2
	s_andn2_saveexec_b64 s[20:21], s[92:93]
; %bb.6720:                             ;   in Loop: Header=BB6_5404 Depth=2
	v_or_b32_e32 v37, 0x7e, v4
; %bb.6721:                             ;   in Loop: Header=BB6_5404 Depth=2
	s_or_b64 exec, exec, s[20:21]
                                        ; implicit-def: $vgpr6
.LBB6_6722:                             ;   in Loop: Header=BB6_5404 Depth=2
	s_andn2_saveexec_b64 s[20:21], s[90:91]
; %bb.6723:                             ;   in Loop: Header=BB6_5404 Depth=2
	v_or_b32_sdwa v37, v6, s51 dst_sel:DWORD dst_unused:UNUSED_PAD src0_sel:BYTE_3 src1_sel:DWORD
; %bb.6724:                             ;   in Loop: Header=BB6_5404 Depth=2
	s_or_b64 exec, exec, s[20:21]
	v_lshrrev_b32_e32 v26, 16, v35
	v_lshrrev_b32_e32 v2, 16, v29
	v_cmp_ne_u16_sdwa s[20:21], v26, v3 src0_sel:BYTE_0 src1_sel:DWORD
	s_and_b64 vcc, exec, s[18:19]
	s_mov_b64 s[90:91], -1
                                        ; implicit-def: $vgpr6
	s_cbranch_vccnz .LBB6_6738
; %bb.6725:                             ;   in Loop: Header=BB6_5404 Depth=2
	v_mov_b32_e32 v6, 0
	v_mov_b32_e32 v4, 0
	s_and_saveexec_b64 s[90:91], s[20:21]
	s_cbranch_execz .LBB6_6731
; %bb.6726:                             ;   in Loop: Header=BB6_5404 Depth=2
	v_cmp_ne_u16_sdwa s[94:95], v26, s49 src0_sel:BYTE_0 src1_sel:DWORD
	v_bfrev_b32_e32 v4, 1
	s_and_saveexec_b64 s[92:93], s[94:95]
	s_cbranch_execz .LBB6_6730
; %bb.6727:                             ;   in Loop: Header=BB6_5404 Depth=2
	v_bfe_u32 v7, v35, 16, 7
	v_cmp_ne_u32_e32 vcc, s51, v7
	v_mov_b32_e32 v4, 0x7f800001
	s_and_saveexec_b64 s[94:95], vcc
	s_cbranch_execz .LBB6_6729
; %bb.6728:                             ;   in Loop: Header=BB6_5404 Depth=2
	v_and_b32_e32 v4, 7, v26
	v_lshrrev_b32_e32 v9, 3, v7
	v_cmp_gt_u32_e32 vcc, 8, v7
	v_ffbh_u32_e32 v7, v4
	v_min_u32_e32 v27, 32, v7
	v_subrev_u32_e32 v7, 28, v27
	v_lshlrev_b64 v[7:8], v7, v[26:27]
	v_sub_u32_e32 v8, 29, v27
	v_and_b32_e32 v7, 7, v7
	v_cndmask_b32_e32 v8, v9, v8, vcc
	v_cndmask_b32_e32 v4, v4, v7, vcc
	v_lshlrev_b32_e32 v7, 24, v26
	v_lshlrev_b32_e32 v4, 20, v4
	v_and_b32_e32 v7, 0x80000000, v7
	v_lshl_add_u32 v8, v8, 23, v5
	v_or3_b32 v4, v7, v8, v4
.LBB6_6729:                             ;   in Loop: Header=BB6_5404 Depth=2
	s_or_b64 exec, exec, s[94:95]
.LBB6_6730:                             ;   in Loop: Header=BB6_5404 Depth=2
	s_or_b64 exec, exec, s[92:93]
.LBB6_6731:                             ;   in Loop: Header=BB6_5404 Depth=2
	s_or_b64 exec, exec, s[90:91]
	v_cmp_ne_u16_sdwa s[92:93], v2, v3 src0_sel:BYTE_0 src1_sel:DWORD
	s_and_saveexec_b64 s[90:91], s[92:93]
	s_cbranch_execz .LBB6_6737
; %bb.6732:                             ;   in Loop: Header=BB6_5404 Depth=2
	v_cmp_ne_u16_sdwa s[94:95], v2, s49 src0_sel:BYTE_0 src1_sel:DWORD
	v_bfrev_b32_e32 v6, 1
	s_and_saveexec_b64 s[92:93], s[94:95]
	s_cbranch_execz .LBB6_6736
; %bb.6733:                             ;   in Loop: Header=BB6_5404 Depth=2
	v_bfe_u32 v7, v29, 16, 7
	v_cmp_ne_u32_e32 vcc, s51, v7
	v_mov_b32_e32 v6, 0x7f800001
	s_and_saveexec_b64 s[94:95], vcc
	s_cbranch_execz .LBB6_6735
; %bb.6734:                             ;   in Loop: Header=BB6_5404 Depth=2
	v_and_b32_e32 v8, 7, v2
	v_ffbh_u32_e32 v6, v8
	v_min_u32_e32 v27, 32, v6
	v_subrev_u32_e32 v6, 28, v27
	v_lshrrev_b32_e32 v9, 3, v7
	v_cmp_gt_u32_e32 vcc, 8, v7
	v_lshlrev_b64 v[6:7], v6, v[2:3]
	v_sub_u32_e32 v7, 29, v27
	v_and_b32_e32 v6, 7, v6
	v_cndmask_b32_e32 v7, v9, v7, vcc
	v_cndmask_b32_e32 v6, v8, v6, vcc
	v_lshlrev_b32_e32 v8, 24, v2
	v_lshlrev_b32_e32 v6, 20, v6
	v_and_b32_e32 v8, 0x80000000, v8
	v_lshl_add_u32 v7, v7, 23, v5
	v_or3_b32 v6, v8, v7, v6
.LBB6_6735:                             ;   in Loop: Header=BB6_5404 Depth=2
	s_or_b64 exec, exec, s[94:95]
.LBB6_6736:                             ;   in Loop: Header=BB6_5404 Depth=2
	s_or_b64 exec, exec, s[92:93]
.LBB6_6737:                             ;   in Loop: Header=BB6_5404 Depth=2
	s_or_b64 exec, exec, s[90:91]
	v_max_f32_e32 v6, v6, v6
	v_max_f32_e32 v4, v4, v4
	;; [unrolled: 1-line block ×3, first 2 shown]
	s_mov_b64 s[90:91], 0
.LBB6_6738:                             ;   in Loop: Header=BB6_5404 Depth=2
	s_and_b64 vcc, exec, s[90:91]
	s_cbranch_vccz .LBB6_6752
; %bb.6739:                             ;   in Loop: Header=BB6_5404 Depth=2
	v_mov_b32_e32 v6, 0
	v_mov_b32_e32 v4, 0
	s_and_saveexec_b64 s[90:91], s[20:21]
	s_cbranch_execz .LBB6_6745
; %bb.6740:                             ;   in Loop: Header=BB6_5404 Depth=2
	v_cmp_ne_u16_sdwa s[92:93], v26, s49 src0_sel:BYTE_0 src1_sel:DWORD
	v_bfrev_b32_e32 v4, 1
	s_and_saveexec_b64 s[20:21], s[92:93]
	s_cbranch_execz .LBB6_6744
; %bb.6741:                             ;   in Loop: Header=BB6_5404 Depth=2
	v_bfe_u32 v7, v35, 16, 7
	v_cmp_ne_u32_e32 vcc, s51, v7
	v_mov_b32_e32 v4, 0x7f800001
	s_and_saveexec_b64 s[92:93], vcc
	s_cbranch_execz .LBB6_6743
; %bb.6742:                             ;   in Loop: Header=BB6_5404 Depth=2
	v_and_b32_e32 v4, 7, v26
	v_lshrrev_b32_e32 v9, 3, v7
	v_cmp_gt_u32_e32 vcc, 8, v7
	v_ffbh_u32_e32 v7, v4
	v_min_u32_e32 v27, 32, v7
	v_subrev_u32_e32 v7, 28, v27
	v_lshlrev_b64 v[7:8], v7, v[26:27]
	v_sub_u32_e32 v8, 29, v27
	v_and_b32_e32 v7, 7, v7
	v_cndmask_b32_e32 v8, v9, v8, vcc
	v_cndmask_b32_e32 v4, v4, v7, vcc
	v_lshlrev_b32_e32 v7, 24, v26
	v_lshlrev_b32_e32 v4, 20, v4
	v_and_b32_e32 v7, 0x80000000, v7
	v_lshl_add_u32 v8, v8, 23, v5
	v_or3_b32 v4, v7, v8, v4
.LBB6_6743:                             ;   in Loop: Header=BB6_5404 Depth=2
	s_or_b64 exec, exec, s[92:93]
.LBB6_6744:                             ;   in Loop: Header=BB6_5404 Depth=2
	s_or_b64 exec, exec, s[20:21]
.LBB6_6745:                             ;   in Loop: Header=BB6_5404 Depth=2
	s_or_b64 exec, exec, s[90:91]
	v_cmp_ne_u16_sdwa s[90:91], v2, v3 src0_sel:BYTE_0 src1_sel:DWORD
	s_and_saveexec_b64 s[20:21], s[90:91]
	s_cbranch_execz .LBB6_6751
; %bb.6746:                             ;   in Loop: Header=BB6_5404 Depth=2
	v_cmp_ne_u16_sdwa s[92:93], v2, s49 src0_sel:BYTE_0 src1_sel:DWORD
	v_bfrev_b32_e32 v6, 1
	s_and_saveexec_b64 s[90:91], s[92:93]
	s_cbranch_execz .LBB6_6750
; %bb.6747:                             ;   in Loop: Header=BB6_5404 Depth=2
	v_bfe_u32 v7, v29, 16, 7
	v_cmp_ne_u32_e32 vcc, s51, v7
	v_mov_b32_e32 v6, 0x7f800001
	s_and_saveexec_b64 s[92:93], vcc
	s_cbranch_execz .LBB6_6749
; %bb.6748:                             ;   in Loop: Header=BB6_5404 Depth=2
	v_and_b32_e32 v8, 7, v2
	v_ffbh_u32_e32 v6, v8
	v_min_u32_e32 v26, 32, v6
	v_subrev_u32_e32 v6, 28, v26
	v_lshrrev_b32_e32 v9, 3, v7
	v_cmp_gt_u32_e32 vcc, 8, v7
	v_lshlrev_b64 v[6:7], v6, v[2:3]
	v_sub_u32_e32 v7, 29, v26
	v_and_b32_e32 v6, 7, v6
	v_cndmask_b32_e32 v7, v9, v7, vcc
	v_cndmask_b32_e32 v6, v8, v6, vcc
	v_lshlrev_b32_e32 v2, 24, v2
	v_lshlrev_b32_e32 v6, 20, v6
	v_and_b32_e32 v2, 0x80000000, v2
	v_lshl_add_u32 v7, v7, 23, v5
	v_or3_b32 v6, v2, v7, v6
.LBB6_6749:                             ;   in Loop: Header=BB6_5404 Depth=2
	s_or_b64 exec, exec, s[92:93]
.LBB6_6750:                             ;   in Loop: Header=BB6_5404 Depth=2
	s_or_b64 exec, exec, s[90:91]
.LBB6_6751:                             ;   in Loop: Header=BB6_5404 Depth=2
	s_or_b64 exec, exec, s[20:21]
	v_max_f32_e32 v2, v6, v6
	v_max_f32_e32 v4, v4, v4
	v_min_f32_e32 v6, v4, v2
.LBB6_6752:                             ;   in Loop: Header=BB6_5404 Depth=2
	v_and_b32_e32 v2, 0x7f800000, v6
	v_cmp_ne_u64_e32 vcc, s[62:63], v[2:3]
                                        ; implicit-def: $vgpr30
	s_and_saveexec_b64 s[20:21], vcc
	s_xor_b64 s[90:91], exec, s[20:21]
	s_cbranch_execz .LBB6_6766
; %bb.6753:                             ;   in Loop: Header=BB6_5404 Depth=2
	v_and_b32_e32 v2, 0x7fffffff, v6
	v_cmp_gt_u64_e32 vcc, s[72:73], v[2:3]
	v_and_b32_sdwa v4, v6, s49 dst_sel:DWORD dst_unused:UNUSED_PAD src0_sel:BYTE_3 src1_sel:DWORD
                                        ; implicit-def: $vgpr30
	s_and_saveexec_b64 s[20:21], vcc
	s_xor_b64 s[92:93], exec, s[20:21]
	s_cbranch_execz .LBB6_6763
; %bb.6754:                             ;   in Loop: Header=BB6_5404 Depth=2
	v_mov_b32_e32 v30, 0
	v_cmp_ne_u32_e32 vcc, 0, v6
	s_and_saveexec_b64 s[94:95], vcc
	s_cbranch_execz .LBB6_6762
; %bb.6755:                             ;   in Loop: Header=BB6_5404 Depth=2
	v_and_b32_e32 v2, 0x7fffff, v6
	v_bfe_u32 v6, v6, 23, 8
	v_cmp_gt_u32_e64 s[20:21], s53, v6
	v_sub_u32_e32 v7, 0x79, v6
	v_cmp_eq_u32_e32 vcc, 0, v6
	v_cndmask_b32_e64 v7, 0, v7, s[20:21]
	v_mov_b32_e32 v9, 0x78
	v_or_b32_e32 v8, 0x800000, v2
	v_cndmask_b32_e32 v7, v7, v9, vcc
	v_cndmask_b32_e32 v2, v8, v2, vcc
	v_add_u32_e32 v8, 20, v7
	v_lshlrev_b64 v[8:9], v8, -1
	v_add_u32_e32 v26, 19, v7
	v_lshlrev_b64 v[26:27], v26, 1
	v_bfi_b32 v9, v9, 0, 0
	v_bfi_b32 v8, v8, 0, v2
	v_cmp_eq_u64_e64 s[20:21], v[8:9], v[26:27]
	v_lshrrev_b64 v[26:27], v7, v[2:3]
	v_mov_b32_e32 v31, v27
	v_mov_b32_e32 v30, v26
	s_and_saveexec_b64 s[30:31], s[20:21]
; %bb.6756:                             ;   in Loop: Header=BB6_5404 Depth=2
	v_bfe_u32 v2, v26, 20, 1
	v_add_co_u32_e64 v2, s[20:21], v26, v2
	v_add_co_u32_e64 v30, s[20:21], -1, v2
; %bb.6757:                             ;   in Loop: Header=BB6_5404 Depth=2
	s_or_b64 exec, exec, s[30:31]
	v_add_u32_e32 v2, 0xffffff81, v6
	v_cndmask_b32_e32 v2, v2, v59, vcc
	v_lshrrev_b32_e32 v6, 23, v26
	v_add3_u32 v8, v7, v2, v6
	v_add_u32_e32 v7, 6, v8
	v_and_b32_e32 v2, 0xfffff, v30
	v_add_u32_e32 v2, v2, v26
	v_cmp_ne_u32_e32 vcc, 0, v7
                                        ; implicit-def: $vgpr26_vgpr27
                                        ; implicit-def: $vgpr6
	s_and_saveexec_b64 s[20:21], vcc
	s_xor_b64 s[20:21], exec, s[20:21]
; %bb.6758:                             ;   in Loop: Header=BB6_5404 Depth=2
	v_cmp_lt_u64_e32 vcc, s[74:75], v[2:3]
	v_add_u32_e32 v6, 7, v8
	v_cndmask_b32_e32 v6, v7, v6, vcc
	v_cndmask_b32_e64 v7, 0, 1, vcc
	v_lshrrev_b64 v[26:27], v7, v[2:3]
; %bb.6759:                             ;   in Loop: Header=BB6_5404 Depth=2
	s_andn2_saveexec_b64 s[20:21], s[20:21]
; %bb.6760:                             ;   in Loop: Header=BB6_5404 Depth=2
	v_mov_b32_e32 v27, v3
	v_bfe_u32 v6, v2, 23, 1
	v_mov_b32_e32 v26, v2
; %bb.6761:                             ;   in Loop: Header=BB6_5404 Depth=2
	s_or_b64 exec, exec, s[20:21]
	v_lshrrev_b64 v[7:8], 20, v[26:27]
	v_cmp_gt_i32_e32 vcc, 16, v6
	v_cndmask_b32_e32 v8, 0, v8, vcc
	v_cndmask_b32_e32 v7, 7, v7, vcc
	v_min_i32_e32 v2, 15, v6
	v_cmp_eq_u64_e64 s[20:21], 0, v[7:8]
	v_lshlrev_b32_e32 v2, 3, v2
	v_cmp_eq_u32_e32 vcc, 0, v6
	v_and_b32_e32 v2, 0xf8, v2
	v_and_or_b32 v2, v7, 7, v2
	s_and_b64 s[20:21], vcc, s[20:21]
	v_cndmask_b32_e64 v2, v2, 0, s[20:21]
	v_or_b32_e32 v30, v2, v4
.LBB6_6762:                             ;   in Loop: Header=BB6_5404 Depth=2
	s_or_b64 exec, exec, s[94:95]
                                        ; implicit-def: $vgpr4
.LBB6_6763:                             ;   in Loop: Header=BB6_5404 Depth=2
	s_andn2_saveexec_b64 s[20:21], s[92:93]
; %bb.6764:                             ;   in Loop: Header=BB6_5404 Depth=2
	v_or_b32_e32 v30, 0x7e, v4
; %bb.6765:                             ;   in Loop: Header=BB6_5404 Depth=2
	s_or_b64 exec, exec, s[20:21]
                                        ; implicit-def: $vgpr6
.LBB6_6766:                             ;   in Loop: Header=BB6_5404 Depth=2
	s_andn2_saveexec_b64 s[20:21], s[90:91]
; %bb.6767:                             ;   in Loop: Header=BB6_5404 Depth=2
	v_or_b32_sdwa v30, v6, s51 dst_sel:DWORD dst_unused:UNUSED_PAD src0_sel:BYTE_3 src1_sel:DWORD
; %bb.6768:                             ;   in Loop: Header=BB6_5404 Depth=2
	s_or_b64 exec, exec, s[20:21]
	v_cmp_lt_u64_e64 s[20:21], s[76:77], v[34:35]
	v_lshrrev_b32_e32 v26, 24, v35
	v_lshrrev_b32_e32 v2, 24, v29
	s_and_b64 vcc, exec, s[18:19]
	s_mov_b64 s[90:91], -1
                                        ; implicit-def: $vgpr6
	s_cbranch_vccnz .LBB6_6782
; %bb.6769:                             ;   in Loop: Header=BB6_5404 Depth=2
	v_mov_b32_e32 v6, 0
	v_mov_b32_e32 v4, 0
	s_and_saveexec_b64 s[90:91], s[20:21]
	s_cbranch_execz .LBB6_6775
; %bb.6770:                             ;   in Loop: Header=BB6_5404 Depth=2
	v_cmp_ne_u32_e32 vcc, s49, v26
	v_bfrev_b32_e32 v4, 1
	s_and_saveexec_b64 s[92:93], vcc
	s_cbranch_execz .LBB6_6774
; %bb.6771:                             ;   in Loop: Header=BB6_5404 Depth=2
	v_bfe_u32 v7, v35, 24, 7
	v_cmp_ne_u32_e32 vcc, s51, v7
	v_mov_b32_e32 v4, 0x7f800001
	s_and_saveexec_b64 s[94:95], vcc
	s_cbranch_execz .LBB6_6773
; %bb.6772:                             ;   in Loop: Header=BB6_5404 Depth=2
	v_and_b32_e32 v4, 7, v26
	v_lshrrev_b32_e32 v9, 3, v7
	v_cmp_gt_u32_e32 vcc, 8, v7
	v_ffbh_u32_e32 v7, v4
	v_min_u32_e32 v27, 32, v7
	v_subrev_u32_e32 v7, 28, v27
	v_lshlrev_b64 v[7:8], v7, v[26:27]
	v_sub_u32_e32 v8, 29, v27
	v_and_b32_e32 v7, 7, v7
	v_cndmask_b32_e32 v8, v9, v8, vcc
	v_cndmask_b32_e32 v4, v4, v7, vcc
	v_lshlrev_b32_e32 v7, 24, v26
	v_lshlrev_b32_e32 v4, 20, v4
	v_and_b32_e32 v7, 0x80000000, v7
	v_lshl_add_u32 v8, v8, 23, v5
	v_or3_b32 v4, v7, v8, v4
.LBB6_6773:                             ;   in Loop: Header=BB6_5404 Depth=2
	s_or_b64 exec, exec, s[94:95]
.LBB6_6774:                             ;   in Loop: Header=BB6_5404 Depth=2
	s_or_b64 exec, exec, s[92:93]
.LBB6_6775:                             ;   in Loop: Header=BB6_5404 Depth=2
	s_or_b64 exec, exec, s[90:91]
	v_cmp_lt_u64_e32 vcc, s[76:77], v[28:29]
	s_and_saveexec_b64 s[90:91], vcc
	s_cbranch_execz .LBB6_6781
; %bb.6776:                             ;   in Loop: Header=BB6_5404 Depth=2
	v_cmp_ne_u32_e32 vcc, s49, v2
	v_bfrev_b32_e32 v6, 1
	s_and_saveexec_b64 s[92:93], vcc
	s_cbranch_execz .LBB6_6780
; %bb.6777:                             ;   in Loop: Header=BB6_5404 Depth=2
	v_bfe_u32 v7, v29, 24, 7
	v_cmp_ne_u32_e32 vcc, s51, v7
	v_mov_b32_e32 v6, 0x7f800001
	s_and_saveexec_b64 s[94:95], vcc
	s_cbranch_execz .LBB6_6779
; %bb.6778:                             ;   in Loop: Header=BB6_5404 Depth=2
	v_and_b32_e32 v8, 7, v2
	v_ffbh_u32_e32 v6, v8
	v_min_u32_e32 v27, 32, v6
	v_subrev_u32_e32 v6, 28, v27
	v_lshrrev_b32_e32 v9, 3, v7
	v_cmp_gt_u32_e32 vcc, 8, v7
	v_lshlrev_b64 v[6:7], v6, v[2:3]
	v_sub_u32_e32 v7, 29, v27
	v_and_b32_e32 v6, 7, v6
	v_cndmask_b32_e32 v7, v9, v7, vcc
	v_cndmask_b32_e32 v6, v8, v6, vcc
	v_lshlrev_b32_e32 v8, 24, v2
	v_lshlrev_b32_e32 v6, 20, v6
	v_and_b32_e32 v8, 0x80000000, v8
	v_lshl_add_u32 v7, v7, 23, v5
	v_or3_b32 v6, v8, v7, v6
.LBB6_6779:                             ;   in Loop: Header=BB6_5404 Depth=2
	s_or_b64 exec, exec, s[94:95]
.LBB6_6780:                             ;   in Loop: Header=BB6_5404 Depth=2
	s_or_b64 exec, exec, s[92:93]
.LBB6_6781:                             ;   in Loop: Header=BB6_5404 Depth=2
	s_or_b64 exec, exec, s[90:91]
	v_max_f32_e32 v6, v6, v6
	v_max_f32_e32 v4, v4, v4
	v_max_f32_e32 v6, v4, v6
	s_mov_b64 s[90:91], 0
.LBB6_6782:                             ;   in Loop: Header=BB6_5404 Depth=2
	s_and_b64 vcc, exec, s[90:91]
	s_cbranch_vccz .LBB6_6796
; %bb.6783:                             ;   in Loop: Header=BB6_5404 Depth=2
	v_mov_b32_e32 v6, 0
	v_mov_b32_e32 v4, 0
	s_and_saveexec_b64 s[90:91], s[20:21]
	s_cbranch_execz .LBB6_6789
; %bb.6784:                             ;   in Loop: Header=BB6_5404 Depth=2
	v_cmp_ne_u32_e32 vcc, s49, v26
	v_bfrev_b32_e32 v4, 1
	s_and_saveexec_b64 s[20:21], vcc
	s_cbranch_execz .LBB6_6788
; %bb.6785:                             ;   in Loop: Header=BB6_5404 Depth=2
	v_bfe_u32 v7, v35, 24, 7
	v_cmp_ne_u32_e32 vcc, s51, v7
	v_mov_b32_e32 v4, 0x7f800001
	s_and_saveexec_b64 s[92:93], vcc
	s_cbranch_execz .LBB6_6787
; %bb.6786:                             ;   in Loop: Header=BB6_5404 Depth=2
	v_and_b32_e32 v4, 7, v26
	v_lshrrev_b32_e32 v9, 3, v7
	v_cmp_gt_u32_e32 vcc, 8, v7
	v_ffbh_u32_e32 v7, v4
	v_min_u32_e32 v27, 32, v7
	v_subrev_u32_e32 v7, 28, v27
	v_lshlrev_b64 v[7:8], v7, v[26:27]
	v_sub_u32_e32 v8, 29, v27
	v_and_b32_e32 v7, 7, v7
	v_cndmask_b32_e32 v8, v9, v8, vcc
	v_cndmask_b32_e32 v4, v4, v7, vcc
	v_lshlrev_b32_e32 v7, 24, v26
	v_lshlrev_b32_e32 v4, 20, v4
	v_and_b32_e32 v7, 0x80000000, v7
	v_lshl_add_u32 v8, v8, 23, v5
	v_or3_b32 v4, v7, v8, v4
.LBB6_6787:                             ;   in Loop: Header=BB6_5404 Depth=2
	s_or_b64 exec, exec, s[92:93]
.LBB6_6788:                             ;   in Loop: Header=BB6_5404 Depth=2
	s_or_b64 exec, exec, s[20:21]
.LBB6_6789:                             ;   in Loop: Header=BB6_5404 Depth=2
	s_or_b64 exec, exec, s[90:91]
	v_cmp_lt_u64_e32 vcc, s[76:77], v[28:29]
	s_and_saveexec_b64 s[20:21], vcc
	s_cbranch_execz .LBB6_6795
; %bb.6790:                             ;   in Loop: Header=BB6_5404 Depth=2
	v_cmp_ne_u32_e32 vcc, s49, v2
	v_bfrev_b32_e32 v6, 1
	s_and_saveexec_b64 s[90:91], vcc
	s_cbranch_execz .LBB6_6794
; %bb.6791:                             ;   in Loop: Header=BB6_5404 Depth=2
	v_bfe_u32 v7, v29, 24, 7
	v_cmp_ne_u32_e32 vcc, s51, v7
	v_mov_b32_e32 v6, 0x7f800001
	s_and_saveexec_b64 s[92:93], vcc
	s_cbranch_execz .LBB6_6793
; %bb.6792:                             ;   in Loop: Header=BB6_5404 Depth=2
	v_and_b32_e32 v8, 7, v2
	v_ffbh_u32_e32 v6, v8
	v_min_u32_e32 v26, 32, v6
	v_subrev_u32_e32 v6, 28, v26
	v_lshrrev_b32_e32 v9, 3, v7
	v_cmp_gt_u32_e32 vcc, 8, v7
	v_lshlrev_b64 v[6:7], v6, v[2:3]
	v_sub_u32_e32 v7, 29, v26
	v_and_b32_e32 v6, 7, v6
	v_cndmask_b32_e32 v7, v9, v7, vcc
	v_cndmask_b32_e32 v6, v8, v6, vcc
	v_lshlrev_b32_e32 v2, 24, v2
	v_lshlrev_b32_e32 v6, 20, v6
	v_and_b32_e32 v2, 0x80000000, v2
	v_lshl_add_u32 v7, v7, 23, v5
	v_or3_b32 v6, v2, v7, v6
.LBB6_6793:                             ;   in Loop: Header=BB6_5404 Depth=2
	s_or_b64 exec, exec, s[92:93]
.LBB6_6794:                             ;   in Loop: Header=BB6_5404 Depth=2
	s_or_b64 exec, exec, s[90:91]
.LBB6_6795:                             ;   in Loop: Header=BB6_5404 Depth=2
	s_or_b64 exec, exec, s[20:21]
	v_max_f32_e32 v2, v6, v6
	v_max_f32_e32 v4, v4, v4
	v_min_f32_e32 v6, v4, v2
.LBB6_6796:                             ;   in Loop: Header=BB6_5404 Depth=2
	v_and_b32_e32 v2, 0x7f800000, v6
	v_cmp_ne_u64_e32 vcc, s[62:63], v[2:3]
                                        ; implicit-def: $vgpr29
	s_and_saveexec_b64 s[20:21], vcc
	s_xor_b64 s[90:91], exec, s[20:21]
	s_cbranch_execz .LBB6_6810
; %bb.6797:                             ;   in Loop: Header=BB6_5404 Depth=2
	v_and_b32_e32 v2, 0x7fffffff, v6
	v_cmp_gt_u64_e32 vcc, s[72:73], v[2:3]
	v_and_b32_sdwa v4, v6, s49 dst_sel:DWORD dst_unused:UNUSED_PAD src0_sel:BYTE_3 src1_sel:DWORD
                                        ; implicit-def: $vgpr29
	s_and_saveexec_b64 s[20:21], vcc
	s_xor_b64 s[92:93], exec, s[20:21]
	s_cbranch_execz .LBB6_6807
; %bb.6798:                             ;   in Loop: Header=BB6_5404 Depth=2
	v_mov_b32_e32 v29, 0
	v_cmp_ne_u32_e32 vcc, 0, v6
	s_and_saveexec_b64 s[94:95], vcc
	s_cbranch_execz .LBB6_6806
; %bb.6799:                             ;   in Loop: Header=BB6_5404 Depth=2
	v_and_b32_e32 v2, 0x7fffff, v6
	v_bfe_u32 v6, v6, 23, 8
	v_cmp_gt_u32_e64 s[20:21], s53, v6
	v_sub_u32_e32 v7, 0x79, v6
	v_cmp_eq_u32_e32 vcc, 0, v6
	v_cndmask_b32_e64 v7, 0, v7, s[20:21]
	v_mov_b32_e32 v9, 0x78
	v_or_b32_e32 v8, 0x800000, v2
	v_cndmask_b32_e32 v7, v7, v9, vcc
	v_cndmask_b32_e32 v2, v8, v2, vcc
	v_add_u32_e32 v8, 20, v7
	v_lshlrev_b64 v[8:9], v8, -1
	v_add_u32_e32 v26, 19, v7
	v_lshlrev_b64 v[26:27], v26, 1
	v_bfi_b32 v9, v9, 0, 0
	v_bfi_b32 v8, v8, 0, v2
	v_cmp_eq_u64_e64 s[20:21], v[8:9], v[26:27]
	v_lshrrev_b64 v[26:27], v7, v[2:3]
	v_mov_b32_e32 v28, v27
	v_mov_b32_e32 v27, v26
	s_and_saveexec_b64 s[30:31], s[20:21]
; %bb.6800:                             ;   in Loop: Header=BB6_5404 Depth=2
	v_bfe_u32 v2, v26, 20, 1
	v_add_co_u32_e64 v2, s[20:21], v26, v2
	v_add_co_u32_e64 v27, s[20:21], -1, v2
; %bb.6801:                             ;   in Loop: Header=BB6_5404 Depth=2
	s_or_b64 exec, exec, s[30:31]
	v_add_u32_e32 v2, 0xffffff81, v6
	v_cndmask_b32_e32 v2, v2, v59, vcc
	v_lshrrev_b32_e32 v6, 23, v26
	v_add3_u32 v8, v7, v2, v6
	v_add_u32_e32 v7, 6, v8
	v_and_b32_e32 v2, 0xfffff, v27
	v_add_u32_e32 v2, v2, v26
	v_cmp_ne_u32_e32 vcc, 0, v7
                                        ; implicit-def: $vgpr26_vgpr27
                                        ; implicit-def: $vgpr6
	s_and_saveexec_b64 s[20:21], vcc
	s_xor_b64 s[20:21], exec, s[20:21]
; %bb.6802:                             ;   in Loop: Header=BB6_5404 Depth=2
	v_cmp_lt_u64_e32 vcc, s[74:75], v[2:3]
	v_add_u32_e32 v6, 7, v8
	v_cndmask_b32_e32 v6, v7, v6, vcc
	v_cndmask_b32_e64 v7, 0, 1, vcc
	v_lshrrev_b64 v[26:27], v7, v[2:3]
; %bb.6803:                             ;   in Loop: Header=BB6_5404 Depth=2
	s_andn2_saveexec_b64 s[20:21], s[20:21]
; %bb.6804:                             ;   in Loop: Header=BB6_5404 Depth=2
	v_mov_b32_e32 v27, v3
	v_bfe_u32 v6, v2, 23, 1
	v_mov_b32_e32 v26, v2
; %bb.6805:                             ;   in Loop: Header=BB6_5404 Depth=2
	s_or_b64 exec, exec, s[20:21]
	v_lshrrev_b64 v[7:8], 20, v[26:27]
	v_cmp_gt_i32_e32 vcc, 16, v6
	v_cndmask_b32_e32 v8, 0, v8, vcc
	v_cndmask_b32_e32 v7, 7, v7, vcc
	v_min_i32_e32 v2, 15, v6
	v_cmp_eq_u64_e64 s[20:21], 0, v[7:8]
	v_lshlrev_b32_e32 v2, 3, v2
	v_cmp_eq_u32_e32 vcc, 0, v6
	v_and_b32_e32 v2, 0xf8, v2
	v_and_or_b32 v2, v7, 7, v2
	s_and_b64 s[20:21], vcc, s[20:21]
	v_cndmask_b32_e64 v2, v2, 0, s[20:21]
	v_or_b32_e32 v29, v2, v4
.LBB6_6806:                             ;   in Loop: Header=BB6_5404 Depth=2
	s_or_b64 exec, exec, s[94:95]
                                        ; implicit-def: $vgpr4
.LBB6_6807:                             ;   in Loop: Header=BB6_5404 Depth=2
	s_andn2_saveexec_b64 s[20:21], s[92:93]
; %bb.6808:                             ;   in Loop: Header=BB6_5404 Depth=2
	v_or_b32_e32 v29, 0x7e, v4
; %bb.6809:                             ;   in Loop: Header=BB6_5404 Depth=2
	s_or_b64 exec, exec, s[20:21]
                                        ; implicit-def: $vgpr6
.LBB6_6810:                             ;   in Loop: Header=BB6_5404 Depth=2
	s_andn2_saveexec_b64 s[20:21], s[90:91]
; %bb.6811:                             ;   in Loop: Header=BB6_5404 Depth=2
	v_or_b32_sdwa v29, v6, s51 dst_sel:DWORD dst_unused:UNUSED_PAD src0_sel:BYTE_3 src1_sel:DWORD
; %bb.6812:                             ;   in Loop: Header=BB6_5404 Depth=2
	s_or_b64 exec, exec, s[20:21]
	v_cmp_ne_u16_sdwa s[20:21], v22, v3 src0_sel:BYTE_0 src1_sel:DWORD
	s_and_b64 vcc, exec, s[18:19]
	s_mov_b64 s[90:91], -1
                                        ; implicit-def: $vgpr6
	s_cbranch_vccnz .LBB6_6826
; %bb.6813:                             ;   in Loop: Header=BB6_5404 Depth=2
	v_mov_b32_e32 v4, 0
	v_mov_b32_e32 v2, 0
	s_and_saveexec_b64 s[90:91], s[20:21]
	s_cbranch_execz .LBB6_6819
; %bb.6814:                             ;   in Loop: Header=BB6_5404 Depth=2
	v_cmp_ne_u16_sdwa s[94:95], v22, s49 src0_sel:BYTE_0 src1_sel:DWORD
	v_bfrev_b32_e32 v2, 1
	s_and_saveexec_b64 s[92:93], s[94:95]
	s_cbranch_execz .LBB6_6818
; %bb.6815:                             ;   in Loop: Header=BB6_5404 Depth=2
	v_and_b32_e32 v6, 0x7f, v22
	v_cmp_ne_u32_e32 vcc, s51, v6
	v_mov_b32_e32 v2, 0x7f800001
	s_and_saveexec_b64 s[94:95], vcc
	s_cbranch_execz .LBB6_6817
; %bb.6816:                             ;   in Loop: Header=BB6_5404 Depth=2
	v_and_b32_e32 v2, 7, v22
	v_ffbh_u32_e32 v2, v2
	v_min_u32_e32 v2, 32, v2
	v_lshrrev_b32_e32 v7, 3, v6
	v_cmp_gt_u32_e32 vcc, 8, v6
	v_subrev_u32_e32 v6, 28, v2
	v_sub_u32_e32 v2, 29, v2
	v_cndmask_b32_e32 v6, 0, v6, vcc
	v_cndmask_b32_e32 v2, v7, v2, vcc
	v_lshlrev_b64 v[6:7], v6, v[22:23]
	v_lshlrev_b32_e32 v7, 24, v22
	v_lshlrev_b32_e32 v6, 20, v6
	v_and_b32_e32 v6, 0x700000, v6
	v_and_b32_e32 v7, 0x80000000, v7
	v_lshl_add_u32 v2, v2, 23, v5
	v_or3_b32 v2, v7, v2, v6
.LBB6_6817:                             ;   in Loop: Header=BB6_5404 Depth=2
	s_or_b64 exec, exec, s[94:95]
.LBB6_6818:                             ;   in Loop: Header=BB6_5404 Depth=2
	s_or_b64 exec, exec, s[92:93]
.LBB6_6819:                             ;   in Loop: Header=BB6_5404 Depth=2
	s_or_b64 exec, exec, s[90:91]
	s_waitcnt vmcnt(1)
	v_cmp_ne_u16_sdwa s[92:93], v18, v3 src0_sel:BYTE_0 src1_sel:DWORD
	s_and_saveexec_b64 s[90:91], s[92:93]
	s_cbranch_execz .LBB6_6825
; %bb.6820:                             ;   in Loop: Header=BB6_5404 Depth=2
	v_cmp_ne_u16_sdwa s[94:95], v18, s49 src0_sel:BYTE_0 src1_sel:DWORD
	v_bfrev_b32_e32 v4, 1
	s_and_saveexec_b64 s[92:93], s[94:95]
	s_cbranch_execz .LBB6_6824
; %bb.6821:                             ;   in Loop: Header=BB6_5404 Depth=2
	v_and_b32_e32 v6, 0x7f, v18
	v_cmp_ne_u32_e32 vcc, s51, v6
	v_mov_b32_e32 v4, 0x7f800001
	s_and_saveexec_b64 s[94:95], vcc
	s_cbranch_execz .LBB6_6823
; %bb.6822:                             ;   in Loop: Header=BB6_5404 Depth=2
	v_and_b32_e32 v4, 7, v18
	v_ffbh_u32_e32 v4, v4
	v_min_u32_e32 v4, 32, v4
	v_lshrrev_b32_e32 v7, 3, v6
	v_cmp_gt_u32_e32 vcc, 8, v6
	v_subrev_u32_e32 v6, 28, v4
	v_sub_u32_e32 v4, 29, v4
	v_cndmask_b32_e32 v6, 0, v6, vcc
	v_cndmask_b32_e32 v4, v7, v4, vcc
	v_lshlrev_b64 v[6:7], v6, v[18:19]
	v_lshlrev_b32_e32 v7, 24, v18
	v_lshlrev_b32_e32 v6, 20, v6
	v_and_b32_e32 v6, 0x700000, v6
	v_and_b32_e32 v7, 0x80000000, v7
	v_lshl_add_u32 v4, v4, 23, v5
	v_or3_b32 v4, v7, v4, v6
.LBB6_6823:                             ;   in Loop: Header=BB6_5404 Depth=2
	s_or_b64 exec, exec, s[94:95]
.LBB6_6824:                             ;   in Loop: Header=BB6_5404 Depth=2
	s_or_b64 exec, exec, s[92:93]
.LBB6_6825:                             ;   in Loop: Header=BB6_5404 Depth=2
	s_or_b64 exec, exec, s[90:91]
	v_max_f32_e32 v4, v4, v4
	v_max_f32_e32 v2, v2, v2
	;; [unrolled: 1-line block ×3, first 2 shown]
	s_mov_b64 s[90:91], 0
.LBB6_6826:                             ;   in Loop: Header=BB6_5404 Depth=2
	s_and_b64 vcc, exec, s[90:91]
	s_cbranch_vccz .LBB6_6840
; %bb.6827:                             ;   in Loop: Header=BB6_5404 Depth=2
	v_mov_b32_e32 v4, 0
	v_mov_b32_e32 v2, 0
	s_and_saveexec_b64 s[90:91], s[20:21]
	s_cbranch_execz .LBB6_6833
; %bb.6828:                             ;   in Loop: Header=BB6_5404 Depth=2
	v_cmp_ne_u16_sdwa s[92:93], v22, s49 src0_sel:BYTE_0 src1_sel:DWORD
	v_bfrev_b32_e32 v2, 1
	s_and_saveexec_b64 s[20:21], s[92:93]
	s_cbranch_execz .LBB6_6832
; %bb.6829:                             ;   in Loop: Header=BB6_5404 Depth=2
	v_and_b32_e32 v6, 0x7f, v22
	v_cmp_ne_u32_e32 vcc, s51, v6
	v_mov_b32_e32 v2, 0x7f800001
	s_and_saveexec_b64 s[92:93], vcc
	s_cbranch_execz .LBB6_6831
; %bb.6830:                             ;   in Loop: Header=BB6_5404 Depth=2
	v_and_b32_e32 v2, 7, v22
	v_ffbh_u32_e32 v2, v2
	v_min_u32_e32 v2, 32, v2
	v_lshrrev_b32_e32 v7, 3, v6
	v_cmp_gt_u32_e32 vcc, 8, v6
	v_subrev_u32_e32 v6, 28, v2
	v_sub_u32_e32 v2, 29, v2
	v_cndmask_b32_e32 v6, 0, v6, vcc
	v_cndmask_b32_e32 v2, v7, v2, vcc
	v_lshlrev_b64 v[6:7], v6, v[22:23]
	v_lshlrev_b32_e32 v7, 24, v22
	v_lshlrev_b32_e32 v6, 20, v6
	v_and_b32_e32 v6, 0x700000, v6
	v_and_b32_e32 v7, 0x80000000, v7
	v_lshl_add_u32 v2, v2, 23, v5
	v_or3_b32 v2, v7, v2, v6
.LBB6_6831:                             ;   in Loop: Header=BB6_5404 Depth=2
	s_or_b64 exec, exec, s[92:93]
.LBB6_6832:                             ;   in Loop: Header=BB6_5404 Depth=2
	s_or_b64 exec, exec, s[20:21]
.LBB6_6833:                             ;   in Loop: Header=BB6_5404 Depth=2
	s_or_b64 exec, exec, s[90:91]
	s_waitcnt vmcnt(1)
	v_cmp_ne_u16_sdwa s[90:91], v18, v3 src0_sel:BYTE_0 src1_sel:DWORD
	s_and_saveexec_b64 s[20:21], s[90:91]
	s_cbranch_execz .LBB6_6839
; %bb.6834:                             ;   in Loop: Header=BB6_5404 Depth=2
	v_cmp_ne_u16_sdwa s[92:93], v18, s49 src0_sel:BYTE_0 src1_sel:DWORD
	v_bfrev_b32_e32 v4, 1
	s_and_saveexec_b64 s[90:91], s[92:93]
	s_cbranch_execz .LBB6_6838
; %bb.6835:                             ;   in Loop: Header=BB6_5404 Depth=2
	v_and_b32_e32 v6, 0x7f, v18
	v_cmp_ne_u32_e32 vcc, s51, v6
	v_mov_b32_e32 v4, 0x7f800001
	s_and_saveexec_b64 s[92:93], vcc
	s_cbranch_execz .LBB6_6837
; %bb.6836:                             ;   in Loop: Header=BB6_5404 Depth=2
	v_and_b32_e32 v4, 7, v18
	v_ffbh_u32_e32 v4, v4
	v_min_u32_e32 v4, 32, v4
	v_lshrrev_b32_e32 v7, 3, v6
	v_cmp_gt_u32_e32 vcc, 8, v6
	v_subrev_u32_e32 v6, 28, v4
	v_sub_u32_e32 v4, 29, v4
	v_cndmask_b32_e32 v6, 0, v6, vcc
	v_cndmask_b32_e32 v4, v7, v4, vcc
	v_lshlrev_b64 v[6:7], v6, v[18:19]
	v_lshlrev_b32_e32 v7, 24, v18
	v_lshlrev_b32_e32 v6, 20, v6
	v_and_b32_e32 v6, 0x700000, v6
	v_and_b32_e32 v7, 0x80000000, v7
	v_lshl_add_u32 v4, v4, 23, v5
	v_or3_b32 v4, v7, v4, v6
.LBB6_6837:                             ;   in Loop: Header=BB6_5404 Depth=2
	s_or_b64 exec, exec, s[92:93]
.LBB6_6838:                             ;   in Loop: Header=BB6_5404 Depth=2
	s_or_b64 exec, exec, s[90:91]
.LBB6_6839:                             ;   in Loop: Header=BB6_5404 Depth=2
	s_or_b64 exec, exec, s[20:21]
	v_max_f32_e32 v4, v4, v4
	v_max_f32_e32 v2, v2, v2
	v_min_f32_e32 v6, v2, v4
.LBB6_6840:                             ;   in Loop: Header=BB6_5404 Depth=2
	v_and_b32_e32 v2, 0x7f800000, v6
	v_cmp_ne_u64_e32 vcc, s[62:63], v[2:3]
                                        ; implicit-def: $vgpr34
	s_and_saveexec_b64 s[20:21], vcc
	s_xor_b64 s[90:91], exec, s[20:21]
	s_cbranch_execz .LBB6_6854
; %bb.6841:                             ;   in Loop: Header=BB6_5404 Depth=2
	v_and_b32_e32 v2, 0x7fffffff, v6
	v_cmp_gt_u64_e32 vcc, s[72:73], v[2:3]
	v_and_b32_sdwa v4, v6, s49 dst_sel:DWORD dst_unused:UNUSED_PAD src0_sel:BYTE_3 src1_sel:DWORD
                                        ; implicit-def: $vgpr34
	s_and_saveexec_b64 s[20:21], vcc
	s_xor_b64 s[92:93], exec, s[20:21]
	s_cbranch_execz .LBB6_6851
; %bb.6842:                             ;   in Loop: Header=BB6_5404 Depth=2
	v_mov_b32_e32 v34, 0
	v_cmp_ne_u32_e32 vcc, 0, v6
	s_and_saveexec_b64 s[94:95], vcc
	s_cbranch_execz .LBB6_6850
; %bb.6843:                             ;   in Loop: Header=BB6_5404 Depth=2
	v_and_b32_e32 v2, 0x7fffff, v6
	v_bfe_u32 v6, v6, 23, 8
	v_cmp_gt_u32_e64 s[20:21], s53, v6
	v_sub_u32_e32 v7, 0x79, v6
	v_cmp_eq_u32_e32 vcc, 0, v6
	v_cndmask_b32_e64 v7, 0, v7, s[20:21]
	v_mov_b32_e32 v9, 0x78
	v_or_b32_e32 v8, 0x800000, v2
	v_cndmask_b32_e32 v7, v7, v9, vcc
	v_cndmask_b32_e32 v2, v8, v2, vcc
	v_add_u32_e32 v8, 20, v7
	v_lshlrev_b64 v[8:9], v8, -1
	v_add_u32_e32 v26, 19, v7
	v_lshlrev_b64 v[26:27], v26, 1
	v_bfi_b32 v9, v9, 0, 0
	v_bfi_b32 v8, v8, 0, v2
	v_cmp_eq_u64_e64 s[20:21], v[8:9], v[26:27]
	v_lshrrev_b64 v[26:27], v7, v[2:3]
	v_mov_b32_e32 v28, v27
	v_mov_b32_e32 v27, v26
	s_and_saveexec_b64 s[30:31], s[20:21]
; %bb.6844:                             ;   in Loop: Header=BB6_5404 Depth=2
	v_bfe_u32 v2, v26, 20, 1
	v_add_co_u32_e64 v2, s[20:21], v26, v2
	v_add_co_u32_e64 v27, s[20:21], -1, v2
; %bb.6845:                             ;   in Loop: Header=BB6_5404 Depth=2
	s_or_b64 exec, exec, s[30:31]
	v_add_u32_e32 v2, 0xffffff81, v6
	v_cndmask_b32_e32 v2, v2, v59, vcc
	v_lshrrev_b32_e32 v6, 23, v26
	v_add3_u32 v8, v7, v2, v6
	v_add_u32_e32 v7, 6, v8
	v_and_b32_e32 v2, 0xfffff, v27
	v_add_u32_e32 v2, v2, v26
	v_cmp_ne_u32_e32 vcc, 0, v7
                                        ; implicit-def: $vgpr26_vgpr27
                                        ; implicit-def: $vgpr6
	s_and_saveexec_b64 s[20:21], vcc
	s_xor_b64 s[20:21], exec, s[20:21]
; %bb.6846:                             ;   in Loop: Header=BB6_5404 Depth=2
	v_cmp_lt_u64_e32 vcc, s[74:75], v[2:3]
	v_add_u32_e32 v6, 7, v8
	v_cndmask_b32_e32 v6, v7, v6, vcc
	v_cndmask_b32_e64 v7, 0, 1, vcc
	v_lshrrev_b64 v[26:27], v7, v[2:3]
; %bb.6847:                             ;   in Loop: Header=BB6_5404 Depth=2
	s_andn2_saveexec_b64 s[20:21], s[20:21]
; %bb.6848:                             ;   in Loop: Header=BB6_5404 Depth=2
	v_mov_b32_e32 v27, v3
	v_bfe_u32 v6, v2, 23, 1
	v_mov_b32_e32 v26, v2
; %bb.6849:                             ;   in Loop: Header=BB6_5404 Depth=2
	s_or_b64 exec, exec, s[20:21]
	v_lshrrev_b64 v[7:8], 20, v[26:27]
	v_cmp_gt_i32_e32 vcc, 16, v6
	v_cndmask_b32_e32 v8, 0, v8, vcc
	v_cndmask_b32_e32 v7, 7, v7, vcc
	v_min_i32_e32 v2, 15, v6
	v_cmp_eq_u64_e64 s[20:21], 0, v[7:8]
	v_lshlrev_b32_e32 v2, 3, v2
	v_cmp_eq_u32_e32 vcc, 0, v6
	v_and_b32_e32 v2, 0xf8, v2
	v_and_or_b32 v2, v7, 7, v2
	s_and_b64 s[20:21], vcc, s[20:21]
	v_cndmask_b32_e64 v2, v2, 0, s[20:21]
	v_or_b32_e32 v34, v2, v4
.LBB6_6850:                             ;   in Loop: Header=BB6_5404 Depth=2
	s_or_b64 exec, exec, s[94:95]
                                        ; implicit-def: $vgpr4
.LBB6_6851:                             ;   in Loop: Header=BB6_5404 Depth=2
	s_andn2_saveexec_b64 s[20:21], s[92:93]
; %bb.6852:                             ;   in Loop: Header=BB6_5404 Depth=2
	v_or_b32_e32 v34, 0x7e, v4
; %bb.6853:                             ;   in Loop: Header=BB6_5404 Depth=2
	s_or_b64 exec, exec, s[20:21]
                                        ; implicit-def: $vgpr6
.LBB6_6854:                             ;   in Loop: Header=BB6_5404 Depth=2
	s_andn2_saveexec_b64 s[20:21], s[90:91]
; %bb.6855:                             ;   in Loop: Header=BB6_5404 Depth=2
	v_or_b32_sdwa v34, v6, s51 dst_sel:DWORD dst_unused:UNUSED_PAD src0_sel:BYTE_3 src1_sel:DWORD
; %bb.6856:                             ;   in Loop: Header=BB6_5404 Depth=2
	s_or_b64 exec, exec, s[20:21]
	v_lshrrev_b16_e32 v26, 8, v22
	s_waitcnt vmcnt(1)
	v_lshrrev_b16_e32 v2, 8, v18
	v_cmp_ne_u16_e64 s[20:21], 0, v26
	s_and_b64 vcc, exec, s[18:19]
	s_mov_b64 s[90:91], -1
                                        ; implicit-def: $vgpr6
	s_cbranch_vccnz .LBB6_6870
; %bb.6857:                             ;   in Loop: Header=BB6_5404 Depth=2
	v_mov_b32_e32 v6, 0
	v_mov_b32_e32 v4, 0
	s_and_saveexec_b64 s[90:91], s[20:21]
	s_cbranch_execz .LBB6_6863
; %bb.6858:                             ;   in Loop: Header=BB6_5404 Depth=2
	v_cmp_ne_u16_e32 vcc, s49, v26
	v_bfrev_b32_e32 v4, 1
	s_and_saveexec_b64 s[92:93], vcc
	s_cbranch_execz .LBB6_6862
; %bb.6859:                             ;   in Loop: Header=BB6_5404 Depth=2
	v_and_b32_e32 v7, 0x7f, v26
	v_cmp_ne_u32_e32 vcc, s51, v7
	v_mov_b32_e32 v4, 0x7f800001
	s_and_saveexec_b64 s[94:95], vcc
	s_cbranch_execz .LBB6_6861
; %bb.6860:                             ;   in Loop: Header=BB6_5404 Depth=2
	v_and_b32_e32 v4, 7, v26
	v_lshrrev_b32_e32 v9, 3, v7
	v_cmp_gt_u32_e32 vcc, 8, v7
	v_ffbh_u32_e32 v7, v4
	v_min_u32_e32 v27, 32, v7
	v_subrev_u32_e32 v7, 28, v27
	v_lshlrev_b64 v[7:8], v7, v[26:27]
	v_sub_u32_e32 v8, 29, v27
	v_and_b32_e32 v7, 7, v7
	v_cndmask_b32_e32 v8, v9, v8, vcc
	v_cndmask_b32_e32 v4, v4, v7, vcc
	v_lshlrev_b32_e32 v7, 16, v22
	v_lshlrev_b32_e32 v4, 20, v4
	v_and_b32_e32 v7, 0x80000000, v7
	v_lshl_add_u32 v8, v8, 23, v5
	v_or3_b32 v4, v7, v8, v4
.LBB6_6861:                             ;   in Loop: Header=BB6_5404 Depth=2
	s_or_b64 exec, exec, s[94:95]
.LBB6_6862:                             ;   in Loop: Header=BB6_5404 Depth=2
	s_or_b64 exec, exec, s[92:93]
.LBB6_6863:                             ;   in Loop: Header=BB6_5404 Depth=2
	s_or_b64 exec, exec, s[90:91]
	v_cmp_ne_u16_e32 vcc, 0, v2
	s_and_saveexec_b64 s[90:91], vcc
	s_cbranch_execz .LBB6_6869
; %bb.6864:                             ;   in Loop: Header=BB6_5404 Depth=2
	v_cmp_ne_u16_e32 vcc, s49, v2
	v_bfrev_b32_e32 v6, 1
	s_and_saveexec_b64 s[92:93], vcc
	s_cbranch_execz .LBB6_6868
; %bb.6865:                             ;   in Loop: Header=BB6_5404 Depth=2
	v_and_b32_e32 v7, 0x7f, v2
	v_cmp_ne_u32_e32 vcc, s51, v7
	v_mov_b32_e32 v6, 0x7f800001
	s_and_saveexec_b64 s[94:95], vcc
	s_cbranch_execz .LBB6_6867
; %bb.6866:                             ;   in Loop: Header=BB6_5404 Depth=2
	v_and_b32_e32 v8, 7, v2
	v_ffbh_u32_e32 v6, v8
	v_min_u32_e32 v27, 32, v6
	v_subrev_u32_e32 v6, 28, v27
	v_lshrrev_b32_e32 v9, 3, v7
	v_cmp_gt_u32_e32 vcc, 8, v7
	v_lshlrev_b64 v[6:7], v6, v[2:3]
	v_sub_u32_e32 v7, 29, v27
	v_and_b32_e32 v6, 7, v6
	v_cndmask_b32_e32 v7, v9, v7, vcc
	v_cndmask_b32_e32 v6, v8, v6, vcc
	v_lshlrev_b32_e32 v8, 16, v18
	v_lshlrev_b32_e32 v6, 20, v6
	v_and_b32_e32 v8, 0x80000000, v8
	v_lshl_add_u32 v7, v7, 23, v5
	v_or3_b32 v6, v8, v7, v6
.LBB6_6867:                             ;   in Loop: Header=BB6_5404 Depth=2
	s_or_b64 exec, exec, s[94:95]
.LBB6_6868:                             ;   in Loop: Header=BB6_5404 Depth=2
	s_or_b64 exec, exec, s[92:93]
.LBB6_6869:                             ;   in Loop: Header=BB6_5404 Depth=2
	s_or_b64 exec, exec, s[90:91]
	v_max_f32_e32 v6, v6, v6
	v_max_f32_e32 v4, v4, v4
	;; [unrolled: 1-line block ×3, first 2 shown]
	s_mov_b64 s[90:91], 0
.LBB6_6870:                             ;   in Loop: Header=BB6_5404 Depth=2
	s_and_b64 vcc, exec, s[90:91]
	s_cbranch_vccz .LBB6_6884
; %bb.6871:                             ;   in Loop: Header=BB6_5404 Depth=2
	v_mov_b32_e32 v6, 0
	v_mov_b32_e32 v4, 0
	s_and_saveexec_b64 s[90:91], s[20:21]
	s_cbranch_execz .LBB6_6877
; %bb.6872:                             ;   in Loop: Header=BB6_5404 Depth=2
	v_cmp_ne_u16_e32 vcc, s49, v26
	v_bfrev_b32_e32 v4, 1
	s_and_saveexec_b64 s[20:21], vcc
	s_cbranch_execz .LBB6_6876
; %bb.6873:                             ;   in Loop: Header=BB6_5404 Depth=2
	v_and_b32_e32 v7, 0x7f, v26
	v_cmp_ne_u32_e32 vcc, s51, v7
	v_mov_b32_e32 v4, 0x7f800001
	s_and_saveexec_b64 s[92:93], vcc
	s_cbranch_execz .LBB6_6875
; %bb.6874:                             ;   in Loop: Header=BB6_5404 Depth=2
	v_and_b32_e32 v4, 7, v26
	v_lshrrev_b32_e32 v9, 3, v7
	v_cmp_gt_u32_e32 vcc, 8, v7
	v_ffbh_u32_e32 v7, v4
	v_min_u32_e32 v27, 32, v7
	v_subrev_u32_e32 v7, 28, v27
	v_lshlrev_b64 v[7:8], v7, v[26:27]
	v_sub_u32_e32 v8, 29, v27
	v_and_b32_e32 v7, 7, v7
	v_cndmask_b32_e32 v8, v9, v8, vcc
	v_cndmask_b32_e32 v4, v4, v7, vcc
	v_lshlrev_b32_e32 v7, 16, v22
	v_lshlrev_b32_e32 v4, 20, v4
	v_and_b32_e32 v7, 0x80000000, v7
	v_lshl_add_u32 v8, v8, 23, v5
	v_or3_b32 v4, v7, v8, v4
.LBB6_6875:                             ;   in Loop: Header=BB6_5404 Depth=2
	s_or_b64 exec, exec, s[92:93]
.LBB6_6876:                             ;   in Loop: Header=BB6_5404 Depth=2
	s_or_b64 exec, exec, s[20:21]
.LBB6_6877:                             ;   in Loop: Header=BB6_5404 Depth=2
	s_or_b64 exec, exec, s[90:91]
	v_cmp_ne_u16_e32 vcc, 0, v2
	s_and_saveexec_b64 s[20:21], vcc
	s_cbranch_execz .LBB6_6883
; %bb.6878:                             ;   in Loop: Header=BB6_5404 Depth=2
	v_cmp_ne_u16_e32 vcc, s49, v2
	v_bfrev_b32_e32 v6, 1
	s_and_saveexec_b64 s[90:91], vcc
	s_cbranch_execz .LBB6_6882
; %bb.6879:                             ;   in Loop: Header=BB6_5404 Depth=2
	v_and_b32_e32 v7, 0x7f, v2
	v_cmp_ne_u32_e32 vcc, s51, v7
	v_mov_b32_e32 v6, 0x7f800001
	s_and_saveexec_b64 s[92:93], vcc
	s_cbranch_execz .LBB6_6881
; %bb.6880:                             ;   in Loop: Header=BB6_5404 Depth=2
	v_and_b32_e32 v8, 7, v2
	v_ffbh_u32_e32 v6, v8
	v_min_u32_e32 v26, 32, v6
	v_subrev_u32_e32 v6, 28, v26
	v_lshrrev_b32_e32 v9, 3, v7
	v_cmp_gt_u32_e32 vcc, 8, v7
	v_lshlrev_b64 v[6:7], v6, v[2:3]
	v_sub_u32_e32 v2, 29, v26
	v_and_b32_e32 v6, 7, v6
	v_cndmask_b32_e32 v2, v9, v2, vcc
	v_cndmask_b32_e32 v6, v8, v6, vcc
	v_lshlrev_b32_e32 v7, 16, v18
	v_lshlrev_b32_e32 v6, 20, v6
	v_and_b32_e32 v7, 0x80000000, v7
	v_lshl_add_u32 v2, v2, 23, v5
	v_or3_b32 v6, v7, v2, v6
.LBB6_6881:                             ;   in Loop: Header=BB6_5404 Depth=2
	s_or_b64 exec, exec, s[92:93]
.LBB6_6882:                             ;   in Loop: Header=BB6_5404 Depth=2
	s_or_b64 exec, exec, s[90:91]
.LBB6_6883:                             ;   in Loop: Header=BB6_5404 Depth=2
	s_or_b64 exec, exec, s[20:21]
	v_max_f32_e32 v2, v6, v6
	v_max_f32_e32 v4, v4, v4
	v_min_f32_e32 v6, v4, v2
.LBB6_6884:                             ;   in Loop: Header=BB6_5404 Depth=2
	v_and_b32_e32 v2, 0x7f800000, v6
	v_cmp_ne_u64_e32 vcc, s[62:63], v[2:3]
                                        ; implicit-def: $vgpr31
	s_and_saveexec_b64 s[20:21], vcc
	s_xor_b64 s[90:91], exec, s[20:21]
	s_cbranch_execz .LBB6_6898
; %bb.6885:                             ;   in Loop: Header=BB6_5404 Depth=2
	v_and_b32_e32 v2, 0x7fffffff, v6
	v_cmp_gt_u64_e32 vcc, s[72:73], v[2:3]
	v_and_b32_sdwa v4, v6, s49 dst_sel:DWORD dst_unused:UNUSED_PAD src0_sel:BYTE_3 src1_sel:DWORD
                                        ; implicit-def: $vgpr31
	s_and_saveexec_b64 s[20:21], vcc
	s_xor_b64 s[92:93], exec, s[20:21]
	s_cbranch_execz .LBB6_6895
; %bb.6886:                             ;   in Loop: Header=BB6_5404 Depth=2
	v_mov_b32_e32 v31, 0
	v_cmp_ne_u32_e32 vcc, 0, v6
	s_and_saveexec_b64 s[94:95], vcc
	s_cbranch_execz .LBB6_6894
; %bb.6887:                             ;   in Loop: Header=BB6_5404 Depth=2
	v_and_b32_e32 v2, 0x7fffff, v6
	v_bfe_u32 v6, v6, 23, 8
	v_cmp_gt_u32_e64 s[20:21], s53, v6
	v_sub_u32_e32 v7, 0x79, v6
	v_cmp_eq_u32_e32 vcc, 0, v6
	v_cndmask_b32_e64 v7, 0, v7, s[20:21]
	v_mov_b32_e32 v9, 0x78
	v_or_b32_e32 v8, 0x800000, v2
	v_cndmask_b32_e32 v7, v7, v9, vcc
	v_cndmask_b32_e32 v2, v8, v2, vcc
	v_add_u32_e32 v8, 20, v7
	v_lshlrev_b64 v[8:9], v8, -1
	v_add_u32_e32 v26, 19, v7
	v_lshlrev_b64 v[26:27], v26, 1
	v_bfi_b32 v9, v9, 0, 0
	v_bfi_b32 v8, v8, 0, v2
	v_cmp_eq_u64_e64 s[20:21], v[8:9], v[26:27]
	v_lshrrev_b64 v[26:27], v7, v[2:3]
	v_mov_b32_e32 v28, v27
	v_mov_b32_e32 v27, v26
	s_and_saveexec_b64 s[30:31], s[20:21]
; %bb.6888:                             ;   in Loop: Header=BB6_5404 Depth=2
	v_bfe_u32 v2, v26, 20, 1
	v_add_co_u32_e64 v2, s[20:21], v26, v2
	v_add_co_u32_e64 v27, s[20:21], -1, v2
; %bb.6889:                             ;   in Loop: Header=BB6_5404 Depth=2
	s_or_b64 exec, exec, s[30:31]
	v_add_u32_e32 v2, 0xffffff81, v6
	v_cndmask_b32_e32 v2, v2, v59, vcc
	v_lshrrev_b32_e32 v6, 23, v26
	v_add3_u32 v8, v7, v2, v6
	v_add_u32_e32 v7, 6, v8
	v_and_b32_e32 v2, 0xfffff, v27
	v_add_u32_e32 v2, v2, v26
	v_cmp_ne_u32_e32 vcc, 0, v7
                                        ; implicit-def: $vgpr26_vgpr27
                                        ; implicit-def: $vgpr6
	s_and_saveexec_b64 s[20:21], vcc
	s_xor_b64 s[20:21], exec, s[20:21]
; %bb.6890:                             ;   in Loop: Header=BB6_5404 Depth=2
	v_cmp_lt_u64_e32 vcc, s[74:75], v[2:3]
	v_add_u32_e32 v6, 7, v8
	v_cndmask_b32_e32 v6, v7, v6, vcc
	v_cndmask_b32_e64 v7, 0, 1, vcc
	v_lshrrev_b64 v[26:27], v7, v[2:3]
; %bb.6891:                             ;   in Loop: Header=BB6_5404 Depth=2
	s_andn2_saveexec_b64 s[20:21], s[20:21]
; %bb.6892:                             ;   in Loop: Header=BB6_5404 Depth=2
	v_mov_b32_e32 v27, v3
	v_bfe_u32 v6, v2, 23, 1
	v_mov_b32_e32 v26, v2
; %bb.6893:                             ;   in Loop: Header=BB6_5404 Depth=2
	s_or_b64 exec, exec, s[20:21]
	v_lshrrev_b64 v[7:8], 20, v[26:27]
	v_cmp_gt_i32_e32 vcc, 16, v6
	v_cndmask_b32_e32 v8, 0, v8, vcc
	v_cndmask_b32_e32 v7, 7, v7, vcc
	v_min_i32_e32 v2, 15, v6
	v_cmp_eq_u64_e64 s[20:21], 0, v[7:8]
	v_lshlrev_b32_e32 v2, 3, v2
	v_cmp_eq_u32_e32 vcc, 0, v6
	v_and_b32_e32 v2, 0xf8, v2
	v_and_or_b32 v2, v7, 7, v2
	s_and_b64 s[20:21], vcc, s[20:21]
	v_cndmask_b32_e64 v2, v2, 0, s[20:21]
	v_or_b32_e32 v31, v2, v4
.LBB6_6894:                             ;   in Loop: Header=BB6_5404 Depth=2
	s_or_b64 exec, exec, s[94:95]
                                        ; implicit-def: $vgpr4
.LBB6_6895:                             ;   in Loop: Header=BB6_5404 Depth=2
	s_andn2_saveexec_b64 s[20:21], s[92:93]
; %bb.6896:                             ;   in Loop: Header=BB6_5404 Depth=2
	v_or_b32_e32 v31, 0x7e, v4
; %bb.6897:                             ;   in Loop: Header=BB6_5404 Depth=2
	s_or_b64 exec, exec, s[20:21]
                                        ; implicit-def: $vgpr6
.LBB6_6898:                             ;   in Loop: Header=BB6_5404 Depth=2
	s_andn2_saveexec_b64 s[20:21], s[90:91]
; %bb.6899:                             ;   in Loop: Header=BB6_5404 Depth=2
	v_or_b32_sdwa v31, v6, s51 dst_sel:DWORD dst_unused:UNUSED_PAD src0_sel:BYTE_3 src1_sel:DWORD
; %bb.6900:                             ;   in Loop: Header=BB6_5404 Depth=2
	s_or_b64 exec, exec, s[20:21]
	v_lshrrev_b32_e32 v26, 16, v22
	v_lshrrev_b32_e32 v2, 16, v18
	v_cmp_ne_u16_sdwa s[20:21], v26, v3 src0_sel:BYTE_0 src1_sel:DWORD
	s_and_b64 vcc, exec, s[18:19]
	s_mov_b64 s[90:91], -1
                                        ; implicit-def: $vgpr6
	s_cbranch_vccnz .LBB6_6914
; %bb.6901:                             ;   in Loop: Header=BB6_5404 Depth=2
	v_mov_b32_e32 v6, 0
	v_mov_b32_e32 v4, 0
	s_and_saveexec_b64 s[90:91], s[20:21]
	s_cbranch_execz .LBB6_6907
; %bb.6902:                             ;   in Loop: Header=BB6_5404 Depth=2
	v_cmp_ne_u16_sdwa s[94:95], v26, s49 src0_sel:BYTE_0 src1_sel:DWORD
	v_bfrev_b32_e32 v4, 1
	s_and_saveexec_b64 s[92:93], s[94:95]
	s_cbranch_execz .LBB6_6906
; %bb.6903:                             ;   in Loop: Header=BB6_5404 Depth=2
	v_bfe_u32 v7, v22, 16, 7
	v_cmp_ne_u32_e32 vcc, s51, v7
	v_mov_b32_e32 v4, 0x7f800001
	s_and_saveexec_b64 s[94:95], vcc
	s_cbranch_execz .LBB6_6905
; %bb.6904:                             ;   in Loop: Header=BB6_5404 Depth=2
	v_and_b32_e32 v4, 7, v26
	v_lshrrev_b32_e32 v9, 3, v7
	v_cmp_gt_u32_e32 vcc, 8, v7
	v_ffbh_u32_e32 v7, v4
	v_min_u32_e32 v27, 32, v7
	v_subrev_u32_e32 v7, 28, v27
	v_lshlrev_b64 v[7:8], v7, v[26:27]
	v_sub_u32_e32 v8, 29, v27
	v_and_b32_e32 v7, 7, v7
	v_cndmask_b32_e32 v8, v9, v8, vcc
	v_cndmask_b32_e32 v4, v4, v7, vcc
	v_lshlrev_b32_e32 v7, 24, v26
	v_lshlrev_b32_e32 v4, 20, v4
	v_and_b32_e32 v7, 0x80000000, v7
	v_lshl_add_u32 v8, v8, 23, v5
	v_or3_b32 v4, v7, v8, v4
.LBB6_6905:                             ;   in Loop: Header=BB6_5404 Depth=2
	s_or_b64 exec, exec, s[94:95]
.LBB6_6906:                             ;   in Loop: Header=BB6_5404 Depth=2
	s_or_b64 exec, exec, s[92:93]
.LBB6_6907:                             ;   in Loop: Header=BB6_5404 Depth=2
	s_or_b64 exec, exec, s[90:91]
	v_cmp_ne_u16_sdwa s[92:93], v2, v3 src0_sel:BYTE_0 src1_sel:DWORD
	s_and_saveexec_b64 s[90:91], s[92:93]
	s_cbranch_execz .LBB6_6913
; %bb.6908:                             ;   in Loop: Header=BB6_5404 Depth=2
	v_cmp_ne_u16_sdwa s[94:95], v2, s49 src0_sel:BYTE_0 src1_sel:DWORD
	v_bfrev_b32_e32 v6, 1
	s_and_saveexec_b64 s[92:93], s[94:95]
	s_cbranch_execz .LBB6_6912
; %bb.6909:                             ;   in Loop: Header=BB6_5404 Depth=2
	v_bfe_u32 v7, v18, 16, 7
	v_cmp_ne_u32_e32 vcc, s51, v7
	v_mov_b32_e32 v6, 0x7f800001
	s_and_saveexec_b64 s[94:95], vcc
	s_cbranch_execz .LBB6_6911
; %bb.6910:                             ;   in Loop: Header=BB6_5404 Depth=2
	v_and_b32_e32 v8, 7, v2
	v_ffbh_u32_e32 v6, v8
	v_min_u32_e32 v27, 32, v6
	v_subrev_u32_e32 v6, 28, v27
	v_lshrrev_b32_e32 v9, 3, v7
	v_cmp_gt_u32_e32 vcc, 8, v7
	v_lshlrev_b64 v[6:7], v6, v[2:3]
	v_sub_u32_e32 v7, 29, v27
	v_and_b32_e32 v6, 7, v6
	v_cndmask_b32_e32 v7, v9, v7, vcc
	v_cndmask_b32_e32 v6, v8, v6, vcc
	v_lshlrev_b32_e32 v8, 24, v2
	v_lshlrev_b32_e32 v6, 20, v6
	v_and_b32_e32 v8, 0x80000000, v8
	v_lshl_add_u32 v7, v7, 23, v5
	v_or3_b32 v6, v8, v7, v6
.LBB6_6911:                             ;   in Loop: Header=BB6_5404 Depth=2
	s_or_b64 exec, exec, s[94:95]
.LBB6_6912:                             ;   in Loop: Header=BB6_5404 Depth=2
	s_or_b64 exec, exec, s[92:93]
.LBB6_6913:                             ;   in Loop: Header=BB6_5404 Depth=2
	s_or_b64 exec, exec, s[90:91]
	v_max_f32_e32 v6, v6, v6
	v_max_f32_e32 v4, v4, v4
	;; [unrolled: 1-line block ×3, first 2 shown]
	s_mov_b64 s[90:91], 0
.LBB6_6914:                             ;   in Loop: Header=BB6_5404 Depth=2
	s_and_b64 vcc, exec, s[90:91]
	s_cbranch_vccz .LBB6_6928
; %bb.6915:                             ;   in Loop: Header=BB6_5404 Depth=2
	v_mov_b32_e32 v6, 0
	v_mov_b32_e32 v4, 0
	s_and_saveexec_b64 s[90:91], s[20:21]
	s_cbranch_execz .LBB6_6921
; %bb.6916:                             ;   in Loop: Header=BB6_5404 Depth=2
	v_cmp_ne_u16_sdwa s[92:93], v26, s49 src0_sel:BYTE_0 src1_sel:DWORD
	v_bfrev_b32_e32 v4, 1
	s_and_saveexec_b64 s[20:21], s[92:93]
	s_cbranch_execz .LBB6_6920
; %bb.6917:                             ;   in Loop: Header=BB6_5404 Depth=2
	v_bfe_u32 v7, v22, 16, 7
	v_cmp_ne_u32_e32 vcc, s51, v7
	v_mov_b32_e32 v4, 0x7f800001
	s_and_saveexec_b64 s[92:93], vcc
	s_cbranch_execz .LBB6_6919
; %bb.6918:                             ;   in Loop: Header=BB6_5404 Depth=2
	v_and_b32_e32 v4, 7, v26
	v_lshrrev_b32_e32 v9, 3, v7
	v_cmp_gt_u32_e32 vcc, 8, v7
	v_ffbh_u32_e32 v7, v4
	v_min_u32_e32 v27, 32, v7
	v_subrev_u32_e32 v7, 28, v27
	v_lshlrev_b64 v[7:8], v7, v[26:27]
	v_sub_u32_e32 v8, 29, v27
	v_and_b32_e32 v7, 7, v7
	v_cndmask_b32_e32 v8, v9, v8, vcc
	v_cndmask_b32_e32 v4, v4, v7, vcc
	v_lshlrev_b32_e32 v7, 24, v26
	v_lshlrev_b32_e32 v4, 20, v4
	v_and_b32_e32 v7, 0x80000000, v7
	v_lshl_add_u32 v8, v8, 23, v5
	v_or3_b32 v4, v7, v8, v4
.LBB6_6919:                             ;   in Loop: Header=BB6_5404 Depth=2
	s_or_b64 exec, exec, s[92:93]
.LBB6_6920:                             ;   in Loop: Header=BB6_5404 Depth=2
	s_or_b64 exec, exec, s[20:21]
.LBB6_6921:                             ;   in Loop: Header=BB6_5404 Depth=2
	s_or_b64 exec, exec, s[90:91]
	v_cmp_ne_u16_sdwa s[90:91], v2, v3 src0_sel:BYTE_0 src1_sel:DWORD
	s_and_saveexec_b64 s[20:21], s[90:91]
	s_cbranch_execz .LBB6_6927
; %bb.6922:                             ;   in Loop: Header=BB6_5404 Depth=2
	v_cmp_ne_u16_sdwa s[92:93], v2, s49 src0_sel:BYTE_0 src1_sel:DWORD
	v_bfrev_b32_e32 v6, 1
	s_and_saveexec_b64 s[90:91], s[92:93]
	s_cbranch_execz .LBB6_6926
; %bb.6923:                             ;   in Loop: Header=BB6_5404 Depth=2
	v_bfe_u32 v7, v18, 16, 7
	v_cmp_ne_u32_e32 vcc, s51, v7
	v_mov_b32_e32 v6, 0x7f800001
	s_and_saveexec_b64 s[92:93], vcc
	s_cbranch_execz .LBB6_6925
; %bb.6924:                             ;   in Loop: Header=BB6_5404 Depth=2
	v_and_b32_e32 v8, 7, v2
	v_ffbh_u32_e32 v6, v8
	v_min_u32_e32 v26, 32, v6
	v_subrev_u32_e32 v6, 28, v26
	v_lshrrev_b32_e32 v9, 3, v7
	v_cmp_gt_u32_e32 vcc, 8, v7
	v_lshlrev_b64 v[6:7], v6, v[2:3]
	v_sub_u32_e32 v7, 29, v26
	v_and_b32_e32 v6, 7, v6
	v_cndmask_b32_e32 v7, v9, v7, vcc
	v_cndmask_b32_e32 v6, v8, v6, vcc
	v_lshlrev_b32_e32 v2, 24, v2
	v_lshlrev_b32_e32 v6, 20, v6
	v_and_b32_e32 v2, 0x80000000, v2
	v_lshl_add_u32 v7, v7, 23, v5
	v_or3_b32 v6, v2, v7, v6
.LBB6_6925:                             ;   in Loop: Header=BB6_5404 Depth=2
	s_or_b64 exec, exec, s[92:93]
.LBB6_6926:                             ;   in Loop: Header=BB6_5404 Depth=2
	s_or_b64 exec, exec, s[90:91]
.LBB6_6927:                             ;   in Loop: Header=BB6_5404 Depth=2
	s_or_b64 exec, exec, s[20:21]
	v_max_f32_e32 v2, v6, v6
	v_max_f32_e32 v4, v4, v4
	v_min_f32_e32 v6, v4, v2
.LBB6_6928:                             ;   in Loop: Header=BB6_5404 Depth=2
	v_and_b32_e32 v2, 0x7f800000, v6
	v_cmp_ne_u64_e32 vcc, s[62:63], v[2:3]
	buffer_store_dword v50, off, s[0:3], s33 offset:156 ; 4-byte Folded Spill
                                        ; implicit-def: $vgpr35
	s_and_saveexec_b64 s[20:21], vcc
	s_xor_b64 s[90:91], exec, s[20:21]
	s_cbranch_execz .LBB6_6942
; %bb.6929:                             ;   in Loop: Header=BB6_5404 Depth=2
	v_and_b32_e32 v2, 0x7fffffff, v6
	v_cmp_gt_u64_e32 vcc, s[72:73], v[2:3]
	v_and_b32_sdwa v4, v6, s49 dst_sel:DWORD dst_unused:UNUSED_PAD src0_sel:BYTE_3 src1_sel:DWORD
                                        ; implicit-def: $vgpr35
	s_and_saveexec_b64 s[20:21], vcc
	s_xor_b64 s[92:93], exec, s[20:21]
	s_cbranch_execz .LBB6_6939
; %bb.6930:                             ;   in Loop: Header=BB6_5404 Depth=2
	v_mov_b32_e32 v35, 0
	v_cmp_ne_u32_e32 vcc, 0, v6
	s_and_saveexec_b64 s[94:95], vcc
	s_cbranch_execz .LBB6_6938
; %bb.6931:                             ;   in Loop: Header=BB6_5404 Depth=2
	v_and_b32_e32 v2, 0x7fffff, v6
	v_bfe_u32 v6, v6, 23, 8
	v_cmp_gt_u32_e64 s[20:21], s53, v6
	v_sub_u32_e32 v7, 0x79, v6
	v_cmp_eq_u32_e32 vcc, 0, v6
	v_cndmask_b32_e64 v7, 0, v7, s[20:21]
	v_mov_b32_e32 v9, 0x78
	v_or_b32_e32 v8, 0x800000, v2
	v_cndmask_b32_e32 v7, v7, v9, vcc
	v_cndmask_b32_e32 v2, v8, v2, vcc
	v_add_u32_e32 v8, 20, v7
	v_lshlrev_b64 v[8:9], v8, -1
	v_add_u32_e32 v26, 19, v7
	v_lshlrev_b64 v[26:27], v26, 1
	v_bfi_b32 v9, v9, 0, 0
	v_bfi_b32 v8, v8, 0, v2
	v_cmp_eq_u64_e64 s[20:21], v[8:9], v[26:27]
	v_lshrrev_b64 v[26:27], v7, v[2:3]
	v_mov_b32_e32 v28, v27
	v_mov_b32_e32 v27, v26
	s_and_saveexec_b64 s[30:31], s[20:21]
; %bb.6932:                             ;   in Loop: Header=BB6_5404 Depth=2
	v_bfe_u32 v2, v26, 20, 1
	v_add_co_u32_e64 v2, s[20:21], v26, v2
	v_add_co_u32_e64 v27, s[20:21], -1, v2
; %bb.6933:                             ;   in Loop: Header=BB6_5404 Depth=2
	s_or_b64 exec, exec, s[30:31]
	v_add_u32_e32 v2, 0xffffff81, v6
	v_cndmask_b32_e32 v2, v2, v59, vcc
	v_lshrrev_b32_e32 v6, 23, v26
	v_add3_u32 v8, v7, v2, v6
	v_add_u32_e32 v7, 6, v8
	v_and_b32_e32 v2, 0xfffff, v27
	v_add_u32_e32 v2, v2, v26
	v_cmp_ne_u32_e32 vcc, 0, v7
                                        ; implicit-def: $vgpr26_vgpr27
                                        ; implicit-def: $vgpr6
	s_and_saveexec_b64 s[20:21], vcc
	s_xor_b64 s[20:21], exec, s[20:21]
; %bb.6934:                             ;   in Loop: Header=BB6_5404 Depth=2
	v_cmp_lt_u64_e32 vcc, s[74:75], v[2:3]
	v_add_u32_e32 v6, 7, v8
	v_cndmask_b32_e32 v6, v7, v6, vcc
	v_cndmask_b32_e64 v7, 0, 1, vcc
	v_lshrrev_b64 v[26:27], v7, v[2:3]
; %bb.6935:                             ;   in Loop: Header=BB6_5404 Depth=2
	s_andn2_saveexec_b64 s[20:21], s[20:21]
; %bb.6936:                             ;   in Loop: Header=BB6_5404 Depth=2
	v_mov_b32_e32 v27, v3
	v_bfe_u32 v6, v2, 23, 1
	v_mov_b32_e32 v26, v2
; %bb.6937:                             ;   in Loop: Header=BB6_5404 Depth=2
	s_or_b64 exec, exec, s[20:21]
	v_lshrrev_b64 v[7:8], 20, v[26:27]
	v_cmp_gt_i32_e32 vcc, 16, v6
	v_cndmask_b32_e32 v8, 0, v8, vcc
	v_cndmask_b32_e32 v7, 7, v7, vcc
	v_min_i32_e32 v2, 15, v6
	v_cmp_eq_u64_e64 s[20:21], 0, v[7:8]
	v_lshlrev_b32_e32 v2, 3, v2
	v_cmp_eq_u32_e32 vcc, 0, v6
	v_and_b32_e32 v2, 0xf8, v2
	v_and_or_b32 v2, v7, 7, v2
	s_and_b64 s[20:21], vcc, s[20:21]
	v_cndmask_b32_e64 v2, v2, 0, s[20:21]
	v_or_b32_e32 v35, v2, v4
.LBB6_6938:                             ;   in Loop: Header=BB6_5404 Depth=2
	s_or_b64 exec, exec, s[94:95]
                                        ; implicit-def: $vgpr4
.LBB6_6939:                             ;   in Loop: Header=BB6_5404 Depth=2
	s_andn2_saveexec_b64 s[20:21], s[92:93]
; %bb.6940:                             ;   in Loop: Header=BB6_5404 Depth=2
	v_or_b32_e32 v35, 0x7e, v4
; %bb.6941:                             ;   in Loop: Header=BB6_5404 Depth=2
	s_or_b64 exec, exec, s[20:21]
                                        ; implicit-def: $vgpr6
.LBB6_6942:                             ;   in Loop: Header=BB6_5404 Depth=2
	s_andn2_saveexec_b64 s[20:21], s[90:91]
; %bb.6943:                             ;   in Loop: Header=BB6_5404 Depth=2
	v_or_b32_sdwa v35, v6, s51 dst_sel:DWORD dst_unused:UNUSED_PAD src0_sel:BYTE_3 src1_sel:DWORD
; %bb.6944:                             ;   in Loop: Header=BB6_5404 Depth=2
	s_or_b64 exec, exec, s[20:21]
	v_lshrrev_b32_e32 v26, 24, v22
	v_lshrrev_b32_e32 v2, 24, v18
	v_cmp_lt_u32_e64 s[20:21], s77, v22
	s_and_b64 vcc, exec, s[18:19]
	s_mov_b64 s[90:91], -1
                                        ; implicit-def: $vgpr6
	s_cbranch_vccnz .LBB6_6958
; %bb.6945:                             ;   in Loop: Header=BB6_5404 Depth=2
	v_mov_b32_e32 v6, 0
	v_mov_b32_e32 v4, 0
	s_and_saveexec_b64 s[90:91], s[20:21]
	s_cbranch_execz .LBB6_6951
; %bb.6946:                             ;   in Loop: Header=BB6_5404 Depth=2
	v_cmp_ne_u32_e32 vcc, s49, v26
	v_bfrev_b32_e32 v4, 1
	s_and_saveexec_b64 s[92:93], vcc
	s_cbranch_execz .LBB6_6950
; %bb.6947:                             ;   in Loop: Header=BB6_5404 Depth=2
	v_bfe_u32 v7, v22, 24, 7
	v_cmp_ne_u32_e32 vcc, s51, v7
	v_mov_b32_e32 v4, 0x7f800001
	s_and_saveexec_b64 s[94:95], vcc
	s_cbranch_execz .LBB6_6949
; %bb.6948:                             ;   in Loop: Header=BB6_5404 Depth=2
	v_and_b32_e32 v4, 7, v26
	v_lshrrev_b32_e32 v9, 3, v7
	v_cmp_gt_u32_e32 vcc, 8, v7
	v_ffbh_u32_e32 v7, v4
	v_min_u32_e32 v27, 32, v7
	v_subrev_u32_e32 v7, 28, v27
	v_lshlrev_b64 v[7:8], v7, v[26:27]
	v_sub_u32_e32 v8, 29, v27
	v_and_b32_e32 v7, 7, v7
	v_cndmask_b32_e32 v8, v9, v8, vcc
	v_cndmask_b32_e32 v4, v4, v7, vcc
	v_lshlrev_b32_e32 v7, 24, v26
	v_lshlrev_b32_e32 v4, 20, v4
	v_and_b32_e32 v7, 0x80000000, v7
	v_lshl_add_u32 v8, v8, 23, v5
	v_or3_b32 v4, v7, v8, v4
.LBB6_6949:                             ;   in Loop: Header=BB6_5404 Depth=2
	s_or_b64 exec, exec, s[94:95]
.LBB6_6950:                             ;   in Loop: Header=BB6_5404 Depth=2
	s_or_b64 exec, exec, s[92:93]
.LBB6_6951:                             ;   in Loop: Header=BB6_5404 Depth=2
	s_or_b64 exec, exec, s[90:91]
	v_cmp_lt_u32_e32 vcc, s77, v18
	s_and_saveexec_b64 s[90:91], vcc
	s_cbranch_execz .LBB6_6957
; %bb.6952:                             ;   in Loop: Header=BB6_5404 Depth=2
	v_cmp_ne_u32_e32 vcc, s49, v2
	v_bfrev_b32_e32 v6, 1
	s_and_saveexec_b64 s[92:93], vcc
	s_cbranch_execz .LBB6_6956
; %bb.6953:                             ;   in Loop: Header=BB6_5404 Depth=2
	v_bfe_u32 v7, v18, 24, 7
	v_cmp_ne_u32_e32 vcc, s51, v7
	v_mov_b32_e32 v6, 0x7f800001
	s_and_saveexec_b64 s[94:95], vcc
	s_cbranch_execz .LBB6_6955
; %bb.6954:                             ;   in Loop: Header=BB6_5404 Depth=2
	v_and_b32_e32 v8, 7, v2
	v_ffbh_u32_e32 v6, v8
	v_min_u32_e32 v27, 32, v6
	v_subrev_u32_e32 v6, 28, v27
	v_lshrrev_b32_e32 v9, 3, v7
	v_cmp_gt_u32_e32 vcc, 8, v7
	v_lshlrev_b64 v[6:7], v6, v[2:3]
	v_sub_u32_e32 v7, 29, v27
	v_and_b32_e32 v6, 7, v6
	v_cndmask_b32_e32 v7, v9, v7, vcc
	v_cndmask_b32_e32 v6, v8, v6, vcc
	v_lshlrev_b32_e32 v8, 24, v2
	v_lshlrev_b32_e32 v6, 20, v6
	v_and_b32_e32 v8, 0x80000000, v8
	v_lshl_add_u32 v7, v7, 23, v5
	v_or3_b32 v6, v8, v7, v6
.LBB6_6955:                             ;   in Loop: Header=BB6_5404 Depth=2
	s_or_b64 exec, exec, s[94:95]
.LBB6_6956:                             ;   in Loop: Header=BB6_5404 Depth=2
	s_or_b64 exec, exec, s[92:93]
.LBB6_6957:                             ;   in Loop: Header=BB6_5404 Depth=2
	s_or_b64 exec, exec, s[90:91]
	v_max_f32_e32 v6, v6, v6
	v_max_f32_e32 v4, v4, v4
	;; [unrolled: 1-line block ×3, first 2 shown]
	s_mov_b64 s[90:91], 0
.LBB6_6958:                             ;   in Loop: Header=BB6_5404 Depth=2
	s_and_b64 vcc, exec, s[90:91]
	s_cbranch_vccz .LBB6_6972
; %bb.6959:                             ;   in Loop: Header=BB6_5404 Depth=2
	v_mov_b32_e32 v6, 0
	v_mov_b32_e32 v4, 0
	s_and_saveexec_b64 s[90:91], s[20:21]
	s_cbranch_execz .LBB6_6965
; %bb.6960:                             ;   in Loop: Header=BB6_5404 Depth=2
	v_cmp_ne_u32_e32 vcc, s49, v26
	v_bfrev_b32_e32 v4, 1
	s_and_saveexec_b64 s[20:21], vcc
	s_cbranch_execz .LBB6_6964
; %bb.6961:                             ;   in Loop: Header=BB6_5404 Depth=2
	v_bfe_u32 v7, v22, 24, 7
	v_cmp_ne_u32_e32 vcc, s51, v7
	v_mov_b32_e32 v4, 0x7f800001
	s_and_saveexec_b64 s[92:93], vcc
	s_cbranch_execz .LBB6_6963
; %bb.6962:                             ;   in Loop: Header=BB6_5404 Depth=2
	v_and_b32_e32 v4, 7, v26
	v_lshrrev_b32_e32 v9, 3, v7
	v_cmp_gt_u32_e32 vcc, 8, v7
	v_ffbh_u32_e32 v7, v4
	v_min_u32_e32 v27, 32, v7
	v_subrev_u32_e32 v7, 28, v27
	v_lshlrev_b64 v[7:8], v7, v[26:27]
	v_sub_u32_e32 v8, 29, v27
	v_and_b32_e32 v7, 7, v7
	v_cndmask_b32_e32 v8, v9, v8, vcc
	v_cndmask_b32_e32 v4, v4, v7, vcc
	v_lshlrev_b32_e32 v7, 24, v26
	v_lshlrev_b32_e32 v4, 20, v4
	v_and_b32_e32 v7, 0x80000000, v7
	v_lshl_add_u32 v8, v8, 23, v5
	v_or3_b32 v4, v7, v8, v4
.LBB6_6963:                             ;   in Loop: Header=BB6_5404 Depth=2
	s_or_b64 exec, exec, s[92:93]
.LBB6_6964:                             ;   in Loop: Header=BB6_5404 Depth=2
	s_or_b64 exec, exec, s[20:21]
.LBB6_6965:                             ;   in Loop: Header=BB6_5404 Depth=2
	s_or_b64 exec, exec, s[90:91]
	v_cmp_lt_u32_e32 vcc, s77, v18
	s_and_saveexec_b64 s[20:21], vcc
	s_cbranch_execz .LBB6_6971
; %bb.6966:                             ;   in Loop: Header=BB6_5404 Depth=2
	v_cmp_ne_u32_e32 vcc, s49, v2
	v_bfrev_b32_e32 v6, 1
	s_and_saveexec_b64 s[90:91], vcc
	s_cbranch_execz .LBB6_6970
; %bb.6967:                             ;   in Loop: Header=BB6_5404 Depth=2
	v_bfe_u32 v7, v18, 24, 7
	v_cmp_ne_u32_e32 vcc, s51, v7
	v_mov_b32_e32 v6, 0x7f800001
	s_and_saveexec_b64 s[92:93], vcc
	s_cbranch_execz .LBB6_6969
; %bb.6968:                             ;   in Loop: Header=BB6_5404 Depth=2
	v_and_b32_e32 v8, 7, v2
	v_ffbh_u32_e32 v6, v8
	v_min_u32_e32 v26, 32, v6
	v_subrev_u32_e32 v6, 28, v26
	v_lshrrev_b32_e32 v9, 3, v7
	v_cmp_gt_u32_e32 vcc, 8, v7
	v_lshlrev_b64 v[6:7], v6, v[2:3]
	v_sub_u32_e32 v7, 29, v26
	v_and_b32_e32 v6, 7, v6
	v_cndmask_b32_e32 v7, v9, v7, vcc
	v_cndmask_b32_e32 v6, v8, v6, vcc
	v_lshlrev_b32_e32 v2, 24, v2
	v_lshlrev_b32_e32 v6, 20, v6
	v_and_b32_e32 v2, 0x80000000, v2
	v_lshl_add_u32 v7, v7, 23, v5
	v_or3_b32 v6, v2, v7, v6
.LBB6_6969:                             ;   in Loop: Header=BB6_5404 Depth=2
	s_or_b64 exec, exec, s[92:93]
.LBB6_6970:                             ;   in Loop: Header=BB6_5404 Depth=2
	s_or_b64 exec, exec, s[90:91]
.LBB6_6971:                             ;   in Loop: Header=BB6_5404 Depth=2
	s_or_b64 exec, exec, s[20:21]
	v_max_f32_e32 v2, v6, v6
	v_max_f32_e32 v4, v4, v4
	v_min_f32_e32 v6, v4, v2
.LBB6_6972:                             ;   in Loop: Header=BB6_5404 Depth=2
	v_and_b32_e32 v2, 0x7f800000, v6
	v_cmp_ne_u64_e32 vcc, s[62:63], v[2:3]
	buffer_store_dword v51, off, s[0:3], s33 offset:160 ; 4-byte Folded Spill
                                        ; implicit-def: $vgpr38
	s_and_saveexec_b64 s[20:21], vcc
	s_xor_b64 s[90:91], exec, s[20:21]
	s_cbranch_execz .LBB6_6986
; %bb.6973:                             ;   in Loop: Header=BB6_5404 Depth=2
	v_and_b32_e32 v2, 0x7fffffff, v6
	v_cmp_gt_u64_e32 vcc, s[72:73], v[2:3]
	v_and_b32_sdwa v4, v6, s49 dst_sel:DWORD dst_unused:UNUSED_PAD src0_sel:BYTE_3 src1_sel:DWORD
                                        ; implicit-def: $vgpr38
	s_and_saveexec_b64 s[20:21], vcc
	s_xor_b64 s[92:93], exec, s[20:21]
	s_cbranch_execz .LBB6_6983
; %bb.6974:                             ;   in Loop: Header=BB6_5404 Depth=2
	v_mov_b32_e32 v38, 0
	v_cmp_ne_u32_e32 vcc, 0, v6
	s_and_saveexec_b64 s[94:95], vcc
	s_cbranch_execz .LBB6_6982
; %bb.6975:                             ;   in Loop: Header=BB6_5404 Depth=2
	v_and_b32_e32 v2, 0x7fffff, v6
	v_bfe_u32 v6, v6, 23, 8
	v_cmp_gt_u32_e64 s[20:21], s53, v6
	v_sub_u32_e32 v7, 0x79, v6
	v_cmp_eq_u32_e32 vcc, 0, v6
	v_cndmask_b32_e64 v7, 0, v7, s[20:21]
	v_mov_b32_e32 v9, 0x78
	v_or_b32_e32 v8, 0x800000, v2
	v_cndmask_b32_e32 v7, v7, v9, vcc
	v_cndmask_b32_e32 v2, v8, v2, vcc
	v_add_u32_e32 v8, 20, v7
	v_lshlrev_b64 v[8:9], v8, -1
	v_add_u32_e32 v26, 19, v7
	v_lshlrev_b64 v[26:27], v26, 1
	v_bfi_b32 v9, v9, 0, 0
	v_bfi_b32 v8, v8, 0, v2
	v_cmp_eq_u64_e64 s[20:21], v[8:9], v[26:27]
	v_lshrrev_b64 v[26:27], v7, v[2:3]
	v_mov_b32_e32 v28, v27
	v_mov_b32_e32 v27, v26
	s_and_saveexec_b64 s[30:31], s[20:21]
; %bb.6976:                             ;   in Loop: Header=BB6_5404 Depth=2
	v_bfe_u32 v2, v26, 20, 1
	v_add_co_u32_e64 v2, s[20:21], v26, v2
	v_add_co_u32_e64 v27, s[20:21], -1, v2
; %bb.6977:                             ;   in Loop: Header=BB6_5404 Depth=2
	s_or_b64 exec, exec, s[30:31]
	v_add_u32_e32 v2, 0xffffff81, v6
	v_cndmask_b32_e32 v2, v2, v59, vcc
	v_lshrrev_b32_e32 v6, 23, v26
	v_add3_u32 v8, v7, v2, v6
	v_add_u32_e32 v7, 6, v8
	v_and_b32_e32 v2, 0xfffff, v27
	v_add_u32_e32 v2, v2, v26
	v_cmp_ne_u32_e32 vcc, 0, v7
                                        ; implicit-def: $vgpr26_vgpr27
                                        ; implicit-def: $vgpr6
	s_and_saveexec_b64 s[20:21], vcc
	s_xor_b64 s[20:21], exec, s[20:21]
; %bb.6978:                             ;   in Loop: Header=BB6_5404 Depth=2
	v_cmp_lt_u64_e32 vcc, s[74:75], v[2:3]
	v_add_u32_e32 v6, 7, v8
	v_cndmask_b32_e32 v6, v7, v6, vcc
	v_cndmask_b32_e64 v7, 0, 1, vcc
	v_lshrrev_b64 v[26:27], v7, v[2:3]
; %bb.6979:                             ;   in Loop: Header=BB6_5404 Depth=2
	s_andn2_saveexec_b64 s[20:21], s[20:21]
; %bb.6980:                             ;   in Loop: Header=BB6_5404 Depth=2
	v_mov_b32_e32 v27, v3
	v_bfe_u32 v6, v2, 23, 1
	v_mov_b32_e32 v26, v2
; %bb.6981:                             ;   in Loop: Header=BB6_5404 Depth=2
	s_or_b64 exec, exec, s[20:21]
	v_lshrrev_b64 v[7:8], 20, v[26:27]
	v_cmp_gt_i32_e32 vcc, 16, v6
	v_cndmask_b32_e32 v8, 0, v8, vcc
	v_cndmask_b32_e32 v7, 7, v7, vcc
	v_min_i32_e32 v2, 15, v6
	v_cmp_eq_u64_e64 s[20:21], 0, v[7:8]
	v_lshlrev_b32_e32 v2, 3, v2
	v_cmp_eq_u32_e32 vcc, 0, v6
	v_and_b32_e32 v2, 0xf8, v2
	v_and_or_b32 v2, v7, 7, v2
	s_and_b64 s[20:21], vcc, s[20:21]
	v_cndmask_b32_e64 v2, v2, 0, s[20:21]
	v_or_b32_e32 v38, v2, v4
.LBB6_6982:                             ;   in Loop: Header=BB6_5404 Depth=2
	s_or_b64 exec, exec, s[94:95]
                                        ; implicit-def: $vgpr4
.LBB6_6983:                             ;   in Loop: Header=BB6_5404 Depth=2
	s_andn2_saveexec_b64 s[20:21], s[92:93]
; %bb.6984:                             ;   in Loop: Header=BB6_5404 Depth=2
	v_or_b32_e32 v38, 0x7e, v4
; %bb.6985:                             ;   in Loop: Header=BB6_5404 Depth=2
	s_or_b64 exec, exec, s[20:21]
                                        ; implicit-def: $vgpr6
.LBB6_6986:                             ;   in Loop: Header=BB6_5404 Depth=2
	s_andn2_saveexec_b64 s[20:21], s[90:91]
; %bb.6987:                             ;   in Loop: Header=BB6_5404 Depth=2
	v_or_b32_sdwa v38, v6, s51 dst_sel:DWORD dst_unused:UNUSED_PAD src0_sel:BYTE_3 src1_sel:DWORD
; %bb.6988:                             ;   in Loop: Header=BB6_5404 Depth=2
	s_or_b64 exec, exec, s[20:21]
	v_mov_b32_e32 v2, v23
	v_mov_b32_e32 v26, v19
	;; [unrolled: 1-line block ×3, first 2 shown]
	v_cmp_ne_u16_sdwa s[20:21], v23, v3 src0_sel:BYTE_0 src1_sel:DWORD
	s_and_b64 vcc, exec, s[18:19]
	s_mov_b64 s[90:91], -1
                                        ; implicit-def: $vgpr6
	s_cbranch_vccnz .LBB6_7002
; %bb.6989:                             ;   in Loop: Header=BB6_5404 Depth=2
	v_mov_b32_e32 v6, 0
	v_mov_b32_e32 v4, 0
	s_and_saveexec_b64 s[90:91], s[20:21]
	s_cbranch_execz .LBB6_6995
; %bb.6990:                             ;   in Loop: Header=BB6_5404 Depth=2
	v_cmp_ne_u16_sdwa s[94:95], v23, s49 src0_sel:BYTE_0 src1_sel:DWORD
	v_bfrev_b32_e32 v4, 1
	s_and_saveexec_b64 s[92:93], s[94:95]
	s_cbranch_execz .LBB6_6994
; %bb.6991:                             ;   in Loop: Header=BB6_5404 Depth=2
	v_and_b32_e32 v7, 0x7f, v23
	v_cmp_ne_u32_e32 vcc, s51, v7
	v_mov_b32_e32 v4, 0x7f800001
	s_and_saveexec_b64 s[94:95], vcc
	s_cbranch_execz .LBB6_6993
; %bb.6992:                             ;   in Loop: Header=BB6_5404 Depth=2
	v_and_b32_e32 v4, 7, v23
	v_ffbh_u32_e32 v4, v4
	v_min_u32_e32 v4, 32, v4
	v_lshrrev_b32_e32 v8, 3, v7
	v_cmp_gt_u32_e32 vcc, 8, v7
	v_subrev_u32_e32 v7, 28, v4
	v_sub_u32_e32 v4, 29, v4
	v_cndmask_b32_e32 v7, 0, v7, vcc
	v_cndmask_b32_e32 v4, v8, v4, vcc
	v_lshlrev_b64 v[7:8], v7, v[2:3]
	v_lshlrev_b32_e32 v8, 24, v2
	v_lshlrev_b32_e32 v7, 20, v7
	v_and_b32_e32 v7, 0x700000, v7
	v_and_b32_e32 v8, 0x80000000, v8
	v_lshl_add_u32 v4, v4, 23, v5
	v_or3_b32 v4, v8, v4, v7
.LBB6_6993:                             ;   in Loop: Header=BB6_5404 Depth=2
	s_or_b64 exec, exec, s[94:95]
.LBB6_6994:                             ;   in Loop: Header=BB6_5404 Depth=2
	s_or_b64 exec, exec, s[92:93]
.LBB6_6995:                             ;   in Loop: Header=BB6_5404 Depth=2
	s_or_b64 exec, exec, s[90:91]
	v_cmp_ne_u16_sdwa s[92:93], v19, v3 src0_sel:BYTE_0 src1_sel:DWORD
	s_and_saveexec_b64 s[90:91], s[92:93]
	s_cbranch_execz .LBB6_7001
; %bb.6996:                             ;   in Loop: Header=BB6_5404 Depth=2
	v_cmp_ne_u16_sdwa s[94:95], v19, s49 src0_sel:BYTE_0 src1_sel:DWORD
	v_bfrev_b32_e32 v6, 1
	s_and_saveexec_b64 s[92:93], s[94:95]
	s_cbranch_execz .LBB6_7000
; %bb.6997:                             ;   in Loop: Header=BB6_5404 Depth=2
	v_and_b32_e32 v7, 0x7f, v19
	v_cmp_ne_u32_e32 vcc, s51, v7
	v_mov_b32_e32 v6, 0x7f800001
	s_and_saveexec_b64 s[94:95], vcc
	s_cbranch_execz .LBB6_6999
; %bb.6998:                             ;   in Loop: Header=BB6_5404 Depth=2
	v_and_b32_e32 v6, 7, v19
	v_ffbh_u32_e32 v6, v6
	v_min_u32_e32 v6, 32, v6
	v_lshrrev_b32_e32 v8, 3, v7
	v_cmp_gt_u32_e32 vcc, 8, v7
	v_subrev_u32_e32 v7, 28, v6
	v_sub_u32_e32 v6, 29, v6
	v_cndmask_b32_e32 v8, v8, v6, vcc
	v_cndmask_b32_e32 v6, 0, v7, vcc
	v_lshlrev_b64 v[6:7], v6, v[26:27]
	v_lshlrev_b32_e32 v7, 24, v26
	v_lshlrev_b32_e32 v6, 20, v6
	v_and_b32_e32 v6, 0x700000, v6
	v_and_b32_e32 v7, 0x80000000, v7
	v_lshl_add_u32 v8, v8, 23, v5
	v_or3_b32 v6, v7, v8, v6
.LBB6_6999:                             ;   in Loop: Header=BB6_5404 Depth=2
	s_or_b64 exec, exec, s[94:95]
.LBB6_7000:                             ;   in Loop: Header=BB6_5404 Depth=2
	s_or_b64 exec, exec, s[92:93]
.LBB6_7001:                             ;   in Loop: Header=BB6_5404 Depth=2
	s_or_b64 exec, exec, s[90:91]
	v_max_f32_e32 v6, v6, v6
	v_max_f32_e32 v4, v4, v4
	;; [unrolled: 1-line block ×3, first 2 shown]
	s_mov_b64 s[90:91], 0
.LBB6_7002:                             ;   in Loop: Header=BB6_5404 Depth=2
	s_and_b64 vcc, exec, s[90:91]
	s_cbranch_vccz .LBB6_7016
; %bb.7003:                             ;   in Loop: Header=BB6_5404 Depth=2
	v_mov_b32_e32 v6, 0
	v_mov_b32_e32 v4, 0
	s_and_saveexec_b64 s[90:91], s[20:21]
	s_cbranch_execz .LBB6_7009
; %bb.7004:                             ;   in Loop: Header=BB6_5404 Depth=2
	v_cmp_ne_u16_sdwa s[92:93], v23, s49 src0_sel:BYTE_0 src1_sel:DWORD
	v_bfrev_b32_e32 v4, 1
	s_and_saveexec_b64 s[20:21], s[92:93]
	s_cbranch_execz .LBB6_7008
; %bb.7005:                             ;   in Loop: Header=BB6_5404 Depth=2
	v_and_b32_e32 v7, 0x7f, v23
	v_cmp_ne_u32_e32 vcc, s51, v7
	v_mov_b32_e32 v4, 0x7f800001
	s_and_saveexec_b64 s[92:93], vcc
	s_cbranch_execz .LBB6_7007
; %bb.7006:                             ;   in Loop: Header=BB6_5404 Depth=2
	v_and_b32_e32 v4, 7, v23
	v_ffbh_u32_e32 v4, v4
	v_min_u32_e32 v4, 32, v4
	v_lshrrev_b32_e32 v8, 3, v7
	v_cmp_gt_u32_e32 vcc, 8, v7
	v_subrev_u32_e32 v7, 28, v4
	v_sub_u32_e32 v4, 29, v4
	v_cndmask_b32_e32 v7, 0, v7, vcc
	v_cndmask_b32_e32 v4, v8, v4, vcc
	v_lshlrev_b64 v[7:8], v7, v[2:3]
	v_lshlrev_b32_e32 v8, 24, v2
	v_lshlrev_b32_e32 v7, 20, v7
	v_and_b32_e32 v7, 0x700000, v7
	v_and_b32_e32 v8, 0x80000000, v8
	v_lshl_add_u32 v4, v4, 23, v5
	v_or3_b32 v4, v8, v4, v7
.LBB6_7007:                             ;   in Loop: Header=BB6_5404 Depth=2
	s_or_b64 exec, exec, s[92:93]
.LBB6_7008:                             ;   in Loop: Header=BB6_5404 Depth=2
	s_or_b64 exec, exec, s[20:21]
.LBB6_7009:                             ;   in Loop: Header=BB6_5404 Depth=2
	s_or_b64 exec, exec, s[90:91]
	v_cmp_ne_u16_sdwa s[90:91], v19, v3 src0_sel:BYTE_0 src1_sel:DWORD
	s_and_saveexec_b64 s[20:21], s[90:91]
	s_cbranch_execz .LBB6_7015
; %bb.7010:                             ;   in Loop: Header=BB6_5404 Depth=2
	v_cmp_ne_u16_sdwa s[92:93], v19, s49 src0_sel:BYTE_0 src1_sel:DWORD
	v_bfrev_b32_e32 v6, 1
	s_and_saveexec_b64 s[90:91], s[92:93]
	s_cbranch_execz .LBB6_7014
; %bb.7011:                             ;   in Loop: Header=BB6_5404 Depth=2
	v_and_b32_e32 v7, 0x7f, v19
	v_cmp_ne_u32_e32 vcc, s51, v7
	v_mov_b32_e32 v6, 0x7f800001
	s_and_saveexec_b64 s[92:93], vcc
	s_cbranch_execz .LBB6_7013
; %bb.7012:                             ;   in Loop: Header=BB6_5404 Depth=2
	v_and_b32_e32 v6, 7, v19
	v_ffbh_u32_e32 v6, v6
	v_min_u32_e32 v6, 32, v6
	v_lshrrev_b32_e32 v8, 3, v7
	v_cmp_gt_u32_e32 vcc, 8, v7
	v_subrev_u32_e32 v7, 28, v6
	v_sub_u32_e32 v6, 29, v6
	v_cndmask_b32_e32 v8, v8, v6, vcc
	v_cndmask_b32_e32 v6, 0, v7, vcc
	v_lshlrev_b64 v[6:7], v6, v[26:27]
	v_lshlrev_b32_e32 v7, 24, v26
	v_lshlrev_b32_e32 v6, 20, v6
	v_and_b32_e32 v6, 0x700000, v6
	v_and_b32_e32 v7, 0x80000000, v7
	v_lshl_add_u32 v8, v8, 23, v5
	v_or3_b32 v6, v7, v8, v6
.LBB6_7013:                             ;   in Loop: Header=BB6_5404 Depth=2
	s_or_b64 exec, exec, s[92:93]
.LBB6_7014:                             ;   in Loop: Header=BB6_5404 Depth=2
	s_or_b64 exec, exec, s[90:91]
.LBB6_7015:                             ;   in Loop: Header=BB6_5404 Depth=2
	s_or_b64 exec, exec, s[20:21]
	v_max_f32_e32 v6, v6, v6
	v_max_f32_e32 v4, v4, v4
	v_min_f32_e32 v6, v4, v6
.LBB6_7016:                             ;   in Loop: Header=BB6_5404 Depth=2
	v_and_b32_e32 v7, 0x7f800000, v6
	v_mov_b32_e32 v8, v3
	v_cmp_ne_u64_e32 vcc, s[62:63], v[7:8]
	buffer_store_dword v29, off, s[0:3], s33 offset:164 ; 4-byte Folded Spill
                                        ; implicit-def: $vgpr29
	s_and_saveexec_b64 s[20:21], vcc
	s_xor_b64 s[90:91], exec, s[20:21]
	s_cbranch_execz .LBB6_7030
; %bb.7017:                             ;   in Loop: Header=BB6_5404 Depth=2
	v_and_b32_e32 v7, 0x7fffffff, v6
	v_mov_b32_e32 v8, v3
	v_cmp_gt_u64_e32 vcc, s[72:73], v[7:8]
	v_and_b32_sdwa v4, v6, s49 dst_sel:DWORD dst_unused:UNUSED_PAD src0_sel:BYTE_3 src1_sel:DWORD
                                        ; implicit-def: $vgpr29
	s_and_saveexec_b64 s[20:21], vcc
	s_xor_b64 s[92:93], exec, s[20:21]
	s_cbranch_execz .LBB6_7027
; %bb.7018:                             ;   in Loop: Header=BB6_5404 Depth=2
	v_mov_b32_e32 v29, 0
	v_cmp_ne_u32_e32 vcc, 0, v6
	s_and_saveexec_b64 s[94:95], vcc
	s_cbranch_execz .LBB6_7026
; %bb.7019:                             ;   in Loop: Header=BB6_5404 Depth=2
	v_and_b32_e32 v8, 0x7fffff, v6
	v_bfe_u32 v6, v6, 23, 8
	v_cmp_gt_u32_e64 s[20:21], s53, v6
	v_sub_u32_e32 v7, 0x79, v6
	v_cmp_eq_u32_e32 vcc, 0, v6
	v_cndmask_b32_e64 v7, 0, v7, s[20:21]
	v_mov_b32_e32 v27, 0x78
	v_cndmask_b32_e32 v7, v7, v27, vcc
	v_add_u32_e32 v27, 20, v7
	v_or_b32_e32 v9, 0x800000, v8
	v_lshlrev_b64 v[27:28], v27, -1
	v_add_u32_e32 v29, 19, v7
	v_cndmask_b32_e32 v8, v9, v8, vcc
	v_lshlrev_b64 v[54:55], v29, 1
	v_mov_b32_e32 v9, v3
	v_bfi_b32 v28, v28, 0, 0
	v_bfi_b32 v27, v27, 0, v8
	v_cmp_eq_u64_e64 s[20:21], v[27:28], v[54:55]
	v_lshrrev_b64 v[27:28], v7, v[8:9]
	v_mov_b32_e32 v29, v28
	v_mov_b32_e32 v28, v27
	s_and_saveexec_b64 s[30:31], s[20:21]
; %bb.7020:                             ;   in Loop: Header=BB6_5404 Depth=2
	v_bfe_u32 v8, v27, 20, 1
	v_add_co_u32_e64 v8, s[20:21], v27, v8
	v_add_co_u32_e64 v28, s[20:21], -1, v8
; %bb.7021:                             ;   in Loop: Header=BB6_5404 Depth=2
	s_or_b64 exec, exec, s[30:31]
	v_add_u32_e32 v6, 0xffffff81, v6
	v_cndmask_b32_e32 v6, v6, v59, vcc
	v_lshrrev_b32_e32 v8, 23, v27
	v_add3_u32 v8, v7, v6, v8
	v_add_u32_e32 v7, 6, v8
	v_and_b32_e32 v6, 0xfffff, v28
	v_add_u32_e32 v27, v6, v27
	v_mov_b32_e32 v28, v3
	v_cmp_ne_u32_e32 vcc, 0, v7
                                        ; implicit-def: $vgpr6
	s_and_saveexec_b64 s[20:21], vcc
	s_xor_b64 s[20:21], exec, s[20:21]
; %bb.7022:                             ;   in Loop: Header=BB6_5404 Depth=2
	v_cmp_lt_u64_e32 vcc, s[74:75], v[27:28]
	v_add_u32_e32 v6, 7, v8
	v_cndmask_b32_e32 v6, v7, v6, vcc
	v_cndmask_b32_e64 v7, 0, 1, vcc
	v_lshrrev_b64 v[27:28], v7, v[27:28]
; %bb.7023:                             ;   in Loop: Header=BB6_5404 Depth=2
	s_andn2_saveexec_b64 s[20:21], s[20:21]
; %bb.7024:                             ;   in Loop: Header=BB6_5404 Depth=2
	v_bfe_u32 v6, v27, 23, 1
; %bb.7025:                             ;   in Loop: Header=BB6_5404 Depth=2
	s_or_b64 exec, exec, s[20:21]
	v_lshrrev_b64 v[7:8], 20, v[27:28]
	v_cmp_gt_i32_e32 vcc, 16, v6
	v_cndmask_b32_e32 v8, 0, v8, vcc
	v_cndmask_b32_e32 v7, 7, v7, vcc
	v_cmp_eq_u32_e32 vcc, 0, v6
	v_min_i32_e32 v6, 15, v6
	v_cmp_eq_u64_e64 s[20:21], 0, v[7:8]
	v_lshlrev_b32_e32 v6, 3, v6
	v_and_b32_e32 v6, 0xf8, v6
	v_and_or_b32 v6, v7, 7, v6
	s_and_b64 s[20:21], vcc, s[20:21]
	v_cndmask_b32_e64 v6, v6, 0, s[20:21]
	v_or_b32_e32 v29, v6, v4
.LBB6_7026:                             ;   in Loop: Header=BB6_5404 Depth=2
	s_or_b64 exec, exec, s[94:95]
                                        ; implicit-def: $vgpr4
.LBB6_7027:                             ;   in Loop: Header=BB6_5404 Depth=2
	s_andn2_saveexec_b64 s[20:21], s[92:93]
; %bb.7028:                             ;   in Loop: Header=BB6_5404 Depth=2
	v_or_b32_e32 v29, 0x7e, v4
; %bb.7029:                             ;   in Loop: Header=BB6_5404 Depth=2
	s_or_b64 exec, exec, s[20:21]
                                        ; implicit-def: $vgpr6
.LBB6_7030:                             ;   in Loop: Header=BB6_5404 Depth=2
	s_andn2_saveexec_b64 s[20:21], s[90:91]
; %bb.7031:                             ;   in Loop: Header=BB6_5404 Depth=2
	v_or_b32_sdwa v29, v6, s51 dst_sel:DWORD dst_unused:UNUSED_PAD src0_sel:BYTE_3 src1_sel:DWORD
; %bb.7032:                             ;   in Loop: Header=BB6_5404 Depth=2
	s_or_b64 exec, exec, s[20:21]
	v_lshrrev_b16_e32 v28, 8, v2
	v_lshrrev_b16_e32 v27, 8, v26
	v_cmp_ne_u16_e64 s[20:21], 0, v28
	s_and_b64 vcc, exec, s[18:19]
	s_mov_b64 s[90:91], -1
                                        ; implicit-def: $vgpr6
	s_cbranch_vccnz .LBB6_7046
; %bb.7033:                             ;   in Loop: Header=BB6_5404 Depth=2
	v_mov_b32_e32 v6, 0
	v_mov_b32_e32 v4, 0
	s_and_saveexec_b64 s[90:91], s[20:21]
	s_cbranch_execz .LBB6_7039
; %bb.7034:                             ;   in Loop: Header=BB6_5404 Depth=2
	v_cmp_ne_u16_e32 vcc, s49, v28
	v_bfrev_b32_e32 v4, 1
	s_and_saveexec_b64 s[92:93], vcc
	s_cbranch_execz .LBB6_7038
; %bb.7035:                             ;   in Loop: Header=BB6_5404 Depth=2
	v_and_b32_e32 v7, 0x7f, v28
	v_cmp_ne_u32_e32 vcc, s51, v7
	v_mov_b32_e32 v4, 0x7f800001
	s_and_saveexec_b64 s[94:95], vcc
	s_cbranch_execz .LBB6_7037
; %bb.7036:                             ;   in Loop: Header=BB6_5404 Depth=2
	v_and_b32_e32 v4, 7, v28
	v_lshrrev_b32_e32 v9, 3, v7
	v_cmp_gt_u32_e32 vcc, 8, v7
	v_ffbh_u32_e32 v7, v4
	v_min_u32_e32 v36, 32, v7
	v_subrev_u32_e32 v7, 28, v36
	v_lshlrev_b64 v[7:8], v7, v[28:29]
	v_sub_u32_e32 v8, 29, v36
	v_and_b32_e32 v7, 7, v7
	v_cndmask_b32_e32 v8, v9, v8, vcc
	v_cndmask_b32_e32 v4, v4, v7, vcc
	v_lshlrev_b32_e32 v7, 16, v2
	v_lshlrev_b32_e32 v4, 20, v4
	v_and_b32_e32 v7, 0x80000000, v7
	v_lshl_add_u32 v8, v8, 23, v5
	v_or3_b32 v4, v7, v8, v4
.LBB6_7037:                             ;   in Loop: Header=BB6_5404 Depth=2
	s_or_b64 exec, exec, s[94:95]
.LBB6_7038:                             ;   in Loop: Header=BB6_5404 Depth=2
	s_or_b64 exec, exec, s[92:93]
.LBB6_7039:                             ;   in Loop: Header=BB6_5404 Depth=2
	s_or_b64 exec, exec, s[90:91]
	v_cmp_ne_u16_e32 vcc, 0, v27
	s_and_saveexec_b64 s[90:91], vcc
	s_cbranch_execz .LBB6_7045
; %bb.7040:                             ;   in Loop: Header=BB6_5404 Depth=2
	v_cmp_ne_u16_e32 vcc, s49, v27
	v_bfrev_b32_e32 v6, 1
	s_and_saveexec_b64 s[92:93], vcc
	s_cbranch_execz .LBB6_7044
; %bb.7041:                             ;   in Loop: Header=BB6_5404 Depth=2
	v_and_b32_e32 v7, 0x7f, v27
	v_cmp_ne_u32_e32 vcc, s51, v7
	v_mov_b32_e32 v6, 0x7f800001
	s_and_saveexec_b64 s[94:95], vcc
	s_cbranch_execz .LBB6_7043
; %bb.7042:                             ;   in Loop: Header=BB6_5404 Depth=2
	v_and_b32_e32 v8, 7, v27
	v_ffbh_u32_e32 v6, v8
	v_min_u32_e32 v36, 32, v6
	v_subrev_u32_e32 v6, 28, v36
	v_lshrrev_b32_e32 v9, 3, v7
	v_cmp_gt_u32_e32 vcc, 8, v7
	v_lshlrev_b64 v[6:7], v6, v[27:28]
	v_sub_u32_e32 v7, 29, v36
	v_and_b32_e32 v6, 7, v6
	v_cndmask_b32_e32 v7, v9, v7, vcc
	v_cndmask_b32_e32 v6, v8, v6, vcc
	v_lshlrev_b32_e32 v8, 16, v26
	v_lshlrev_b32_e32 v6, 20, v6
	v_and_b32_e32 v8, 0x80000000, v8
	v_lshl_add_u32 v7, v7, 23, v5
	v_or3_b32 v6, v8, v7, v6
.LBB6_7043:                             ;   in Loop: Header=BB6_5404 Depth=2
	s_or_b64 exec, exec, s[94:95]
.LBB6_7044:                             ;   in Loop: Header=BB6_5404 Depth=2
	s_or_b64 exec, exec, s[92:93]
.LBB6_7045:                             ;   in Loop: Header=BB6_5404 Depth=2
	s_or_b64 exec, exec, s[90:91]
	v_max_f32_e32 v6, v6, v6
	v_max_f32_e32 v4, v4, v4
	;; [unrolled: 1-line block ×3, first 2 shown]
	s_mov_b64 s[90:91], 0
.LBB6_7046:                             ;   in Loop: Header=BB6_5404 Depth=2
	s_and_b64 vcc, exec, s[90:91]
	s_cbranch_vccz .LBB6_7060
; %bb.7047:                             ;   in Loop: Header=BB6_5404 Depth=2
	v_mov_b32_e32 v6, 0
	v_mov_b32_e32 v4, 0
	s_and_saveexec_b64 s[90:91], s[20:21]
	s_cbranch_execz .LBB6_7053
; %bb.7048:                             ;   in Loop: Header=BB6_5404 Depth=2
	v_cmp_ne_u16_e32 vcc, s49, v28
	v_bfrev_b32_e32 v4, 1
	s_and_saveexec_b64 s[20:21], vcc
	s_cbranch_execz .LBB6_7052
; %bb.7049:                             ;   in Loop: Header=BB6_5404 Depth=2
	v_and_b32_e32 v7, 0x7f, v28
	v_cmp_ne_u32_e32 vcc, s51, v7
	v_mov_b32_e32 v4, 0x7f800001
	s_and_saveexec_b64 s[92:93], vcc
	s_cbranch_execz .LBB6_7051
; %bb.7050:                             ;   in Loop: Header=BB6_5404 Depth=2
	v_and_b32_e32 v4, 7, v28
	v_lshrrev_b32_e32 v9, 3, v7
	v_cmp_gt_u32_e32 vcc, 8, v7
	v_ffbh_u32_e32 v7, v4
	v_min_u32_e32 v36, 32, v7
	v_subrev_u32_e32 v7, 28, v36
	v_lshlrev_b64 v[7:8], v7, v[28:29]
	v_sub_u32_e32 v8, 29, v36
	v_and_b32_e32 v7, 7, v7
	v_cndmask_b32_e32 v8, v9, v8, vcc
	v_cndmask_b32_e32 v4, v4, v7, vcc
	v_lshlrev_b32_e32 v2, 16, v2
	v_lshlrev_b32_e32 v4, 20, v4
	v_and_b32_e32 v2, 0x80000000, v2
	v_lshl_add_u32 v7, v8, 23, v5
	v_or3_b32 v4, v2, v7, v4
.LBB6_7051:                             ;   in Loop: Header=BB6_5404 Depth=2
	s_or_b64 exec, exec, s[92:93]
.LBB6_7052:                             ;   in Loop: Header=BB6_5404 Depth=2
	s_or_b64 exec, exec, s[20:21]
.LBB6_7053:                             ;   in Loop: Header=BB6_5404 Depth=2
	s_or_b64 exec, exec, s[90:91]
	v_cmp_ne_u16_e32 vcc, 0, v27
	s_and_saveexec_b64 s[20:21], vcc
	s_cbranch_execz .LBB6_7059
; %bb.7054:                             ;   in Loop: Header=BB6_5404 Depth=2
	v_cmp_ne_u16_e32 vcc, s49, v27
	v_bfrev_b32_e32 v6, 1
	s_and_saveexec_b64 s[90:91], vcc
	s_cbranch_execz .LBB6_7058
; %bb.7055:                             ;   in Loop: Header=BB6_5404 Depth=2
	v_and_b32_e32 v2, 0x7f, v27
	v_cmp_ne_u32_e32 vcc, s51, v2
	v_mov_b32_e32 v6, 0x7f800001
	s_and_saveexec_b64 s[92:93], vcc
	s_cbranch_execz .LBB6_7057
; %bb.7056:                             ;   in Loop: Header=BB6_5404 Depth=2
	v_and_b32_e32 v8, 7, v27
	v_lshrrev_b32_e32 v9, 3, v2
	v_cmp_gt_u32_e32 vcc, 8, v2
	v_ffbh_u32_e32 v2, v8
	v_min_u32_e32 v2, 32, v2
	v_subrev_u32_e32 v6, 28, v2
	v_lshlrev_b64 v[6:7], v6, v[27:28]
	v_sub_u32_e32 v2, 29, v2
	v_and_b32_e32 v6, 7, v6
	v_cndmask_b32_e32 v2, v9, v2, vcc
	v_cndmask_b32_e32 v6, v8, v6, vcc
	v_lshlrev_b32_e32 v7, 16, v26
	v_lshlrev_b32_e32 v6, 20, v6
	v_and_b32_e32 v7, 0x80000000, v7
	v_lshl_add_u32 v2, v2, 23, v5
	v_or3_b32 v6, v7, v2, v6
.LBB6_7057:                             ;   in Loop: Header=BB6_5404 Depth=2
	s_or_b64 exec, exec, s[92:93]
.LBB6_7058:                             ;   in Loop: Header=BB6_5404 Depth=2
	s_or_b64 exec, exec, s[90:91]
.LBB6_7059:                             ;   in Loop: Header=BB6_5404 Depth=2
	s_or_b64 exec, exec, s[20:21]
	v_max_f32_e32 v2, v6, v6
	v_max_f32_e32 v4, v4, v4
	v_min_f32_e32 v6, v4, v2
.LBB6_7060:                             ;   in Loop: Header=BB6_5404 Depth=2
	v_and_b32_e32 v2, 0x7f800000, v6
	v_cmp_ne_u64_e32 vcc, s[62:63], v[2:3]
	buffer_store_dword v33, off, s[0:3], s33 offset:196 ; 4-byte Folded Spill
	buffer_store_dword v48, off, s[0:3], s33 offset:172 ; 4-byte Folded Spill
	;; [unrolled: 1-line block ×4, first 2 shown]
	v_mov_b32_e32 v49, v41
	v_mov_b32_e32 v46, v40
                                        ; implicit-def: $vgpr44
	s_and_saveexec_b64 s[20:21], vcc
	s_xor_b64 s[90:91], exec, s[20:21]
	s_cbranch_execz .LBB6_7074
; %bb.7061:                             ;   in Loop: Header=BB6_5404 Depth=2
	v_and_b32_e32 v2, 0x7fffffff, v6
	v_cmp_gt_u64_e32 vcc, s[72:73], v[2:3]
	v_and_b32_sdwa v4, v6, s49 dst_sel:DWORD dst_unused:UNUSED_PAD src0_sel:BYTE_3 src1_sel:DWORD
                                        ; implicit-def: $vgpr44
	s_and_saveexec_b64 s[20:21], vcc
	s_xor_b64 s[92:93], exec, s[20:21]
	s_cbranch_execz .LBB6_7071
; %bb.7062:                             ;   in Loop: Header=BB6_5404 Depth=2
	v_mov_b32_e32 v44, 0
	v_cmp_ne_u32_e32 vcc, 0, v6
	s_and_saveexec_b64 s[94:95], vcc
	s_cbranch_execz .LBB6_7070
; %bb.7063:                             ;   in Loop: Header=BB6_5404 Depth=2
	v_and_b32_e32 v2, 0x7fffff, v6
	v_bfe_u32 v6, v6, 23, 8
	v_cmp_gt_u32_e64 s[20:21], s53, v6
	v_sub_u32_e32 v7, 0x79, v6
	v_cmp_eq_u32_e32 vcc, 0, v6
	v_cndmask_b32_e64 v7, 0, v7, s[20:21]
	v_mov_b32_e32 v9, 0x78
	v_or_b32_e32 v8, 0x800000, v2
	v_cndmask_b32_e32 v7, v7, v9, vcc
	v_cndmask_b32_e32 v2, v8, v2, vcc
	v_add_u32_e32 v8, 20, v7
	v_lshlrev_b64 v[8:9], v8, -1
	v_add_u32_e32 v26, 19, v7
	v_lshlrev_b64 v[26:27], v26, 1
	v_bfi_b32 v9, v9, 0, 0
	v_bfi_b32 v8, v8, 0, v2
	v_cmp_eq_u64_e64 s[20:21], v[8:9], v[26:27]
	v_lshrrev_b64 v[26:27], v7, v[2:3]
	v_mov_b32_e32 v28, v27
	v_mov_b32_e32 v27, v26
	s_and_saveexec_b64 s[30:31], s[20:21]
; %bb.7064:                             ;   in Loop: Header=BB6_5404 Depth=2
	v_bfe_u32 v2, v26, 20, 1
	v_add_co_u32_e64 v2, s[20:21], v26, v2
	v_add_co_u32_e64 v27, s[20:21], -1, v2
; %bb.7065:                             ;   in Loop: Header=BB6_5404 Depth=2
	s_or_b64 exec, exec, s[30:31]
	v_add_u32_e32 v2, 0xffffff81, v6
	v_cndmask_b32_e32 v2, v2, v59, vcc
	v_lshrrev_b32_e32 v6, 23, v26
	v_add3_u32 v8, v7, v2, v6
	v_add_u32_e32 v7, 6, v8
	v_and_b32_e32 v2, 0xfffff, v27
	v_add_u32_e32 v2, v2, v26
	v_cmp_ne_u32_e32 vcc, 0, v7
                                        ; implicit-def: $vgpr26_vgpr27
                                        ; implicit-def: $vgpr6
	s_and_saveexec_b64 s[20:21], vcc
	s_xor_b64 s[20:21], exec, s[20:21]
; %bb.7066:                             ;   in Loop: Header=BB6_5404 Depth=2
	v_cmp_lt_u64_e32 vcc, s[74:75], v[2:3]
	v_add_u32_e32 v6, 7, v8
	v_cndmask_b32_e32 v6, v7, v6, vcc
	v_cndmask_b32_e64 v7, 0, 1, vcc
	v_lshrrev_b64 v[26:27], v7, v[2:3]
; %bb.7067:                             ;   in Loop: Header=BB6_5404 Depth=2
	s_andn2_saveexec_b64 s[20:21], s[20:21]
; %bb.7068:                             ;   in Loop: Header=BB6_5404 Depth=2
	v_mov_b32_e32 v27, v3
	v_bfe_u32 v6, v2, 23, 1
	v_mov_b32_e32 v26, v2
; %bb.7069:                             ;   in Loop: Header=BB6_5404 Depth=2
	s_or_b64 exec, exec, s[20:21]
	v_lshrrev_b64 v[7:8], 20, v[26:27]
	v_cmp_gt_i32_e32 vcc, 16, v6
	v_cndmask_b32_e32 v8, 0, v8, vcc
	v_cndmask_b32_e32 v7, 7, v7, vcc
	v_min_i32_e32 v2, 15, v6
	v_cmp_eq_u64_e64 s[20:21], 0, v[7:8]
	v_lshlrev_b32_e32 v2, 3, v2
	v_cmp_eq_u32_e32 vcc, 0, v6
	v_and_b32_e32 v2, 0xf8, v2
	v_and_or_b32 v2, v7, 7, v2
	s_and_b64 s[20:21], vcc, s[20:21]
	v_cndmask_b32_e64 v2, v2, 0, s[20:21]
	v_or_b32_e32 v44, v2, v4
.LBB6_7070:                             ;   in Loop: Header=BB6_5404 Depth=2
	s_or_b64 exec, exec, s[94:95]
                                        ; implicit-def: $vgpr4
.LBB6_7071:                             ;   in Loop: Header=BB6_5404 Depth=2
	s_andn2_saveexec_b64 s[20:21], s[92:93]
; %bb.7072:                             ;   in Loop: Header=BB6_5404 Depth=2
	v_or_b32_e32 v44, 0x7e, v4
; %bb.7073:                             ;   in Loop: Header=BB6_5404 Depth=2
	s_or_b64 exec, exec, s[20:21]
                                        ; implicit-def: $vgpr6
.LBB6_7074:                             ;   in Loop: Header=BB6_5404 Depth=2
	s_andn2_saveexec_b64 s[20:21], s[90:91]
; %bb.7075:                             ;   in Loop: Header=BB6_5404 Depth=2
	v_or_b32_sdwa v44, v6, s51 dst_sel:DWORD dst_unused:UNUSED_PAD src0_sel:BYTE_3 src1_sel:DWORD
; %bb.7076:                             ;   in Loop: Header=BB6_5404 Depth=2
	s_or_b64 exec, exec, s[20:21]
	v_lshrrev_b32_e32 v26, 16, v23
	v_lshrrev_b32_e32 v2, 16, v19
	v_cmp_ne_u16_sdwa s[20:21], v26, v3 src0_sel:BYTE_0 src1_sel:DWORD
	s_and_b64 vcc, exec, s[18:19]
	s_mov_b64 s[90:91], -1
                                        ; implicit-def: $vgpr6
	s_cbranch_vccnz .LBB6_7090
; %bb.7077:                             ;   in Loop: Header=BB6_5404 Depth=2
	v_mov_b32_e32 v6, 0
	v_mov_b32_e32 v4, 0
	s_and_saveexec_b64 s[90:91], s[20:21]
	s_cbranch_execz .LBB6_7083
; %bb.7078:                             ;   in Loop: Header=BB6_5404 Depth=2
	v_cmp_ne_u16_sdwa s[94:95], v26, s49 src0_sel:BYTE_0 src1_sel:DWORD
	v_bfrev_b32_e32 v4, 1
	s_and_saveexec_b64 s[92:93], s[94:95]
	s_cbranch_execz .LBB6_7082
; %bb.7079:                             ;   in Loop: Header=BB6_5404 Depth=2
	v_bfe_u32 v7, v23, 16, 7
	v_cmp_ne_u32_e32 vcc, s51, v7
	v_mov_b32_e32 v4, 0x7f800001
	s_and_saveexec_b64 s[94:95], vcc
	s_cbranch_execz .LBB6_7081
; %bb.7080:                             ;   in Loop: Header=BB6_5404 Depth=2
	v_and_b32_e32 v4, 7, v26
	v_lshrrev_b32_e32 v9, 3, v7
	v_cmp_gt_u32_e32 vcc, 8, v7
	v_ffbh_u32_e32 v7, v4
	v_min_u32_e32 v27, 32, v7
	v_subrev_u32_e32 v7, 28, v27
	v_lshlrev_b64 v[7:8], v7, v[26:27]
	v_sub_u32_e32 v8, 29, v27
	v_and_b32_e32 v7, 7, v7
	v_cndmask_b32_e32 v8, v9, v8, vcc
	v_cndmask_b32_e32 v4, v4, v7, vcc
	v_lshlrev_b32_e32 v7, 24, v26
	v_lshlrev_b32_e32 v4, 20, v4
	v_and_b32_e32 v7, 0x80000000, v7
	v_lshl_add_u32 v8, v8, 23, v5
	v_or3_b32 v4, v7, v8, v4
.LBB6_7081:                             ;   in Loop: Header=BB6_5404 Depth=2
	s_or_b64 exec, exec, s[94:95]
.LBB6_7082:                             ;   in Loop: Header=BB6_5404 Depth=2
	s_or_b64 exec, exec, s[92:93]
.LBB6_7083:                             ;   in Loop: Header=BB6_5404 Depth=2
	s_or_b64 exec, exec, s[90:91]
	v_cmp_ne_u16_sdwa s[92:93], v2, v3 src0_sel:BYTE_0 src1_sel:DWORD
	s_and_saveexec_b64 s[90:91], s[92:93]
	s_cbranch_execz .LBB6_7089
; %bb.7084:                             ;   in Loop: Header=BB6_5404 Depth=2
	v_cmp_ne_u16_sdwa s[94:95], v2, s49 src0_sel:BYTE_0 src1_sel:DWORD
	v_bfrev_b32_e32 v6, 1
	s_and_saveexec_b64 s[92:93], s[94:95]
	s_cbranch_execz .LBB6_7088
; %bb.7085:                             ;   in Loop: Header=BB6_5404 Depth=2
	v_bfe_u32 v7, v19, 16, 7
	v_cmp_ne_u32_e32 vcc, s51, v7
	v_mov_b32_e32 v6, 0x7f800001
	s_and_saveexec_b64 s[94:95], vcc
	s_cbranch_execz .LBB6_7087
; %bb.7086:                             ;   in Loop: Header=BB6_5404 Depth=2
	v_and_b32_e32 v8, 7, v2
	v_ffbh_u32_e32 v6, v8
	v_min_u32_e32 v27, 32, v6
	v_subrev_u32_e32 v6, 28, v27
	v_lshrrev_b32_e32 v9, 3, v7
	v_cmp_gt_u32_e32 vcc, 8, v7
	v_lshlrev_b64 v[6:7], v6, v[2:3]
	v_sub_u32_e32 v7, 29, v27
	v_and_b32_e32 v6, 7, v6
	v_cndmask_b32_e32 v7, v9, v7, vcc
	v_cndmask_b32_e32 v6, v8, v6, vcc
	v_lshlrev_b32_e32 v8, 24, v2
	v_lshlrev_b32_e32 v6, 20, v6
	v_and_b32_e32 v8, 0x80000000, v8
	v_lshl_add_u32 v7, v7, 23, v5
	v_or3_b32 v6, v8, v7, v6
.LBB6_7087:                             ;   in Loop: Header=BB6_5404 Depth=2
	s_or_b64 exec, exec, s[94:95]
.LBB6_7088:                             ;   in Loop: Header=BB6_5404 Depth=2
	s_or_b64 exec, exec, s[92:93]
.LBB6_7089:                             ;   in Loop: Header=BB6_5404 Depth=2
	s_or_b64 exec, exec, s[90:91]
	v_max_f32_e32 v6, v6, v6
	v_max_f32_e32 v4, v4, v4
	v_max_f32_e32 v6, v4, v6
	s_mov_b64 s[90:91], 0
.LBB6_7090:                             ;   in Loop: Header=BB6_5404 Depth=2
	s_and_b64 vcc, exec, s[90:91]
	s_cbranch_vccz .LBB6_7104
; %bb.7091:                             ;   in Loop: Header=BB6_5404 Depth=2
	v_mov_b32_e32 v6, 0
	v_mov_b32_e32 v4, 0
	s_and_saveexec_b64 s[90:91], s[20:21]
	s_cbranch_execz .LBB6_7097
; %bb.7092:                             ;   in Loop: Header=BB6_5404 Depth=2
	v_cmp_ne_u16_sdwa s[92:93], v26, s49 src0_sel:BYTE_0 src1_sel:DWORD
	v_bfrev_b32_e32 v4, 1
	s_and_saveexec_b64 s[20:21], s[92:93]
	s_cbranch_execz .LBB6_7096
; %bb.7093:                             ;   in Loop: Header=BB6_5404 Depth=2
	v_bfe_u32 v7, v23, 16, 7
	v_cmp_ne_u32_e32 vcc, s51, v7
	v_mov_b32_e32 v4, 0x7f800001
	s_and_saveexec_b64 s[92:93], vcc
	s_cbranch_execz .LBB6_7095
; %bb.7094:                             ;   in Loop: Header=BB6_5404 Depth=2
	v_and_b32_e32 v4, 7, v26
	v_lshrrev_b32_e32 v9, 3, v7
	v_cmp_gt_u32_e32 vcc, 8, v7
	v_ffbh_u32_e32 v7, v4
	v_min_u32_e32 v27, 32, v7
	v_subrev_u32_e32 v7, 28, v27
	v_lshlrev_b64 v[7:8], v7, v[26:27]
	v_sub_u32_e32 v8, 29, v27
	v_and_b32_e32 v7, 7, v7
	v_cndmask_b32_e32 v8, v9, v8, vcc
	v_cndmask_b32_e32 v4, v4, v7, vcc
	v_lshlrev_b32_e32 v7, 24, v26
	v_lshlrev_b32_e32 v4, 20, v4
	v_and_b32_e32 v7, 0x80000000, v7
	v_lshl_add_u32 v8, v8, 23, v5
	v_or3_b32 v4, v7, v8, v4
.LBB6_7095:                             ;   in Loop: Header=BB6_5404 Depth=2
	s_or_b64 exec, exec, s[92:93]
.LBB6_7096:                             ;   in Loop: Header=BB6_5404 Depth=2
	s_or_b64 exec, exec, s[20:21]
.LBB6_7097:                             ;   in Loop: Header=BB6_5404 Depth=2
	s_or_b64 exec, exec, s[90:91]
	v_cmp_ne_u16_sdwa s[90:91], v2, v3 src0_sel:BYTE_0 src1_sel:DWORD
	s_and_saveexec_b64 s[20:21], s[90:91]
	s_cbranch_execz .LBB6_7103
; %bb.7098:                             ;   in Loop: Header=BB6_5404 Depth=2
	v_cmp_ne_u16_sdwa s[92:93], v2, s49 src0_sel:BYTE_0 src1_sel:DWORD
	v_bfrev_b32_e32 v6, 1
	s_and_saveexec_b64 s[90:91], s[92:93]
	s_cbranch_execz .LBB6_7102
; %bb.7099:                             ;   in Loop: Header=BB6_5404 Depth=2
	v_bfe_u32 v7, v19, 16, 7
	v_cmp_ne_u32_e32 vcc, s51, v7
	v_mov_b32_e32 v6, 0x7f800001
	s_and_saveexec_b64 s[92:93], vcc
	s_cbranch_execz .LBB6_7101
; %bb.7100:                             ;   in Loop: Header=BB6_5404 Depth=2
	v_and_b32_e32 v8, 7, v2
	v_ffbh_u32_e32 v6, v8
	v_min_u32_e32 v26, 32, v6
	v_subrev_u32_e32 v6, 28, v26
	v_lshrrev_b32_e32 v9, 3, v7
	v_cmp_gt_u32_e32 vcc, 8, v7
	v_lshlrev_b64 v[6:7], v6, v[2:3]
	v_sub_u32_e32 v7, 29, v26
	v_and_b32_e32 v6, 7, v6
	v_cndmask_b32_e32 v7, v9, v7, vcc
	v_cndmask_b32_e32 v6, v8, v6, vcc
	v_lshlrev_b32_e32 v2, 24, v2
	v_lshlrev_b32_e32 v6, 20, v6
	v_and_b32_e32 v2, 0x80000000, v2
	v_lshl_add_u32 v7, v7, 23, v5
	v_or3_b32 v6, v2, v7, v6
.LBB6_7101:                             ;   in Loop: Header=BB6_5404 Depth=2
	s_or_b64 exec, exec, s[92:93]
.LBB6_7102:                             ;   in Loop: Header=BB6_5404 Depth=2
	s_or_b64 exec, exec, s[90:91]
.LBB6_7103:                             ;   in Loop: Header=BB6_5404 Depth=2
	s_or_b64 exec, exec, s[20:21]
	v_max_f32_e32 v2, v6, v6
	v_max_f32_e32 v4, v4, v4
	v_min_f32_e32 v6, v4, v2
.LBB6_7104:                             ;   in Loop: Header=BB6_5404 Depth=2
	v_and_b32_e32 v2, 0x7f800000, v6
	v_cmp_ne_u64_e32 vcc, s[62:63], v[2:3]
                                        ; implicit-def: $vgpr28
	s_and_saveexec_b64 s[20:21], vcc
	s_xor_b64 s[90:91], exec, s[20:21]
	s_cbranch_execz .LBB6_7118
; %bb.7105:                             ;   in Loop: Header=BB6_5404 Depth=2
	v_and_b32_e32 v2, 0x7fffffff, v6
	v_cmp_gt_u64_e32 vcc, s[72:73], v[2:3]
	v_and_b32_sdwa v4, v6, s49 dst_sel:DWORD dst_unused:UNUSED_PAD src0_sel:BYTE_3 src1_sel:DWORD
                                        ; implicit-def: $vgpr28
	s_and_saveexec_b64 s[20:21], vcc
	s_xor_b64 s[92:93], exec, s[20:21]
	s_cbranch_execz .LBB6_7115
; %bb.7106:                             ;   in Loop: Header=BB6_5404 Depth=2
	v_mov_b32_e32 v28, 0
	v_cmp_ne_u32_e32 vcc, 0, v6
	s_and_saveexec_b64 s[94:95], vcc
	s_cbranch_execz .LBB6_7114
; %bb.7107:                             ;   in Loop: Header=BB6_5404 Depth=2
	v_and_b32_e32 v2, 0x7fffff, v6
	v_bfe_u32 v6, v6, 23, 8
	v_cmp_gt_u32_e64 s[20:21], s53, v6
	v_sub_u32_e32 v7, 0x79, v6
	v_cmp_eq_u32_e32 vcc, 0, v6
	v_cndmask_b32_e64 v7, 0, v7, s[20:21]
	v_mov_b32_e32 v9, 0x78
	v_or_b32_e32 v8, 0x800000, v2
	v_cndmask_b32_e32 v7, v7, v9, vcc
	v_cndmask_b32_e32 v2, v8, v2, vcc
	v_add_u32_e32 v8, 20, v7
	v_lshlrev_b64 v[8:9], v8, -1
	v_add_u32_e32 v26, 19, v7
	v_lshlrev_b64 v[26:27], v26, 1
	v_bfi_b32 v9, v9, 0, 0
	v_bfi_b32 v8, v8, 0, v2
	v_cmp_eq_u64_e64 s[20:21], v[8:9], v[26:27]
	v_lshrrev_b64 v[26:27], v7, v[2:3]
	v_mov_b32_e32 v28, v27
	v_mov_b32_e32 v27, v26
	s_and_saveexec_b64 s[30:31], s[20:21]
; %bb.7108:                             ;   in Loop: Header=BB6_5404 Depth=2
	v_bfe_u32 v2, v26, 20, 1
	v_add_co_u32_e64 v2, s[20:21], v26, v2
	v_add_co_u32_e64 v27, s[20:21], -1, v2
; %bb.7109:                             ;   in Loop: Header=BB6_5404 Depth=2
	s_or_b64 exec, exec, s[30:31]
	v_add_u32_e32 v2, 0xffffff81, v6
	v_cndmask_b32_e32 v2, v2, v59, vcc
	v_lshrrev_b32_e32 v6, 23, v26
	v_add3_u32 v8, v7, v2, v6
	v_add_u32_e32 v7, 6, v8
	v_and_b32_e32 v2, 0xfffff, v27
	v_add_u32_e32 v2, v2, v26
	v_cmp_ne_u32_e32 vcc, 0, v7
                                        ; implicit-def: $vgpr26_vgpr27
                                        ; implicit-def: $vgpr6
	s_and_saveexec_b64 s[20:21], vcc
	s_xor_b64 s[20:21], exec, s[20:21]
; %bb.7110:                             ;   in Loop: Header=BB6_5404 Depth=2
	v_cmp_lt_u64_e32 vcc, s[74:75], v[2:3]
	v_add_u32_e32 v6, 7, v8
	v_cndmask_b32_e32 v6, v7, v6, vcc
	v_cndmask_b32_e64 v7, 0, 1, vcc
	v_lshrrev_b64 v[26:27], v7, v[2:3]
; %bb.7111:                             ;   in Loop: Header=BB6_5404 Depth=2
	s_andn2_saveexec_b64 s[20:21], s[20:21]
; %bb.7112:                             ;   in Loop: Header=BB6_5404 Depth=2
	v_mov_b32_e32 v27, v3
	v_bfe_u32 v6, v2, 23, 1
	v_mov_b32_e32 v26, v2
; %bb.7113:                             ;   in Loop: Header=BB6_5404 Depth=2
	s_or_b64 exec, exec, s[20:21]
	v_lshrrev_b64 v[7:8], 20, v[26:27]
	v_cmp_gt_i32_e32 vcc, 16, v6
	v_cndmask_b32_e32 v8, 0, v8, vcc
	v_cndmask_b32_e32 v7, 7, v7, vcc
	v_min_i32_e32 v2, 15, v6
	v_cmp_eq_u64_e64 s[20:21], 0, v[7:8]
	v_lshlrev_b32_e32 v2, 3, v2
	v_cmp_eq_u32_e32 vcc, 0, v6
	v_and_b32_e32 v2, 0xf8, v2
	v_and_or_b32 v2, v7, 7, v2
	s_and_b64 s[20:21], vcc, s[20:21]
	v_cndmask_b32_e64 v2, v2, 0, s[20:21]
	v_or_b32_e32 v28, v2, v4
.LBB6_7114:                             ;   in Loop: Header=BB6_5404 Depth=2
	s_or_b64 exec, exec, s[94:95]
                                        ; implicit-def: $vgpr4
.LBB6_7115:                             ;   in Loop: Header=BB6_5404 Depth=2
	s_andn2_saveexec_b64 s[20:21], s[92:93]
; %bb.7116:                             ;   in Loop: Header=BB6_5404 Depth=2
	v_or_b32_e32 v28, 0x7e, v4
; %bb.7117:                             ;   in Loop: Header=BB6_5404 Depth=2
	s_or_b64 exec, exec, s[20:21]
                                        ; implicit-def: $vgpr6
.LBB6_7118:                             ;   in Loop: Header=BB6_5404 Depth=2
	s_andn2_saveexec_b64 s[20:21], s[90:91]
; %bb.7119:                             ;   in Loop: Header=BB6_5404 Depth=2
	v_or_b32_sdwa v28, v6, s51 dst_sel:DWORD dst_unused:UNUSED_PAD src0_sel:BYTE_3 src1_sel:DWORD
; %bb.7120:                             ;   in Loop: Header=BB6_5404 Depth=2
	s_or_b64 exec, exec, s[20:21]
	v_cmp_lt_u64_e64 s[20:21], s[76:77], v[22:23]
	v_lshrrev_b32_e32 v26, 24, v23
	v_lshrrev_b32_e32 v2, 24, v19
	s_and_b64 vcc, exec, s[18:19]
	s_mov_b64 s[90:91], -1
                                        ; implicit-def: $vgpr6
	s_cbranch_vccnz .LBB6_7134
; %bb.7121:                             ;   in Loop: Header=BB6_5404 Depth=2
	v_mov_b32_e32 v6, 0
	v_mov_b32_e32 v4, 0
	s_and_saveexec_b64 s[90:91], s[20:21]
	s_cbranch_execz .LBB6_7127
; %bb.7122:                             ;   in Loop: Header=BB6_5404 Depth=2
	v_cmp_ne_u32_e32 vcc, s49, v26
	v_bfrev_b32_e32 v4, 1
	s_and_saveexec_b64 s[92:93], vcc
	s_cbranch_execz .LBB6_7126
; %bb.7123:                             ;   in Loop: Header=BB6_5404 Depth=2
	v_bfe_u32 v7, v23, 24, 7
	v_cmp_ne_u32_e32 vcc, s51, v7
	v_mov_b32_e32 v4, 0x7f800001
	s_and_saveexec_b64 s[94:95], vcc
	s_cbranch_execz .LBB6_7125
; %bb.7124:                             ;   in Loop: Header=BB6_5404 Depth=2
	v_and_b32_e32 v4, 7, v26
	v_lshrrev_b32_e32 v9, 3, v7
	v_cmp_gt_u32_e32 vcc, 8, v7
	v_ffbh_u32_e32 v7, v4
	v_min_u32_e32 v22, 32, v7
	v_subrev_u32_e32 v7, 28, v22
	v_lshlrev_b64 v[7:8], v7, v[26:27]
	v_sub_u32_e32 v8, 29, v22
	v_and_b32_e32 v7, 7, v7
	v_cndmask_b32_e32 v8, v9, v8, vcc
	v_cndmask_b32_e32 v4, v4, v7, vcc
	v_lshlrev_b32_e32 v7, 24, v26
	v_lshlrev_b32_e32 v4, 20, v4
	v_and_b32_e32 v7, 0x80000000, v7
	v_lshl_add_u32 v8, v8, 23, v5
	v_or3_b32 v4, v7, v8, v4
.LBB6_7125:                             ;   in Loop: Header=BB6_5404 Depth=2
	s_or_b64 exec, exec, s[94:95]
.LBB6_7126:                             ;   in Loop: Header=BB6_5404 Depth=2
	s_or_b64 exec, exec, s[92:93]
.LBB6_7127:                             ;   in Loop: Header=BB6_5404 Depth=2
	s_or_b64 exec, exec, s[90:91]
	v_cmp_lt_u64_e32 vcc, s[76:77], v[18:19]
	s_and_saveexec_b64 s[90:91], vcc
	s_cbranch_execz .LBB6_7133
; %bb.7128:                             ;   in Loop: Header=BB6_5404 Depth=2
	v_cmp_ne_u32_e32 vcc, s49, v2
	v_bfrev_b32_e32 v6, 1
	s_and_saveexec_b64 s[92:93], vcc
	s_cbranch_execz .LBB6_7132
; %bb.7129:                             ;   in Loop: Header=BB6_5404 Depth=2
	v_bfe_u32 v7, v19, 24, 7
	v_cmp_ne_u32_e32 vcc, s51, v7
	v_mov_b32_e32 v6, 0x7f800001
	s_and_saveexec_b64 s[94:95], vcc
	s_cbranch_execz .LBB6_7131
; %bb.7130:                             ;   in Loop: Header=BB6_5404 Depth=2
	v_and_b32_e32 v8, 7, v2
	v_ffbh_u32_e32 v6, v8
	v_min_u32_e32 v22, 32, v6
	v_subrev_u32_e32 v6, 28, v22
	v_lshrrev_b32_e32 v9, 3, v7
	v_cmp_gt_u32_e32 vcc, 8, v7
	v_lshlrev_b64 v[6:7], v6, v[2:3]
	v_sub_u32_e32 v7, 29, v22
	v_and_b32_e32 v6, 7, v6
	v_cndmask_b32_e32 v7, v9, v7, vcc
	v_cndmask_b32_e32 v6, v8, v6, vcc
	v_lshlrev_b32_e32 v8, 24, v2
	v_lshlrev_b32_e32 v6, 20, v6
	v_and_b32_e32 v8, 0x80000000, v8
	v_lshl_add_u32 v7, v7, 23, v5
	v_or3_b32 v6, v8, v7, v6
.LBB6_7131:                             ;   in Loop: Header=BB6_5404 Depth=2
	s_or_b64 exec, exec, s[94:95]
.LBB6_7132:                             ;   in Loop: Header=BB6_5404 Depth=2
	s_or_b64 exec, exec, s[92:93]
.LBB6_7133:                             ;   in Loop: Header=BB6_5404 Depth=2
	s_or_b64 exec, exec, s[90:91]
	v_max_f32_e32 v6, v6, v6
	v_max_f32_e32 v4, v4, v4
	;; [unrolled: 1-line block ×3, first 2 shown]
	s_mov_b64 s[90:91], 0
.LBB6_7134:                             ;   in Loop: Header=BB6_5404 Depth=2
	s_and_b64 vcc, exec, s[90:91]
	s_cbranch_vccz .LBB6_7148
; %bb.7135:                             ;   in Loop: Header=BB6_5404 Depth=2
	v_mov_b32_e32 v6, 0
	v_mov_b32_e32 v4, 0
	s_and_saveexec_b64 s[90:91], s[20:21]
	s_cbranch_execz .LBB6_7141
; %bb.7136:                             ;   in Loop: Header=BB6_5404 Depth=2
	v_cmp_ne_u32_e32 vcc, s49, v26
	v_bfrev_b32_e32 v4, 1
	s_and_saveexec_b64 s[20:21], vcc
	s_cbranch_execz .LBB6_7140
; %bb.7137:                             ;   in Loop: Header=BB6_5404 Depth=2
	v_bfe_u32 v7, v23, 24, 7
	v_cmp_ne_u32_e32 vcc, s51, v7
	v_mov_b32_e32 v4, 0x7f800001
	s_and_saveexec_b64 s[92:93], vcc
	s_cbranch_execz .LBB6_7139
; %bb.7138:                             ;   in Loop: Header=BB6_5404 Depth=2
	v_and_b32_e32 v4, 7, v26
	v_lshrrev_b32_e32 v9, 3, v7
	v_cmp_gt_u32_e32 vcc, 8, v7
	v_ffbh_u32_e32 v7, v4
	v_min_u32_e32 v22, 32, v7
	v_subrev_u32_e32 v7, 28, v22
	v_lshlrev_b64 v[7:8], v7, v[26:27]
	v_sub_u32_e32 v8, 29, v22
	v_and_b32_e32 v7, 7, v7
	v_cndmask_b32_e32 v8, v9, v8, vcc
	v_cndmask_b32_e32 v4, v4, v7, vcc
	v_lshlrev_b32_e32 v7, 24, v26
	v_lshlrev_b32_e32 v4, 20, v4
	v_and_b32_e32 v7, 0x80000000, v7
	v_lshl_add_u32 v8, v8, 23, v5
	v_or3_b32 v4, v7, v8, v4
.LBB6_7139:                             ;   in Loop: Header=BB6_5404 Depth=2
	s_or_b64 exec, exec, s[92:93]
.LBB6_7140:                             ;   in Loop: Header=BB6_5404 Depth=2
	s_or_b64 exec, exec, s[20:21]
.LBB6_7141:                             ;   in Loop: Header=BB6_5404 Depth=2
	s_or_b64 exec, exec, s[90:91]
	v_cmp_lt_u64_e32 vcc, s[76:77], v[18:19]
	s_and_saveexec_b64 s[20:21], vcc
	s_cbranch_execz .LBB6_7147
; %bb.7142:                             ;   in Loop: Header=BB6_5404 Depth=2
	v_cmp_ne_u32_e32 vcc, s49, v2
	v_bfrev_b32_e32 v6, 1
	s_and_saveexec_b64 s[90:91], vcc
	s_cbranch_execz .LBB6_7146
; %bb.7143:                             ;   in Loop: Header=BB6_5404 Depth=2
	v_bfe_u32 v7, v19, 24, 7
	v_cmp_ne_u32_e32 vcc, s51, v7
	v_mov_b32_e32 v6, 0x7f800001
	s_and_saveexec_b64 s[92:93], vcc
	s_cbranch_execz .LBB6_7145
; %bb.7144:                             ;   in Loop: Header=BB6_5404 Depth=2
	v_and_b32_e32 v8, 7, v2
	v_ffbh_u32_e32 v6, v8
	v_min_u32_e32 v18, 32, v6
	v_subrev_u32_e32 v6, 28, v18
	v_lshrrev_b32_e32 v9, 3, v7
	v_cmp_gt_u32_e32 vcc, 8, v7
	v_lshlrev_b64 v[6:7], v6, v[2:3]
	v_sub_u32_e32 v7, 29, v18
	v_and_b32_e32 v6, 7, v6
	v_cndmask_b32_e32 v7, v9, v7, vcc
	v_cndmask_b32_e32 v6, v8, v6, vcc
	v_lshlrev_b32_e32 v2, 24, v2
	v_lshlrev_b32_e32 v6, 20, v6
	v_and_b32_e32 v2, 0x80000000, v2
	v_lshl_add_u32 v7, v7, 23, v5
	v_or3_b32 v6, v2, v7, v6
.LBB6_7145:                             ;   in Loop: Header=BB6_5404 Depth=2
	s_or_b64 exec, exec, s[92:93]
.LBB6_7146:                             ;   in Loop: Header=BB6_5404 Depth=2
	s_or_b64 exec, exec, s[90:91]
.LBB6_7147:                             ;   in Loop: Header=BB6_5404 Depth=2
	s_or_b64 exec, exec, s[20:21]
	v_max_f32_e32 v2, v6, v6
	v_max_f32_e32 v4, v4, v4
	v_min_f32_e32 v6, v4, v2
.LBB6_7148:                             ;   in Loop: Header=BB6_5404 Depth=2
	v_and_b32_e32 v2, 0x7f800000, v6
	v_cmp_ne_u64_e32 vcc, s[62:63], v[2:3]
	v_mov_b32_e32 v33, v30
	v_mov_b32_e32 v30, v45
                                        ; implicit-def: $vgpr45
	s_and_saveexec_b64 s[20:21], vcc
	s_xor_b64 s[90:91], exec, s[20:21]
	s_cbranch_execz .LBB6_7162
; %bb.7149:                             ;   in Loop: Header=BB6_5404 Depth=2
	v_and_b32_e32 v2, 0x7fffffff, v6
	v_cmp_gt_u64_e32 vcc, s[72:73], v[2:3]
	v_and_b32_sdwa v4, v6, s49 dst_sel:DWORD dst_unused:UNUSED_PAD src0_sel:BYTE_3 src1_sel:DWORD
                                        ; implicit-def: $vgpr45
	s_and_saveexec_b64 s[20:21], vcc
	s_xor_b64 s[92:93], exec, s[20:21]
	s_cbranch_execz .LBB6_7159
; %bb.7150:                             ;   in Loop: Header=BB6_5404 Depth=2
	v_mov_b32_e32 v45, 0
	v_cmp_ne_u32_e32 vcc, 0, v6
	s_and_saveexec_b64 s[94:95], vcc
	s_cbranch_execz .LBB6_7158
; %bb.7151:                             ;   in Loop: Header=BB6_5404 Depth=2
	v_and_b32_e32 v2, 0x7fffff, v6
	v_bfe_u32 v6, v6, 23, 8
	v_cmp_gt_u32_e64 s[20:21], s53, v6
	v_sub_u32_e32 v7, 0x79, v6
	v_cmp_eq_u32_e32 vcc, 0, v6
	v_cndmask_b32_e64 v7, 0, v7, s[20:21]
	v_mov_b32_e32 v9, 0x78
	v_or_b32_e32 v8, 0x800000, v2
	v_cndmask_b32_e32 v7, v7, v9, vcc
	v_cndmask_b32_e32 v2, v8, v2, vcc
	v_add_u32_e32 v8, 20, v7
	v_lshlrev_b64 v[8:9], v8, -1
	v_add_u32_e32 v18, 19, v7
	v_lshlrev_b64 v[18:19], v18, 1
	v_bfi_b32 v9, v9, 0, 0
	v_bfi_b32 v8, v8, 0, v2
	v_cmp_eq_u64_e64 s[20:21], v[8:9], v[18:19]
	v_lshrrev_b64 v[18:19], v7, v[2:3]
	v_mov_b32_e32 v23, v19
	v_mov_b32_e32 v22, v18
	s_and_saveexec_b64 s[30:31], s[20:21]
; %bb.7152:                             ;   in Loop: Header=BB6_5404 Depth=2
	v_bfe_u32 v2, v18, 20, 1
	v_add_co_u32_e64 v2, s[20:21], v18, v2
	v_add_co_u32_e64 v22, s[20:21], -1, v2
; %bb.7153:                             ;   in Loop: Header=BB6_5404 Depth=2
	s_or_b64 exec, exec, s[30:31]
	v_add_u32_e32 v2, 0xffffff81, v6
	v_cndmask_b32_e32 v2, v2, v59, vcc
	v_lshrrev_b32_e32 v6, 23, v18
	v_add3_u32 v8, v7, v2, v6
	v_add_u32_e32 v7, 6, v8
	v_and_b32_e32 v2, 0xfffff, v22
	v_add_u32_e32 v2, v2, v18
	v_cmp_ne_u32_e32 vcc, 0, v7
                                        ; implicit-def: $vgpr18_vgpr19
                                        ; implicit-def: $vgpr6
	s_and_saveexec_b64 s[20:21], vcc
	s_xor_b64 s[20:21], exec, s[20:21]
; %bb.7154:                             ;   in Loop: Header=BB6_5404 Depth=2
	v_cmp_lt_u64_e32 vcc, s[74:75], v[2:3]
	v_add_u32_e32 v6, 7, v8
	v_cndmask_b32_e32 v6, v7, v6, vcc
	v_cndmask_b32_e64 v7, 0, 1, vcc
	v_lshrrev_b64 v[18:19], v7, v[2:3]
; %bb.7155:                             ;   in Loop: Header=BB6_5404 Depth=2
	s_andn2_saveexec_b64 s[20:21], s[20:21]
; %bb.7156:                             ;   in Loop: Header=BB6_5404 Depth=2
	v_mov_b32_e32 v19, v3
	v_bfe_u32 v6, v2, 23, 1
	v_mov_b32_e32 v18, v2
; %bb.7157:                             ;   in Loop: Header=BB6_5404 Depth=2
	s_or_b64 exec, exec, s[20:21]
	v_lshrrev_b64 v[7:8], 20, v[18:19]
	v_cmp_gt_i32_e32 vcc, 16, v6
	v_cndmask_b32_e32 v8, 0, v8, vcc
	v_cndmask_b32_e32 v7, 7, v7, vcc
	v_min_i32_e32 v2, 15, v6
	v_cmp_eq_u64_e64 s[20:21], 0, v[7:8]
	v_lshlrev_b32_e32 v2, 3, v2
	v_cmp_eq_u32_e32 vcc, 0, v6
	v_and_b32_e32 v2, 0xf8, v2
	v_and_or_b32 v2, v7, 7, v2
	s_and_b64 s[20:21], vcc, s[20:21]
	v_cndmask_b32_e64 v2, v2, 0, s[20:21]
	v_or_b32_e32 v45, v2, v4
.LBB6_7158:                             ;   in Loop: Header=BB6_5404 Depth=2
	s_or_b64 exec, exec, s[94:95]
                                        ; implicit-def: $vgpr4
.LBB6_7159:                             ;   in Loop: Header=BB6_5404 Depth=2
	s_andn2_saveexec_b64 s[20:21], s[92:93]
; %bb.7160:                             ;   in Loop: Header=BB6_5404 Depth=2
	v_or_b32_e32 v45, 0x7e, v4
; %bb.7161:                             ;   in Loop: Header=BB6_5404 Depth=2
	s_or_b64 exec, exec, s[20:21]
                                        ; implicit-def: $vgpr6
.LBB6_7162:                             ;   in Loop: Header=BB6_5404 Depth=2
	s_andn2_saveexec_b64 s[20:21], s[90:91]
; %bb.7163:                             ;   in Loop: Header=BB6_5404 Depth=2
	v_or_b32_sdwa v45, v6, s51 dst_sel:DWORD dst_unused:UNUSED_PAD src0_sel:BYTE_3 src1_sel:DWORD
; %bb.7164:                             ;   in Loop: Header=BB6_5404 Depth=2
	s_or_b64 exec, exec, s[20:21]
	v_cmp_ne_u16_sdwa s[20:21], v24, v3 src0_sel:BYTE_0 src1_sel:DWORD
	s_and_b64 vcc, exec, s[18:19]
	s_mov_b64 s[90:91], -1
                                        ; implicit-def: $vgpr6
	s_cbranch_vccnz .LBB6_7178
; %bb.7165:                             ;   in Loop: Header=BB6_5404 Depth=2
	v_mov_b32_e32 v4, 0
	v_mov_b32_e32 v2, 0
	s_and_saveexec_b64 s[90:91], s[20:21]
	s_cbranch_execz .LBB6_7171
; %bb.7166:                             ;   in Loop: Header=BB6_5404 Depth=2
	v_cmp_ne_u16_sdwa s[94:95], v24, s49 src0_sel:BYTE_0 src1_sel:DWORD
	v_bfrev_b32_e32 v2, 1
	s_and_saveexec_b64 s[92:93], s[94:95]
	s_cbranch_execz .LBB6_7170
; %bb.7167:                             ;   in Loop: Header=BB6_5404 Depth=2
	v_and_b32_e32 v6, 0x7f, v24
	v_cmp_ne_u32_e32 vcc, s51, v6
	v_mov_b32_e32 v2, 0x7f800001
	s_and_saveexec_b64 s[94:95], vcc
	s_cbranch_execz .LBB6_7169
; %bb.7168:                             ;   in Loop: Header=BB6_5404 Depth=2
	v_and_b32_e32 v2, 7, v24
	v_ffbh_u32_e32 v2, v2
	v_min_u32_e32 v2, 32, v2
	v_lshrrev_b32_e32 v7, 3, v6
	v_cmp_gt_u32_e32 vcc, 8, v6
	v_subrev_u32_e32 v6, 28, v2
	v_sub_u32_e32 v2, 29, v2
	v_cndmask_b32_e32 v6, 0, v6, vcc
	v_cndmask_b32_e32 v2, v7, v2, vcc
	v_lshlrev_b64 v[6:7], v6, v[24:25]
	v_lshlrev_b32_e32 v7, 24, v24
	v_lshlrev_b32_e32 v6, 20, v6
	v_and_b32_e32 v6, 0x700000, v6
	v_and_b32_e32 v7, 0x80000000, v7
	v_lshl_add_u32 v2, v2, 23, v5
	v_or3_b32 v2, v7, v2, v6
.LBB6_7169:                             ;   in Loop: Header=BB6_5404 Depth=2
	s_or_b64 exec, exec, s[94:95]
.LBB6_7170:                             ;   in Loop: Header=BB6_5404 Depth=2
	s_or_b64 exec, exec, s[92:93]
.LBB6_7171:                             ;   in Loop: Header=BB6_5404 Depth=2
	s_or_b64 exec, exec, s[90:91]
	v_cmp_ne_u16_sdwa s[92:93], v20, v3 src0_sel:BYTE_0 src1_sel:DWORD
	s_and_saveexec_b64 s[90:91], s[92:93]
	s_cbranch_execz .LBB6_7177
; %bb.7172:                             ;   in Loop: Header=BB6_5404 Depth=2
	v_cmp_ne_u16_sdwa s[94:95], v20, s49 src0_sel:BYTE_0 src1_sel:DWORD
	v_bfrev_b32_e32 v4, 1
	s_and_saveexec_b64 s[92:93], s[94:95]
	s_cbranch_execz .LBB6_7176
; %bb.7173:                             ;   in Loop: Header=BB6_5404 Depth=2
	v_and_b32_e32 v6, 0x7f, v20
	v_cmp_ne_u32_e32 vcc, s51, v6
	v_mov_b32_e32 v4, 0x7f800001
	s_and_saveexec_b64 s[94:95], vcc
	s_cbranch_execz .LBB6_7175
; %bb.7174:                             ;   in Loop: Header=BB6_5404 Depth=2
	v_and_b32_e32 v4, 7, v20
	v_ffbh_u32_e32 v4, v4
	v_min_u32_e32 v4, 32, v4
	v_lshrrev_b32_e32 v7, 3, v6
	v_cmp_gt_u32_e32 vcc, 8, v6
	v_subrev_u32_e32 v6, 28, v4
	v_sub_u32_e32 v4, 29, v4
	v_cndmask_b32_e32 v6, 0, v6, vcc
	v_cndmask_b32_e32 v4, v7, v4, vcc
	v_lshlrev_b64 v[6:7], v6, v[20:21]
	v_lshlrev_b32_e32 v7, 24, v20
	v_lshlrev_b32_e32 v6, 20, v6
	v_and_b32_e32 v6, 0x700000, v6
	v_and_b32_e32 v7, 0x80000000, v7
	v_lshl_add_u32 v4, v4, 23, v5
	v_or3_b32 v4, v7, v4, v6
.LBB6_7175:                             ;   in Loop: Header=BB6_5404 Depth=2
	s_or_b64 exec, exec, s[94:95]
.LBB6_7176:                             ;   in Loop: Header=BB6_5404 Depth=2
	s_or_b64 exec, exec, s[92:93]
.LBB6_7177:                             ;   in Loop: Header=BB6_5404 Depth=2
	s_or_b64 exec, exec, s[90:91]
	v_max_f32_e32 v4, v4, v4
	v_max_f32_e32 v2, v2, v2
	;; [unrolled: 1-line block ×3, first 2 shown]
	s_mov_b64 s[90:91], 0
.LBB6_7178:                             ;   in Loop: Header=BB6_5404 Depth=2
	s_and_b64 vcc, exec, s[90:91]
	s_cbranch_vccz .LBB6_7192
; %bb.7179:                             ;   in Loop: Header=BB6_5404 Depth=2
	v_mov_b32_e32 v4, 0
	v_mov_b32_e32 v2, 0
	s_and_saveexec_b64 s[90:91], s[20:21]
	s_cbranch_execz .LBB6_7185
; %bb.7180:                             ;   in Loop: Header=BB6_5404 Depth=2
	v_cmp_ne_u16_sdwa s[92:93], v24, s49 src0_sel:BYTE_0 src1_sel:DWORD
	v_bfrev_b32_e32 v2, 1
	s_and_saveexec_b64 s[20:21], s[92:93]
	s_cbranch_execz .LBB6_7184
; %bb.7181:                             ;   in Loop: Header=BB6_5404 Depth=2
	v_and_b32_e32 v6, 0x7f, v24
	v_cmp_ne_u32_e32 vcc, s51, v6
	v_mov_b32_e32 v2, 0x7f800001
	s_and_saveexec_b64 s[92:93], vcc
	s_cbranch_execz .LBB6_7183
; %bb.7182:                             ;   in Loop: Header=BB6_5404 Depth=2
	v_and_b32_e32 v2, 7, v24
	v_ffbh_u32_e32 v2, v2
	v_min_u32_e32 v2, 32, v2
	v_lshrrev_b32_e32 v7, 3, v6
	v_cmp_gt_u32_e32 vcc, 8, v6
	v_subrev_u32_e32 v6, 28, v2
	v_sub_u32_e32 v2, 29, v2
	v_cndmask_b32_e32 v6, 0, v6, vcc
	v_cndmask_b32_e32 v2, v7, v2, vcc
	v_lshlrev_b64 v[6:7], v6, v[24:25]
	v_lshlrev_b32_e32 v7, 24, v24
	v_lshlrev_b32_e32 v6, 20, v6
	v_and_b32_e32 v6, 0x700000, v6
	v_and_b32_e32 v7, 0x80000000, v7
	v_lshl_add_u32 v2, v2, 23, v5
	v_or3_b32 v2, v7, v2, v6
.LBB6_7183:                             ;   in Loop: Header=BB6_5404 Depth=2
	s_or_b64 exec, exec, s[92:93]
.LBB6_7184:                             ;   in Loop: Header=BB6_5404 Depth=2
	s_or_b64 exec, exec, s[20:21]
.LBB6_7185:                             ;   in Loop: Header=BB6_5404 Depth=2
	s_or_b64 exec, exec, s[90:91]
	v_cmp_ne_u16_sdwa s[90:91], v20, v3 src0_sel:BYTE_0 src1_sel:DWORD
	s_and_saveexec_b64 s[20:21], s[90:91]
	s_cbranch_execz .LBB6_7191
; %bb.7186:                             ;   in Loop: Header=BB6_5404 Depth=2
	v_cmp_ne_u16_sdwa s[92:93], v20, s49 src0_sel:BYTE_0 src1_sel:DWORD
	v_bfrev_b32_e32 v4, 1
	s_and_saveexec_b64 s[90:91], s[92:93]
	s_cbranch_execz .LBB6_7190
; %bb.7187:                             ;   in Loop: Header=BB6_5404 Depth=2
	v_and_b32_e32 v6, 0x7f, v20
	v_cmp_ne_u32_e32 vcc, s51, v6
	v_mov_b32_e32 v4, 0x7f800001
	s_and_saveexec_b64 s[92:93], vcc
	s_cbranch_execz .LBB6_7189
; %bb.7188:                             ;   in Loop: Header=BB6_5404 Depth=2
	v_and_b32_e32 v4, 7, v20
	v_ffbh_u32_e32 v4, v4
	v_min_u32_e32 v4, 32, v4
	v_lshrrev_b32_e32 v7, 3, v6
	v_cmp_gt_u32_e32 vcc, 8, v6
	v_subrev_u32_e32 v6, 28, v4
	v_sub_u32_e32 v4, 29, v4
	v_cndmask_b32_e32 v6, 0, v6, vcc
	v_cndmask_b32_e32 v4, v7, v4, vcc
	v_lshlrev_b64 v[6:7], v6, v[20:21]
	v_lshlrev_b32_e32 v7, 24, v20
	v_lshlrev_b32_e32 v6, 20, v6
	v_and_b32_e32 v6, 0x700000, v6
	v_and_b32_e32 v7, 0x80000000, v7
	v_lshl_add_u32 v4, v4, 23, v5
	v_or3_b32 v4, v7, v4, v6
.LBB6_7189:                             ;   in Loop: Header=BB6_5404 Depth=2
	s_or_b64 exec, exec, s[92:93]
.LBB6_7190:                             ;   in Loop: Header=BB6_5404 Depth=2
	s_or_b64 exec, exec, s[90:91]
.LBB6_7191:                             ;   in Loop: Header=BB6_5404 Depth=2
	s_or_b64 exec, exec, s[20:21]
	v_max_f32_e32 v4, v4, v4
	v_max_f32_e32 v2, v2, v2
	v_min_f32_e32 v6, v2, v4
.LBB6_7192:                             ;   in Loop: Header=BB6_5404 Depth=2
	v_and_b32_e32 v2, 0x7f800000, v6
	v_cmp_ne_u64_e32 vcc, s[62:63], v[2:3]
	v_mov_b32_e32 v50, v32
	v_mov_b32_e32 v32, v43
                                        ; implicit-def: $vgpr43
	s_and_saveexec_b64 s[20:21], vcc
	s_xor_b64 s[90:91], exec, s[20:21]
	s_cbranch_execz .LBB6_7206
; %bb.7193:                             ;   in Loop: Header=BB6_5404 Depth=2
	v_and_b32_e32 v2, 0x7fffffff, v6
	v_cmp_gt_u64_e32 vcc, s[72:73], v[2:3]
	v_and_b32_sdwa v4, v6, s49 dst_sel:DWORD dst_unused:UNUSED_PAD src0_sel:BYTE_3 src1_sel:DWORD
                                        ; implicit-def: $vgpr43
	s_and_saveexec_b64 s[20:21], vcc
	s_xor_b64 s[92:93], exec, s[20:21]
	s_cbranch_execz .LBB6_7203
; %bb.7194:                             ;   in Loop: Header=BB6_5404 Depth=2
	v_mov_b32_e32 v43, 0
	v_cmp_ne_u32_e32 vcc, 0, v6
	s_and_saveexec_b64 s[94:95], vcc
	s_cbranch_execz .LBB6_7202
; %bb.7195:                             ;   in Loop: Header=BB6_5404 Depth=2
	v_and_b32_e32 v2, 0x7fffff, v6
	v_bfe_u32 v6, v6, 23, 8
	v_cmp_gt_u32_e64 s[20:21], s53, v6
	v_sub_u32_e32 v7, 0x79, v6
	v_cmp_eq_u32_e32 vcc, 0, v6
	v_cndmask_b32_e64 v7, 0, v7, s[20:21]
	v_mov_b32_e32 v9, 0x78
	v_or_b32_e32 v8, 0x800000, v2
	v_cndmask_b32_e32 v7, v7, v9, vcc
	v_cndmask_b32_e32 v2, v8, v2, vcc
	v_add_u32_e32 v8, 20, v7
	v_lshlrev_b64 v[8:9], v8, -1
	v_add_u32_e32 v18, 19, v7
	v_lshlrev_b64 v[18:19], v18, 1
	v_bfi_b32 v9, v9, 0, 0
	v_bfi_b32 v8, v8, 0, v2
	v_cmp_eq_u64_e64 s[20:21], v[8:9], v[18:19]
	v_lshrrev_b64 v[18:19], v7, v[2:3]
	v_mov_b32_e32 v23, v19
	v_mov_b32_e32 v22, v18
	s_and_saveexec_b64 s[30:31], s[20:21]
; %bb.7196:                             ;   in Loop: Header=BB6_5404 Depth=2
	v_bfe_u32 v2, v18, 20, 1
	v_add_co_u32_e64 v2, s[20:21], v18, v2
	v_add_co_u32_e64 v22, s[20:21], -1, v2
; %bb.7197:                             ;   in Loop: Header=BB6_5404 Depth=2
	s_or_b64 exec, exec, s[30:31]
	v_add_u32_e32 v2, 0xffffff81, v6
	v_cndmask_b32_e32 v2, v2, v59, vcc
	v_lshrrev_b32_e32 v6, 23, v18
	v_add3_u32 v8, v7, v2, v6
	v_add_u32_e32 v7, 6, v8
	v_and_b32_e32 v2, 0xfffff, v22
	v_add_u32_e32 v2, v2, v18
	v_cmp_ne_u32_e32 vcc, 0, v7
                                        ; implicit-def: $vgpr18_vgpr19
                                        ; implicit-def: $vgpr6
	s_and_saveexec_b64 s[20:21], vcc
	s_xor_b64 s[20:21], exec, s[20:21]
; %bb.7198:                             ;   in Loop: Header=BB6_5404 Depth=2
	v_cmp_lt_u64_e32 vcc, s[74:75], v[2:3]
	v_add_u32_e32 v6, 7, v8
	v_cndmask_b32_e32 v6, v7, v6, vcc
	v_cndmask_b32_e64 v7, 0, 1, vcc
	v_lshrrev_b64 v[18:19], v7, v[2:3]
; %bb.7199:                             ;   in Loop: Header=BB6_5404 Depth=2
	s_andn2_saveexec_b64 s[20:21], s[20:21]
; %bb.7200:                             ;   in Loop: Header=BB6_5404 Depth=2
	v_mov_b32_e32 v19, v3
	v_bfe_u32 v6, v2, 23, 1
	v_mov_b32_e32 v18, v2
; %bb.7201:                             ;   in Loop: Header=BB6_5404 Depth=2
	s_or_b64 exec, exec, s[20:21]
	v_lshrrev_b64 v[7:8], 20, v[18:19]
	v_cmp_gt_i32_e32 vcc, 16, v6
	v_cndmask_b32_e32 v8, 0, v8, vcc
	v_cndmask_b32_e32 v7, 7, v7, vcc
	v_min_i32_e32 v2, 15, v6
	v_cmp_eq_u64_e64 s[20:21], 0, v[7:8]
	v_lshlrev_b32_e32 v2, 3, v2
	v_cmp_eq_u32_e32 vcc, 0, v6
	v_and_b32_e32 v2, 0xf8, v2
	v_and_or_b32 v2, v7, 7, v2
	s_and_b64 s[20:21], vcc, s[20:21]
	v_cndmask_b32_e64 v2, v2, 0, s[20:21]
	v_or_b32_e32 v43, v2, v4
.LBB6_7202:                             ;   in Loop: Header=BB6_5404 Depth=2
	s_or_b64 exec, exec, s[94:95]
                                        ; implicit-def: $vgpr4
.LBB6_7203:                             ;   in Loop: Header=BB6_5404 Depth=2
	s_andn2_saveexec_b64 s[20:21], s[92:93]
; %bb.7204:                             ;   in Loop: Header=BB6_5404 Depth=2
	v_or_b32_e32 v43, 0x7e, v4
; %bb.7205:                             ;   in Loop: Header=BB6_5404 Depth=2
	s_or_b64 exec, exec, s[20:21]
                                        ; implicit-def: $vgpr6
.LBB6_7206:                             ;   in Loop: Header=BB6_5404 Depth=2
	s_andn2_saveexec_b64 s[20:21], s[90:91]
; %bb.7207:                             ;   in Loop: Header=BB6_5404 Depth=2
	v_or_b32_sdwa v43, v6, s51 dst_sel:DWORD dst_unused:UNUSED_PAD src0_sel:BYTE_3 src1_sel:DWORD
; %bb.7208:                             ;   in Loop: Header=BB6_5404 Depth=2
	s_or_b64 exec, exec, s[20:21]
	v_lshrrev_b16_e32 v18, 8, v24
	v_lshrrev_b16_e32 v2, 8, v20
	v_cmp_ne_u16_e64 s[20:21], 0, v18
	s_and_b64 vcc, exec, s[18:19]
	s_mov_b64 s[90:91], -1
                                        ; implicit-def: $vgpr6
	s_cbranch_vccnz .LBB6_7222
; %bb.7209:                             ;   in Loop: Header=BB6_5404 Depth=2
	v_mov_b32_e32 v6, 0
	v_mov_b32_e32 v4, 0
	s_and_saveexec_b64 s[90:91], s[20:21]
	s_cbranch_execz .LBB6_7215
; %bb.7210:                             ;   in Loop: Header=BB6_5404 Depth=2
	v_cmp_ne_u16_e32 vcc, s49, v18
	v_bfrev_b32_e32 v4, 1
	s_and_saveexec_b64 s[92:93], vcc
	s_cbranch_execz .LBB6_7214
; %bb.7211:                             ;   in Loop: Header=BB6_5404 Depth=2
	v_and_b32_e32 v7, 0x7f, v18
	v_cmp_ne_u32_e32 vcc, s51, v7
	v_mov_b32_e32 v4, 0x7f800001
	s_and_saveexec_b64 s[94:95], vcc
	s_cbranch_execz .LBB6_7213
; %bb.7212:                             ;   in Loop: Header=BB6_5404 Depth=2
	v_and_b32_e32 v4, 7, v18
	v_lshrrev_b32_e32 v9, 3, v7
	v_cmp_gt_u32_e32 vcc, 8, v7
	v_ffbh_u32_e32 v7, v4
	v_min_u32_e32 v19, 32, v7
	v_subrev_u32_e32 v7, 28, v19
	v_lshlrev_b64 v[7:8], v7, v[18:19]
	v_sub_u32_e32 v8, 29, v19
	v_and_b32_e32 v7, 7, v7
	v_cndmask_b32_e32 v8, v9, v8, vcc
	v_cndmask_b32_e32 v4, v4, v7, vcc
	v_lshlrev_b32_e32 v7, 16, v24
	v_lshlrev_b32_e32 v4, 20, v4
	v_and_b32_e32 v7, 0x80000000, v7
	v_lshl_add_u32 v8, v8, 23, v5
	v_or3_b32 v4, v7, v8, v4
.LBB6_7213:                             ;   in Loop: Header=BB6_5404 Depth=2
	s_or_b64 exec, exec, s[94:95]
.LBB6_7214:                             ;   in Loop: Header=BB6_5404 Depth=2
	s_or_b64 exec, exec, s[92:93]
.LBB6_7215:                             ;   in Loop: Header=BB6_5404 Depth=2
	s_or_b64 exec, exec, s[90:91]
	v_cmp_ne_u16_e32 vcc, 0, v2
	s_and_saveexec_b64 s[90:91], vcc
	s_cbranch_execz .LBB6_7221
; %bb.7216:                             ;   in Loop: Header=BB6_5404 Depth=2
	v_cmp_ne_u16_e32 vcc, s49, v2
	v_bfrev_b32_e32 v6, 1
	s_and_saveexec_b64 s[92:93], vcc
	s_cbranch_execz .LBB6_7220
; %bb.7217:                             ;   in Loop: Header=BB6_5404 Depth=2
	v_and_b32_e32 v7, 0x7f, v2
	v_cmp_ne_u32_e32 vcc, s51, v7
	v_mov_b32_e32 v6, 0x7f800001
	s_and_saveexec_b64 s[94:95], vcc
	s_cbranch_execz .LBB6_7219
; %bb.7218:                             ;   in Loop: Header=BB6_5404 Depth=2
	v_and_b32_e32 v8, 7, v2
	v_ffbh_u32_e32 v6, v8
	v_min_u32_e32 v19, 32, v6
	v_subrev_u32_e32 v6, 28, v19
	v_lshrrev_b32_e32 v9, 3, v7
	v_cmp_gt_u32_e32 vcc, 8, v7
	v_lshlrev_b64 v[6:7], v6, v[2:3]
	v_sub_u32_e32 v7, 29, v19
	v_and_b32_e32 v6, 7, v6
	v_cndmask_b32_e32 v7, v9, v7, vcc
	v_cndmask_b32_e32 v6, v8, v6, vcc
	v_lshlrev_b32_e32 v8, 16, v20
	v_lshlrev_b32_e32 v6, 20, v6
	v_and_b32_e32 v8, 0x80000000, v8
	v_lshl_add_u32 v7, v7, 23, v5
	v_or3_b32 v6, v8, v7, v6
.LBB6_7219:                             ;   in Loop: Header=BB6_5404 Depth=2
	s_or_b64 exec, exec, s[94:95]
.LBB6_7220:                             ;   in Loop: Header=BB6_5404 Depth=2
	s_or_b64 exec, exec, s[92:93]
.LBB6_7221:                             ;   in Loop: Header=BB6_5404 Depth=2
	s_or_b64 exec, exec, s[90:91]
	v_max_f32_e32 v6, v6, v6
	v_max_f32_e32 v4, v4, v4
	;; [unrolled: 1-line block ×3, first 2 shown]
	s_mov_b64 s[90:91], 0
.LBB6_7222:                             ;   in Loop: Header=BB6_5404 Depth=2
	s_and_b64 vcc, exec, s[90:91]
	s_cbranch_vccz .LBB6_7236
; %bb.7223:                             ;   in Loop: Header=BB6_5404 Depth=2
	v_mov_b32_e32 v6, 0
	v_mov_b32_e32 v4, 0
	s_and_saveexec_b64 s[90:91], s[20:21]
	s_cbranch_execz .LBB6_7229
; %bb.7224:                             ;   in Loop: Header=BB6_5404 Depth=2
	v_cmp_ne_u16_e32 vcc, s49, v18
	v_bfrev_b32_e32 v4, 1
	s_and_saveexec_b64 s[20:21], vcc
	s_cbranch_execz .LBB6_7228
; %bb.7225:                             ;   in Loop: Header=BB6_5404 Depth=2
	v_and_b32_e32 v7, 0x7f, v18
	v_cmp_ne_u32_e32 vcc, s51, v7
	v_mov_b32_e32 v4, 0x7f800001
	s_and_saveexec_b64 s[92:93], vcc
	s_cbranch_execz .LBB6_7227
; %bb.7226:                             ;   in Loop: Header=BB6_5404 Depth=2
	v_and_b32_e32 v4, 7, v18
	v_lshrrev_b32_e32 v9, 3, v7
	v_cmp_gt_u32_e32 vcc, 8, v7
	v_ffbh_u32_e32 v7, v4
	v_min_u32_e32 v19, 32, v7
	v_subrev_u32_e32 v7, 28, v19
	v_lshlrev_b64 v[7:8], v7, v[18:19]
	v_sub_u32_e32 v8, 29, v19
	v_and_b32_e32 v7, 7, v7
	v_cndmask_b32_e32 v8, v9, v8, vcc
	v_cndmask_b32_e32 v4, v4, v7, vcc
	v_lshlrev_b32_e32 v7, 16, v24
	v_lshlrev_b32_e32 v4, 20, v4
	v_and_b32_e32 v7, 0x80000000, v7
	v_lshl_add_u32 v8, v8, 23, v5
	v_or3_b32 v4, v7, v8, v4
.LBB6_7227:                             ;   in Loop: Header=BB6_5404 Depth=2
	s_or_b64 exec, exec, s[92:93]
.LBB6_7228:                             ;   in Loop: Header=BB6_5404 Depth=2
	s_or_b64 exec, exec, s[20:21]
.LBB6_7229:                             ;   in Loop: Header=BB6_5404 Depth=2
	s_or_b64 exec, exec, s[90:91]
	v_cmp_ne_u16_e32 vcc, 0, v2
	s_and_saveexec_b64 s[20:21], vcc
	s_cbranch_execz .LBB6_7235
; %bb.7230:                             ;   in Loop: Header=BB6_5404 Depth=2
	v_cmp_ne_u16_e32 vcc, s49, v2
	v_bfrev_b32_e32 v6, 1
	s_and_saveexec_b64 s[90:91], vcc
	s_cbranch_execz .LBB6_7234
; %bb.7231:                             ;   in Loop: Header=BB6_5404 Depth=2
	v_and_b32_e32 v7, 0x7f, v2
	v_cmp_ne_u32_e32 vcc, s51, v7
	v_mov_b32_e32 v6, 0x7f800001
	s_and_saveexec_b64 s[92:93], vcc
	s_cbranch_execz .LBB6_7233
; %bb.7232:                             ;   in Loop: Header=BB6_5404 Depth=2
	v_and_b32_e32 v8, 7, v2
	v_ffbh_u32_e32 v6, v8
	v_min_u32_e32 v18, 32, v6
	v_subrev_u32_e32 v6, 28, v18
	v_lshrrev_b32_e32 v9, 3, v7
	v_cmp_gt_u32_e32 vcc, 8, v7
	v_lshlrev_b64 v[6:7], v6, v[2:3]
	v_sub_u32_e32 v2, 29, v18
	v_and_b32_e32 v6, 7, v6
	v_cndmask_b32_e32 v2, v9, v2, vcc
	v_cndmask_b32_e32 v6, v8, v6, vcc
	v_lshlrev_b32_e32 v7, 16, v20
	v_lshlrev_b32_e32 v6, 20, v6
	v_and_b32_e32 v7, 0x80000000, v7
	v_lshl_add_u32 v2, v2, 23, v5
	v_or3_b32 v6, v7, v2, v6
.LBB6_7233:                             ;   in Loop: Header=BB6_5404 Depth=2
	s_or_b64 exec, exec, s[92:93]
.LBB6_7234:                             ;   in Loop: Header=BB6_5404 Depth=2
	s_or_b64 exec, exec, s[90:91]
.LBB6_7235:                             ;   in Loop: Header=BB6_5404 Depth=2
	s_or_b64 exec, exec, s[20:21]
	v_max_f32_e32 v2, v6, v6
	v_max_f32_e32 v4, v4, v4
	v_min_f32_e32 v6, v4, v2
.LBB6_7236:                             ;   in Loop: Header=BB6_5404 Depth=2
	v_and_b32_e32 v2, 0x7f800000, v6
	v_cmp_ne_u64_e32 vcc, s[62:63], v[2:3]
                                        ; implicit-def: $vgpr54
	s_and_saveexec_b64 s[20:21], vcc
	s_xor_b64 s[90:91], exec, s[20:21]
	s_cbranch_execz .LBB6_7250
; %bb.7237:                             ;   in Loop: Header=BB6_5404 Depth=2
	v_and_b32_e32 v2, 0x7fffffff, v6
	v_cmp_gt_u64_e32 vcc, s[72:73], v[2:3]
	v_and_b32_sdwa v4, v6, s49 dst_sel:DWORD dst_unused:UNUSED_PAD src0_sel:BYTE_3 src1_sel:DWORD
                                        ; implicit-def: $vgpr54
	s_and_saveexec_b64 s[20:21], vcc
	s_xor_b64 s[92:93], exec, s[20:21]
	s_cbranch_execz .LBB6_7247
; %bb.7238:                             ;   in Loop: Header=BB6_5404 Depth=2
	v_mov_b32_e32 v54, 0
	v_cmp_ne_u32_e32 vcc, 0, v6
	s_and_saveexec_b64 s[94:95], vcc
	s_cbranch_execz .LBB6_7246
; %bb.7239:                             ;   in Loop: Header=BB6_5404 Depth=2
	v_and_b32_e32 v2, 0x7fffff, v6
	v_bfe_u32 v6, v6, 23, 8
	v_cmp_gt_u32_e64 s[20:21], s53, v6
	v_sub_u32_e32 v7, 0x79, v6
	v_cmp_eq_u32_e32 vcc, 0, v6
	v_cndmask_b32_e64 v7, 0, v7, s[20:21]
	v_mov_b32_e32 v9, 0x78
	v_or_b32_e32 v8, 0x800000, v2
	v_cndmask_b32_e32 v7, v7, v9, vcc
	v_cndmask_b32_e32 v2, v8, v2, vcc
	v_add_u32_e32 v8, 20, v7
	v_lshlrev_b64 v[8:9], v8, -1
	v_add_u32_e32 v18, 19, v7
	v_lshlrev_b64 v[18:19], v18, 1
	v_bfi_b32 v9, v9, 0, 0
	v_bfi_b32 v8, v8, 0, v2
	v_cmp_eq_u64_e64 s[20:21], v[8:9], v[18:19]
	v_lshrrev_b64 v[18:19], v7, v[2:3]
	v_mov_b32_e32 v23, v19
	v_mov_b32_e32 v22, v18
	s_and_saveexec_b64 s[30:31], s[20:21]
; %bb.7240:                             ;   in Loop: Header=BB6_5404 Depth=2
	v_bfe_u32 v2, v18, 20, 1
	v_add_co_u32_e64 v2, s[20:21], v18, v2
	v_add_co_u32_e64 v22, s[20:21], -1, v2
; %bb.7241:                             ;   in Loop: Header=BB6_5404 Depth=2
	s_or_b64 exec, exec, s[30:31]
	v_add_u32_e32 v2, 0xffffff81, v6
	v_cndmask_b32_e32 v2, v2, v59, vcc
	v_lshrrev_b32_e32 v6, 23, v18
	v_add3_u32 v8, v7, v2, v6
	v_add_u32_e32 v7, 6, v8
	v_and_b32_e32 v2, 0xfffff, v22
	v_add_u32_e32 v2, v2, v18
	v_cmp_ne_u32_e32 vcc, 0, v7
                                        ; implicit-def: $vgpr18_vgpr19
                                        ; implicit-def: $vgpr6
	s_and_saveexec_b64 s[20:21], vcc
	s_xor_b64 s[20:21], exec, s[20:21]
; %bb.7242:                             ;   in Loop: Header=BB6_5404 Depth=2
	v_cmp_lt_u64_e32 vcc, s[74:75], v[2:3]
	v_add_u32_e32 v6, 7, v8
	v_cndmask_b32_e32 v6, v7, v6, vcc
	v_cndmask_b32_e64 v7, 0, 1, vcc
	v_lshrrev_b64 v[18:19], v7, v[2:3]
; %bb.7243:                             ;   in Loop: Header=BB6_5404 Depth=2
	s_andn2_saveexec_b64 s[20:21], s[20:21]
; %bb.7244:                             ;   in Loop: Header=BB6_5404 Depth=2
	v_mov_b32_e32 v19, v3
	v_bfe_u32 v6, v2, 23, 1
	v_mov_b32_e32 v18, v2
; %bb.7245:                             ;   in Loop: Header=BB6_5404 Depth=2
	s_or_b64 exec, exec, s[20:21]
	v_lshrrev_b64 v[7:8], 20, v[18:19]
	v_cmp_gt_i32_e32 vcc, 16, v6
	v_cndmask_b32_e32 v8, 0, v8, vcc
	v_cndmask_b32_e32 v7, 7, v7, vcc
	v_min_i32_e32 v2, 15, v6
	v_cmp_eq_u64_e64 s[20:21], 0, v[7:8]
	v_lshlrev_b32_e32 v2, 3, v2
	v_cmp_eq_u32_e32 vcc, 0, v6
	v_and_b32_e32 v2, 0xf8, v2
	v_and_or_b32 v2, v7, 7, v2
	s_and_b64 s[20:21], vcc, s[20:21]
	v_cndmask_b32_e64 v2, v2, 0, s[20:21]
	v_or_b32_e32 v54, v2, v4
.LBB6_7246:                             ;   in Loop: Header=BB6_5404 Depth=2
	s_or_b64 exec, exec, s[94:95]
                                        ; implicit-def: $vgpr4
.LBB6_7247:                             ;   in Loop: Header=BB6_5404 Depth=2
	s_andn2_saveexec_b64 s[20:21], s[92:93]
; %bb.7248:                             ;   in Loop: Header=BB6_5404 Depth=2
	v_or_b32_e32 v54, 0x7e, v4
; %bb.7249:                             ;   in Loop: Header=BB6_5404 Depth=2
	s_or_b64 exec, exec, s[20:21]
                                        ; implicit-def: $vgpr6
.LBB6_7250:                             ;   in Loop: Header=BB6_5404 Depth=2
	s_andn2_saveexec_b64 s[20:21], s[90:91]
; %bb.7251:                             ;   in Loop: Header=BB6_5404 Depth=2
	v_or_b32_sdwa v54, v6, s51 dst_sel:DWORD dst_unused:UNUSED_PAD src0_sel:BYTE_3 src1_sel:DWORD
; %bb.7252:                             ;   in Loop: Header=BB6_5404 Depth=2
	s_or_b64 exec, exec, s[20:21]
	v_lshrrev_b32_e32 v18, 16, v24
	v_lshrrev_b32_e32 v2, 16, v20
	v_cmp_ne_u16_sdwa s[20:21], v18, v3 src0_sel:BYTE_0 src1_sel:DWORD
	s_and_b64 vcc, exec, s[18:19]
	s_mov_b64 s[90:91], -1
                                        ; implicit-def: $vgpr6
	s_cbranch_vccnz .LBB6_7266
; %bb.7253:                             ;   in Loop: Header=BB6_5404 Depth=2
	v_mov_b32_e32 v6, 0
	v_mov_b32_e32 v4, 0
	s_and_saveexec_b64 s[90:91], s[20:21]
	s_cbranch_execz .LBB6_7259
; %bb.7254:                             ;   in Loop: Header=BB6_5404 Depth=2
	v_cmp_ne_u16_sdwa s[94:95], v18, s49 src0_sel:BYTE_0 src1_sel:DWORD
	v_bfrev_b32_e32 v4, 1
	s_and_saveexec_b64 s[92:93], s[94:95]
	s_cbranch_execz .LBB6_7258
; %bb.7255:                             ;   in Loop: Header=BB6_5404 Depth=2
	v_bfe_u32 v7, v24, 16, 7
	v_cmp_ne_u32_e32 vcc, s51, v7
	v_mov_b32_e32 v4, 0x7f800001
	s_and_saveexec_b64 s[94:95], vcc
	s_cbranch_execz .LBB6_7257
; %bb.7256:                             ;   in Loop: Header=BB6_5404 Depth=2
	v_and_b32_e32 v4, 7, v18
	v_lshrrev_b32_e32 v9, 3, v7
	v_cmp_gt_u32_e32 vcc, 8, v7
	v_ffbh_u32_e32 v7, v4
	v_min_u32_e32 v19, 32, v7
	v_subrev_u32_e32 v7, 28, v19
	v_lshlrev_b64 v[7:8], v7, v[18:19]
	v_sub_u32_e32 v8, 29, v19
	v_and_b32_e32 v7, 7, v7
	v_cndmask_b32_e32 v8, v9, v8, vcc
	v_cndmask_b32_e32 v4, v4, v7, vcc
	v_lshlrev_b32_e32 v7, 24, v18
	v_lshlrev_b32_e32 v4, 20, v4
	v_and_b32_e32 v7, 0x80000000, v7
	v_lshl_add_u32 v8, v8, 23, v5
	v_or3_b32 v4, v7, v8, v4
.LBB6_7257:                             ;   in Loop: Header=BB6_5404 Depth=2
	s_or_b64 exec, exec, s[94:95]
.LBB6_7258:                             ;   in Loop: Header=BB6_5404 Depth=2
	s_or_b64 exec, exec, s[92:93]
.LBB6_7259:                             ;   in Loop: Header=BB6_5404 Depth=2
	s_or_b64 exec, exec, s[90:91]
	v_cmp_ne_u16_sdwa s[92:93], v2, v3 src0_sel:BYTE_0 src1_sel:DWORD
	s_and_saveexec_b64 s[90:91], s[92:93]
	s_cbranch_execz .LBB6_7265
; %bb.7260:                             ;   in Loop: Header=BB6_5404 Depth=2
	v_cmp_ne_u16_sdwa s[94:95], v2, s49 src0_sel:BYTE_0 src1_sel:DWORD
	v_bfrev_b32_e32 v6, 1
	s_and_saveexec_b64 s[92:93], s[94:95]
	s_cbranch_execz .LBB6_7264
; %bb.7261:                             ;   in Loop: Header=BB6_5404 Depth=2
	v_bfe_u32 v7, v20, 16, 7
	v_cmp_ne_u32_e32 vcc, s51, v7
	v_mov_b32_e32 v6, 0x7f800001
	s_and_saveexec_b64 s[94:95], vcc
	s_cbranch_execz .LBB6_7263
; %bb.7262:                             ;   in Loop: Header=BB6_5404 Depth=2
	v_and_b32_e32 v8, 7, v2
	v_ffbh_u32_e32 v6, v8
	v_min_u32_e32 v19, 32, v6
	v_subrev_u32_e32 v6, 28, v19
	v_lshrrev_b32_e32 v9, 3, v7
	v_cmp_gt_u32_e32 vcc, 8, v7
	v_lshlrev_b64 v[6:7], v6, v[2:3]
	v_sub_u32_e32 v7, 29, v19
	v_and_b32_e32 v6, 7, v6
	v_cndmask_b32_e32 v7, v9, v7, vcc
	v_cndmask_b32_e32 v6, v8, v6, vcc
	v_lshlrev_b32_e32 v8, 24, v2
	v_lshlrev_b32_e32 v6, 20, v6
	v_and_b32_e32 v8, 0x80000000, v8
	v_lshl_add_u32 v7, v7, 23, v5
	v_or3_b32 v6, v8, v7, v6
.LBB6_7263:                             ;   in Loop: Header=BB6_5404 Depth=2
	s_or_b64 exec, exec, s[94:95]
.LBB6_7264:                             ;   in Loop: Header=BB6_5404 Depth=2
	s_or_b64 exec, exec, s[92:93]
.LBB6_7265:                             ;   in Loop: Header=BB6_5404 Depth=2
	s_or_b64 exec, exec, s[90:91]
	v_max_f32_e32 v6, v6, v6
	v_max_f32_e32 v4, v4, v4
	;; [unrolled: 1-line block ×3, first 2 shown]
	s_mov_b64 s[90:91], 0
.LBB6_7266:                             ;   in Loop: Header=BB6_5404 Depth=2
	s_and_b64 vcc, exec, s[90:91]
	s_cbranch_vccz .LBB6_7280
; %bb.7267:                             ;   in Loop: Header=BB6_5404 Depth=2
	v_mov_b32_e32 v6, 0
	v_mov_b32_e32 v4, 0
	s_and_saveexec_b64 s[90:91], s[20:21]
	s_cbranch_execz .LBB6_7273
; %bb.7268:                             ;   in Loop: Header=BB6_5404 Depth=2
	v_cmp_ne_u16_sdwa s[92:93], v18, s49 src0_sel:BYTE_0 src1_sel:DWORD
	v_bfrev_b32_e32 v4, 1
	s_and_saveexec_b64 s[20:21], s[92:93]
	s_cbranch_execz .LBB6_7272
; %bb.7269:                             ;   in Loop: Header=BB6_5404 Depth=2
	v_bfe_u32 v7, v24, 16, 7
	v_cmp_ne_u32_e32 vcc, s51, v7
	v_mov_b32_e32 v4, 0x7f800001
	s_and_saveexec_b64 s[92:93], vcc
	s_cbranch_execz .LBB6_7271
; %bb.7270:                             ;   in Loop: Header=BB6_5404 Depth=2
	v_and_b32_e32 v4, 7, v18
	v_lshrrev_b32_e32 v9, 3, v7
	v_cmp_gt_u32_e32 vcc, 8, v7
	v_ffbh_u32_e32 v7, v4
	v_min_u32_e32 v19, 32, v7
	v_subrev_u32_e32 v7, 28, v19
	v_lshlrev_b64 v[7:8], v7, v[18:19]
	v_sub_u32_e32 v8, 29, v19
	v_and_b32_e32 v7, 7, v7
	v_cndmask_b32_e32 v8, v9, v8, vcc
	v_cndmask_b32_e32 v4, v4, v7, vcc
	v_lshlrev_b32_e32 v7, 24, v18
	v_lshlrev_b32_e32 v4, 20, v4
	v_and_b32_e32 v7, 0x80000000, v7
	v_lshl_add_u32 v8, v8, 23, v5
	v_or3_b32 v4, v7, v8, v4
.LBB6_7271:                             ;   in Loop: Header=BB6_5404 Depth=2
	s_or_b64 exec, exec, s[92:93]
.LBB6_7272:                             ;   in Loop: Header=BB6_5404 Depth=2
	s_or_b64 exec, exec, s[20:21]
.LBB6_7273:                             ;   in Loop: Header=BB6_5404 Depth=2
	s_or_b64 exec, exec, s[90:91]
	v_cmp_ne_u16_sdwa s[90:91], v2, v3 src0_sel:BYTE_0 src1_sel:DWORD
	s_and_saveexec_b64 s[20:21], s[90:91]
	s_cbranch_execz .LBB6_7279
; %bb.7274:                             ;   in Loop: Header=BB6_5404 Depth=2
	v_cmp_ne_u16_sdwa s[92:93], v2, s49 src0_sel:BYTE_0 src1_sel:DWORD
	v_bfrev_b32_e32 v6, 1
	s_and_saveexec_b64 s[90:91], s[92:93]
	s_cbranch_execz .LBB6_7278
; %bb.7275:                             ;   in Loop: Header=BB6_5404 Depth=2
	v_bfe_u32 v7, v20, 16, 7
	v_cmp_ne_u32_e32 vcc, s51, v7
	v_mov_b32_e32 v6, 0x7f800001
	s_and_saveexec_b64 s[92:93], vcc
	s_cbranch_execz .LBB6_7277
; %bb.7276:                             ;   in Loop: Header=BB6_5404 Depth=2
	v_and_b32_e32 v8, 7, v2
	v_ffbh_u32_e32 v6, v8
	v_min_u32_e32 v18, 32, v6
	v_subrev_u32_e32 v6, 28, v18
	v_lshrrev_b32_e32 v9, 3, v7
	v_cmp_gt_u32_e32 vcc, 8, v7
	v_lshlrev_b64 v[6:7], v6, v[2:3]
	v_sub_u32_e32 v7, 29, v18
	v_and_b32_e32 v6, 7, v6
	v_cndmask_b32_e32 v7, v9, v7, vcc
	v_cndmask_b32_e32 v6, v8, v6, vcc
	v_lshlrev_b32_e32 v2, 24, v2
	v_lshlrev_b32_e32 v6, 20, v6
	v_and_b32_e32 v2, 0x80000000, v2
	v_lshl_add_u32 v7, v7, 23, v5
	v_or3_b32 v6, v2, v7, v6
.LBB6_7277:                             ;   in Loop: Header=BB6_5404 Depth=2
	s_or_b64 exec, exec, s[92:93]
.LBB6_7278:                             ;   in Loop: Header=BB6_5404 Depth=2
	s_or_b64 exec, exec, s[90:91]
.LBB6_7279:                             ;   in Loop: Header=BB6_5404 Depth=2
	s_or_b64 exec, exec, s[20:21]
	v_max_f32_e32 v2, v6, v6
	v_max_f32_e32 v4, v4, v4
	v_min_f32_e32 v6, v4, v2
.LBB6_7280:                             ;   in Loop: Header=BB6_5404 Depth=2
	v_and_b32_e32 v2, 0x7f800000, v6
	v_cmp_ne_u64_e32 vcc, s[62:63], v[2:3]
	v_mov_b32_e32 v48, v38
	v_mov_b32_e32 v51, v37
                                        ; implicit-def: $vgpr38
	s_and_saveexec_b64 s[20:21], vcc
	s_xor_b64 s[90:91], exec, s[20:21]
	s_cbranch_execz .LBB6_7294
; %bb.7281:                             ;   in Loop: Header=BB6_5404 Depth=2
	v_and_b32_e32 v2, 0x7fffffff, v6
	v_cmp_gt_u64_e32 vcc, s[72:73], v[2:3]
	v_and_b32_sdwa v4, v6, s49 dst_sel:DWORD dst_unused:UNUSED_PAD src0_sel:BYTE_3 src1_sel:DWORD
                                        ; implicit-def: $vgpr38
	s_and_saveexec_b64 s[20:21], vcc
	s_xor_b64 s[92:93], exec, s[20:21]
	s_cbranch_execz .LBB6_7291
; %bb.7282:                             ;   in Loop: Header=BB6_5404 Depth=2
	v_mov_b32_e32 v38, 0
	v_cmp_ne_u32_e32 vcc, 0, v6
	s_and_saveexec_b64 s[94:95], vcc
	s_cbranch_execz .LBB6_7290
; %bb.7283:                             ;   in Loop: Header=BB6_5404 Depth=2
	v_and_b32_e32 v2, 0x7fffff, v6
	v_bfe_u32 v6, v6, 23, 8
	v_cmp_gt_u32_e64 s[20:21], s53, v6
	v_sub_u32_e32 v7, 0x79, v6
	v_cmp_eq_u32_e32 vcc, 0, v6
	v_cndmask_b32_e64 v7, 0, v7, s[20:21]
	v_mov_b32_e32 v9, 0x78
	v_or_b32_e32 v8, 0x800000, v2
	v_cndmask_b32_e32 v7, v7, v9, vcc
	v_cndmask_b32_e32 v2, v8, v2, vcc
	v_add_u32_e32 v8, 20, v7
	v_lshlrev_b64 v[8:9], v8, -1
	v_add_u32_e32 v18, 19, v7
	v_lshlrev_b64 v[18:19], v18, 1
	v_bfi_b32 v9, v9, 0, 0
	v_bfi_b32 v8, v8, 0, v2
	v_cmp_eq_u64_e64 s[20:21], v[8:9], v[18:19]
	v_lshrrev_b64 v[18:19], v7, v[2:3]
	v_mov_b32_e32 v23, v19
	v_mov_b32_e32 v22, v18
	s_and_saveexec_b64 s[30:31], s[20:21]
; %bb.7284:                             ;   in Loop: Header=BB6_5404 Depth=2
	v_bfe_u32 v2, v18, 20, 1
	v_add_co_u32_e64 v2, s[20:21], v18, v2
	v_add_co_u32_e64 v22, s[20:21], -1, v2
; %bb.7285:                             ;   in Loop: Header=BB6_5404 Depth=2
	s_or_b64 exec, exec, s[30:31]
	v_add_u32_e32 v2, 0xffffff81, v6
	v_cndmask_b32_e32 v2, v2, v59, vcc
	v_lshrrev_b32_e32 v6, 23, v18
	v_add3_u32 v8, v7, v2, v6
	v_add_u32_e32 v7, 6, v8
	v_and_b32_e32 v2, 0xfffff, v22
	v_add_u32_e32 v2, v2, v18
	v_cmp_ne_u32_e32 vcc, 0, v7
                                        ; implicit-def: $vgpr18_vgpr19
                                        ; implicit-def: $vgpr6
	s_and_saveexec_b64 s[20:21], vcc
	s_xor_b64 s[20:21], exec, s[20:21]
; %bb.7286:                             ;   in Loop: Header=BB6_5404 Depth=2
	v_cmp_lt_u64_e32 vcc, s[74:75], v[2:3]
	v_add_u32_e32 v6, 7, v8
	v_cndmask_b32_e32 v6, v7, v6, vcc
	v_cndmask_b32_e64 v7, 0, 1, vcc
	v_lshrrev_b64 v[18:19], v7, v[2:3]
; %bb.7287:                             ;   in Loop: Header=BB6_5404 Depth=2
	s_andn2_saveexec_b64 s[20:21], s[20:21]
; %bb.7288:                             ;   in Loop: Header=BB6_5404 Depth=2
	v_mov_b32_e32 v19, v3
	v_bfe_u32 v6, v2, 23, 1
	v_mov_b32_e32 v18, v2
; %bb.7289:                             ;   in Loop: Header=BB6_5404 Depth=2
	s_or_b64 exec, exec, s[20:21]
	v_lshrrev_b64 v[7:8], 20, v[18:19]
	v_cmp_gt_i32_e32 vcc, 16, v6
	v_cndmask_b32_e32 v8, 0, v8, vcc
	v_cndmask_b32_e32 v7, 7, v7, vcc
	v_min_i32_e32 v2, 15, v6
	v_cmp_eq_u64_e64 s[20:21], 0, v[7:8]
	v_lshlrev_b32_e32 v2, 3, v2
	v_cmp_eq_u32_e32 vcc, 0, v6
	v_and_b32_e32 v2, 0xf8, v2
	v_and_or_b32 v2, v7, 7, v2
	s_and_b64 s[20:21], vcc, s[20:21]
	v_cndmask_b32_e64 v2, v2, 0, s[20:21]
	v_or_b32_e32 v38, v2, v4
.LBB6_7290:                             ;   in Loop: Header=BB6_5404 Depth=2
	s_or_b64 exec, exec, s[94:95]
                                        ; implicit-def: $vgpr4
.LBB6_7291:                             ;   in Loop: Header=BB6_5404 Depth=2
	s_andn2_saveexec_b64 s[20:21], s[92:93]
; %bb.7292:                             ;   in Loop: Header=BB6_5404 Depth=2
	v_or_b32_e32 v38, 0x7e, v4
; %bb.7293:                             ;   in Loop: Header=BB6_5404 Depth=2
	s_or_b64 exec, exec, s[20:21]
                                        ; implicit-def: $vgpr6
.LBB6_7294:                             ;   in Loop: Header=BB6_5404 Depth=2
	s_andn2_saveexec_b64 s[20:21], s[90:91]
; %bb.7295:                             ;   in Loop: Header=BB6_5404 Depth=2
	v_or_b32_sdwa v38, v6, s51 dst_sel:DWORD dst_unused:UNUSED_PAD src0_sel:BYTE_3 src1_sel:DWORD
; %bb.7296:                             ;   in Loop: Header=BB6_5404 Depth=2
	s_or_b64 exec, exec, s[20:21]
	v_lshrrev_b32_e32 v18, 24, v24
	v_lshrrev_b32_e32 v2, 24, v20
	v_cmp_lt_u32_e64 s[20:21], s77, v24
	s_and_b64 vcc, exec, s[18:19]
	s_mov_b64 s[90:91], -1
                                        ; implicit-def: $vgpr7
	s_cbranch_vccnz .LBB6_7310
; %bb.7297:                             ;   in Loop: Header=BB6_5404 Depth=2
	v_mov_b32_e32 v6, 0
	v_mov_b32_e32 v4, 0
	s_and_saveexec_b64 s[90:91], s[20:21]
	s_cbranch_execz .LBB6_7303
; %bb.7298:                             ;   in Loop: Header=BB6_5404 Depth=2
	v_cmp_ne_u32_e32 vcc, s49, v18
	v_bfrev_b32_e32 v4, 1
	s_and_saveexec_b64 s[92:93], vcc
	s_cbranch_execz .LBB6_7302
; %bb.7299:                             ;   in Loop: Header=BB6_5404 Depth=2
	v_bfe_u32 v7, v24, 24, 7
	v_cmp_ne_u32_e32 vcc, s51, v7
	v_mov_b32_e32 v4, 0x7f800001
	s_and_saveexec_b64 s[94:95], vcc
	s_cbranch_execz .LBB6_7301
; %bb.7300:                             ;   in Loop: Header=BB6_5404 Depth=2
	v_and_b32_e32 v4, 7, v18
	v_lshrrev_b32_e32 v9, 3, v7
	v_cmp_gt_u32_e32 vcc, 8, v7
	v_ffbh_u32_e32 v7, v4
	v_min_u32_e32 v19, 32, v7
	v_subrev_u32_e32 v7, 28, v19
	v_lshlrev_b64 v[7:8], v7, v[18:19]
	v_sub_u32_e32 v8, 29, v19
	v_and_b32_e32 v7, 7, v7
	v_cndmask_b32_e32 v8, v9, v8, vcc
	v_cndmask_b32_e32 v4, v4, v7, vcc
	v_lshlrev_b32_e32 v7, 24, v18
	v_lshlrev_b32_e32 v4, 20, v4
	v_and_b32_e32 v7, 0x80000000, v7
	v_lshl_add_u32 v8, v8, 23, v5
	v_or3_b32 v4, v7, v8, v4
.LBB6_7301:                             ;   in Loop: Header=BB6_5404 Depth=2
	s_or_b64 exec, exec, s[94:95]
.LBB6_7302:                             ;   in Loop: Header=BB6_5404 Depth=2
	s_or_b64 exec, exec, s[92:93]
.LBB6_7303:                             ;   in Loop: Header=BB6_5404 Depth=2
	s_or_b64 exec, exec, s[90:91]
	v_cmp_lt_u32_e32 vcc, s77, v20
	s_and_saveexec_b64 s[90:91], vcc
	s_cbranch_execz .LBB6_7309
; %bb.7304:                             ;   in Loop: Header=BB6_5404 Depth=2
	v_cmp_ne_u32_e32 vcc, s49, v2
	v_bfrev_b32_e32 v6, 1
	s_and_saveexec_b64 s[92:93], vcc
	s_cbranch_execz .LBB6_7308
; %bb.7305:                             ;   in Loop: Header=BB6_5404 Depth=2
	v_bfe_u32 v7, v20, 24, 7
	v_cmp_ne_u32_e32 vcc, s51, v7
	v_mov_b32_e32 v6, 0x7f800001
	s_and_saveexec_b64 s[94:95], vcc
	s_cbranch_execz .LBB6_7307
; %bb.7306:                             ;   in Loop: Header=BB6_5404 Depth=2
	v_and_b32_e32 v8, 7, v2
	v_ffbh_u32_e32 v6, v8
	v_min_u32_e32 v19, 32, v6
	v_subrev_u32_e32 v6, 28, v19
	v_lshrrev_b32_e32 v9, 3, v7
	v_cmp_gt_u32_e32 vcc, 8, v7
	v_lshlrev_b64 v[6:7], v6, v[2:3]
	v_sub_u32_e32 v7, 29, v19
	v_and_b32_e32 v6, 7, v6
	v_cndmask_b32_e32 v7, v9, v7, vcc
	v_cndmask_b32_e32 v6, v8, v6, vcc
	v_lshlrev_b32_e32 v8, 24, v2
	v_lshlrev_b32_e32 v6, 20, v6
	v_and_b32_e32 v8, 0x80000000, v8
	v_lshl_add_u32 v7, v7, 23, v5
	v_or3_b32 v6, v8, v7, v6
.LBB6_7307:                             ;   in Loop: Header=BB6_5404 Depth=2
	s_or_b64 exec, exec, s[94:95]
.LBB6_7308:                             ;   in Loop: Header=BB6_5404 Depth=2
	s_or_b64 exec, exec, s[92:93]
.LBB6_7309:                             ;   in Loop: Header=BB6_5404 Depth=2
	s_or_b64 exec, exec, s[90:91]
	v_max_f32_e32 v6, v6, v6
	v_max_f32_e32 v4, v4, v4
	;; [unrolled: 1-line block ×3, first 2 shown]
	s_mov_b64 s[90:91], 0
.LBB6_7310:                             ;   in Loop: Header=BB6_5404 Depth=2
	s_and_b64 vcc, exec, s[90:91]
	s_cbranch_vccz .LBB6_7324
; %bb.7311:                             ;   in Loop: Header=BB6_5404 Depth=2
	v_mov_b32_e32 v6, 0
	v_mov_b32_e32 v4, 0
	s_and_saveexec_b64 s[90:91], s[20:21]
	s_cbranch_execz .LBB6_7317
; %bb.7312:                             ;   in Loop: Header=BB6_5404 Depth=2
	v_cmp_ne_u32_e32 vcc, s49, v18
	v_bfrev_b32_e32 v4, 1
	s_and_saveexec_b64 s[20:21], vcc
	s_cbranch_execz .LBB6_7316
; %bb.7313:                             ;   in Loop: Header=BB6_5404 Depth=2
	v_bfe_u32 v7, v24, 24, 7
	v_cmp_ne_u32_e32 vcc, s51, v7
	v_mov_b32_e32 v4, 0x7f800001
	s_and_saveexec_b64 s[92:93], vcc
	s_cbranch_execz .LBB6_7315
; %bb.7314:                             ;   in Loop: Header=BB6_5404 Depth=2
	v_and_b32_e32 v4, 7, v18
	v_lshrrev_b32_e32 v9, 3, v7
	v_cmp_gt_u32_e32 vcc, 8, v7
	v_ffbh_u32_e32 v7, v4
	v_min_u32_e32 v19, 32, v7
	v_subrev_u32_e32 v7, 28, v19
	v_lshlrev_b64 v[7:8], v7, v[18:19]
	v_sub_u32_e32 v8, 29, v19
	v_and_b32_e32 v7, 7, v7
	v_cndmask_b32_e32 v8, v9, v8, vcc
	v_cndmask_b32_e32 v4, v4, v7, vcc
	v_lshlrev_b32_e32 v7, 24, v18
	v_lshlrev_b32_e32 v4, 20, v4
	v_and_b32_e32 v7, 0x80000000, v7
	v_lshl_add_u32 v8, v8, 23, v5
	v_or3_b32 v4, v7, v8, v4
.LBB6_7315:                             ;   in Loop: Header=BB6_5404 Depth=2
	s_or_b64 exec, exec, s[92:93]
.LBB6_7316:                             ;   in Loop: Header=BB6_5404 Depth=2
	s_or_b64 exec, exec, s[20:21]
.LBB6_7317:                             ;   in Loop: Header=BB6_5404 Depth=2
	s_or_b64 exec, exec, s[90:91]
	v_cmp_lt_u32_e32 vcc, s77, v20
	s_and_saveexec_b64 s[20:21], vcc
	s_cbranch_execz .LBB6_7323
; %bb.7318:                             ;   in Loop: Header=BB6_5404 Depth=2
	v_cmp_ne_u32_e32 vcc, s49, v2
	v_bfrev_b32_e32 v6, 1
	s_and_saveexec_b64 s[90:91], vcc
	s_cbranch_execz .LBB6_7322
; %bb.7319:                             ;   in Loop: Header=BB6_5404 Depth=2
	v_bfe_u32 v7, v20, 24, 7
	v_cmp_ne_u32_e32 vcc, s51, v7
	v_mov_b32_e32 v6, 0x7f800001
	s_and_saveexec_b64 s[92:93], vcc
	s_cbranch_execz .LBB6_7321
; %bb.7320:                             ;   in Loop: Header=BB6_5404 Depth=2
	v_and_b32_e32 v8, 7, v2
	v_ffbh_u32_e32 v6, v8
	v_min_u32_e32 v18, 32, v6
	v_subrev_u32_e32 v6, 28, v18
	v_lshrrev_b32_e32 v9, 3, v7
	v_cmp_gt_u32_e32 vcc, 8, v7
	v_lshlrev_b64 v[6:7], v6, v[2:3]
	v_sub_u32_e32 v7, 29, v18
	v_and_b32_e32 v6, 7, v6
	v_cndmask_b32_e32 v7, v9, v7, vcc
	v_cndmask_b32_e32 v6, v8, v6, vcc
	v_lshlrev_b32_e32 v2, 24, v2
	v_lshlrev_b32_e32 v6, 20, v6
	v_and_b32_e32 v2, 0x80000000, v2
	v_lshl_add_u32 v7, v7, 23, v5
	v_or3_b32 v6, v2, v7, v6
.LBB6_7321:                             ;   in Loop: Header=BB6_5404 Depth=2
	s_or_b64 exec, exec, s[92:93]
.LBB6_7322:                             ;   in Loop: Header=BB6_5404 Depth=2
	s_or_b64 exec, exec, s[90:91]
.LBB6_7323:                             ;   in Loop: Header=BB6_5404 Depth=2
	s_or_b64 exec, exec, s[20:21]
	v_max_f32_e32 v2, v6, v6
	v_max_f32_e32 v4, v4, v4
	v_min_f32_e32 v7, v4, v2
.LBB6_7324:                             ;   in Loop: Header=BB6_5404 Depth=2
	v_and_b32_e32 v2, 0x7f800000, v7
	v_cmp_ne_u64_e32 vcc, s[62:63], v[2:3]
                                        ; implicit-def: $vgpr4
	s_and_saveexec_b64 s[20:21], vcc
	s_xor_b64 s[90:91], exec, s[20:21]
	s_cbranch_execz .LBB6_7338
; %bb.7325:                             ;   in Loop: Header=BB6_5404 Depth=2
	v_and_b32_e32 v2, 0x7fffffff, v7
	v_cmp_gt_u64_e32 vcc, s[72:73], v[2:3]
	v_and_b32_sdwa v6, v7, s49 dst_sel:DWORD dst_unused:UNUSED_PAD src0_sel:BYTE_3 src1_sel:DWORD
                                        ; implicit-def: $vgpr4
	s_and_saveexec_b64 s[20:21], vcc
	s_xor_b64 s[92:93], exec, s[20:21]
	s_cbranch_execz .LBB6_7335
; %bb.7326:                             ;   in Loop: Header=BB6_5404 Depth=2
	v_mov_b32_e32 v4, 0
	v_cmp_ne_u32_e32 vcc, 0, v7
	s_and_saveexec_b64 s[94:95], vcc
	s_cbranch_execz .LBB6_7334
; %bb.7327:                             ;   in Loop: Header=BB6_5404 Depth=2
	v_bfe_u32 v4, v7, 23, 8
	v_and_b32_e32 v2, 0x7fffff, v7
	v_cmp_gt_u32_e64 s[20:21], s53, v4
	v_sub_u32_e32 v7, 0x79, v4
	v_cmp_eq_u32_e32 vcc, 0, v4
	v_cndmask_b32_e64 v7, 0, v7, s[20:21]
	v_mov_b32_e32 v9, 0x78
	v_or_b32_e32 v8, 0x800000, v2
	v_cndmask_b32_e32 v7, v7, v9, vcc
	v_cndmask_b32_e32 v2, v8, v2, vcc
	v_add_u32_e32 v8, 20, v7
	v_lshlrev_b64 v[8:9], v8, -1
	v_add_u32_e32 v18, 19, v7
	v_lshlrev_b64 v[18:19], v18, 1
	v_bfi_b32 v9, v9, 0, 0
	v_bfi_b32 v8, v8, 0, v2
	v_cmp_eq_u64_e64 s[20:21], v[8:9], v[18:19]
	v_lshrrev_b64 v[18:19], v7, v[2:3]
	v_mov_b32_e32 v23, v19
	v_mov_b32_e32 v22, v18
	s_and_saveexec_b64 s[30:31], s[20:21]
; %bb.7328:                             ;   in Loop: Header=BB6_5404 Depth=2
	v_bfe_u32 v2, v18, 20, 1
	v_add_co_u32_e64 v2, s[20:21], v18, v2
	v_add_co_u32_e64 v22, s[20:21], -1, v2
; %bb.7329:                             ;   in Loop: Header=BB6_5404 Depth=2
	s_or_b64 exec, exec, s[30:31]
	v_add_u32_e32 v2, 0xffffff81, v4
	v_cndmask_b32_e32 v2, v2, v59, vcc
	v_lshrrev_b32_e32 v4, 23, v18
	v_add3_u32 v8, v7, v2, v4
	v_add_u32_e32 v7, 6, v8
	v_and_b32_e32 v2, 0xfffff, v22
	v_add_u32_e32 v2, v2, v18
	v_cmp_ne_u32_e32 vcc, 0, v7
                                        ; implicit-def: $vgpr18_vgpr19
                                        ; implicit-def: $vgpr4
	s_and_saveexec_b64 s[20:21], vcc
	s_xor_b64 s[20:21], exec, s[20:21]
; %bb.7330:                             ;   in Loop: Header=BB6_5404 Depth=2
	v_cmp_lt_u64_e32 vcc, s[74:75], v[2:3]
	v_add_u32_e32 v4, 7, v8
	v_cndmask_b32_e32 v4, v7, v4, vcc
	v_cndmask_b32_e64 v7, 0, 1, vcc
	v_lshrrev_b64 v[18:19], v7, v[2:3]
; %bb.7331:                             ;   in Loop: Header=BB6_5404 Depth=2
	s_andn2_saveexec_b64 s[20:21], s[20:21]
; %bb.7332:                             ;   in Loop: Header=BB6_5404 Depth=2
	v_mov_b32_e32 v19, v3
	v_bfe_u32 v4, v2, 23, 1
	v_mov_b32_e32 v18, v2
; %bb.7333:                             ;   in Loop: Header=BB6_5404 Depth=2
	s_or_b64 exec, exec, s[20:21]
	v_lshrrev_b64 v[7:8], 20, v[18:19]
	v_cmp_gt_i32_e32 vcc, 16, v4
	v_cndmask_b32_e32 v8, 0, v8, vcc
	v_cndmask_b32_e32 v7, 7, v7, vcc
	v_min_i32_e32 v2, 15, v4
	v_cmp_eq_u64_e64 s[20:21], 0, v[7:8]
	v_lshlrev_b32_e32 v2, 3, v2
	v_cmp_eq_u32_e32 vcc, 0, v4
	v_and_b32_e32 v2, 0xf8, v2
	v_and_or_b32 v2, v7, 7, v2
	s_and_b64 s[20:21], vcc, s[20:21]
	v_cndmask_b32_e64 v2, v2, 0, s[20:21]
	v_or_b32_e32 v4, v2, v6
.LBB6_7334:                             ;   in Loop: Header=BB6_5404 Depth=2
	s_or_b64 exec, exec, s[94:95]
                                        ; implicit-def: $vgpr6
.LBB6_7335:                             ;   in Loop: Header=BB6_5404 Depth=2
	s_andn2_saveexec_b64 s[20:21], s[92:93]
; %bb.7336:                             ;   in Loop: Header=BB6_5404 Depth=2
	v_or_b32_e32 v4, 0x7e, v6
; %bb.7337:                             ;   in Loop: Header=BB6_5404 Depth=2
	s_or_b64 exec, exec, s[20:21]
                                        ; implicit-def: $vgpr7
.LBB6_7338:                             ;   in Loop: Header=BB6_5404 Depth=2
	s_andn2_saveexec_b64 s[20:21], s[90:91]
; %bb.7339:                             ;   in Loop: Header=BB6_5404 Depth=2
	v_or_b32_sdwa v4, v7, s51 dst_sel:DWORD dst_unused:UNUSED_PAD src0_sel:BYTE_3 src1_sel:DWORD
; %bb.7340:                             ;   in Loop: Header=BB6_5404 Depth=2
	s_or_b64 exec, exec, s[20:21]
	v_mov_b32_e32 v2, v25
	v_mov_b32_e32 v18, v21
	;; [unrolled: 1-line block ×3, first 2 shown]
	v_cmp_ne_u16_sdwa s[20:21], v25, v3 src0_sel:BYTE_0 src1_sel:DWORD
	s_and_b64 vcc, exec, s[18:19]
	s_mov_b64 s[90:91], -1
                                        ; implicit-def: $vgpr8
	s_cbranch_vccnz .LBB6_7354
; %bb.7341:                             ;   in Loop: Header=BB6_5404 Depth=2
	v_mov_b32_e32 v7, 0
	v_mov_b32_e32 v6, 0
	s_and_saveexec_b64 s[90:91], s[20:21]
	s_cbranch_execz .LBB6_7347
; %bb.7342:                             ;   in Loop: Header=BB6_5404 Depth=2
	v_cmp_ne_u16_sdwa s[94:95], v25, s49 src0_sel:BYTE_0 src1_sel:DWORD
	v_bfrev_b32_e32 v6, 1
	s_and_saveexec_b64 s[92:93], s[94:95]
	s_cbranch_execz .LBB6_7346
; %bb.7343:                             ;   in Loop: Header=BB6_5404 Depth=2
	v_and_b32_e32 v8, 0x7f, v25
	v_cmp_ne_u32_e32 vcc, s51, v8
	v_mov_b32_e32 v6, 0x7f800001
	s_and_saveexec_b64 s[94:95], vcc
	s_cbranch_execz .LBB6_7345
; %bb.7344:                             ;   in Loop: Header=BB6_5404 Depth=2
	v_and_b32_e32 v6, 7, v25
	v_ffbh_u32_e32 v6, v6
	v_min_u32_e32 v6, 32, v6
	v_lshrrev_b32_e32 v9, 3, v8
	v_cmp_gt_u32_e32 vcc, 8, v8
	v_subrev_u32_e32 v8, 28, v6
	v_sub_u32_e32 v6, 29, v6
	v_cndmask_b32_e32 v8, 0, v8, vcc
	v_cndmask_b32_e32 v6, v9, v6, vcc
	v_lshlrev_b64 v[8:9], v8, v[2:3]
	v_lshlrev_b32_e32 v9, 24, v2
	v_lshlrev_b32_e32 v8, 20, v8
	v_and_b32_e32 v8, 0x700000, v8
	v_and_b32_e32 v9, 0x80000000, v9
	v_lshl_add_u32 v6, v6, 23, v5
	v_or3_b32 v6, v9, v6, v8
.LBB6_7345:                             ;   in Loop: Header=BB6_5404 Depth=2
	s_or_b64 exec, exec, s[94:95]
.LBB6_7346:                             ;   in Loop: Header=BB6_5404 Depth=2
	s_or_b64 exec, exec, s[92:93]
.LBB6_7347:                             ;   in Loop: Header=BB6_5404 Depth=2
	s_or_b64 exec, exec, s[90:91]
	v_cmp_ne_u16_sdwa s[92:93], v21, v3 src0_sel:BYTE_0 src1_sel:DWORD
	s_and_saveexec_b64 s[90:91], s[92:93]
	s_cbranch_execz .LBB6_7353
; %bb.7348:                             ;   in Loop: Header=BB6_5404 Depth=2
	v_cmp_ne_u16_sdwa s[94:95], v21, s49 src0_sel:BYTE_0 src1_sel:DWORD
	v_bfrev_b32_e32 v7, 1
	s_and_saveexec_b64 s[92:93], s[94:95]
	s_cbranch_execz .LBB6_7352
; %bb.7349:                             ;   in Loop: Header=BB6_5404 Depth=2
	v_and_b32_e32 v8, 0x7f, v21
	v_cmp_ne_u32_e32 vcc, s51, v8
	v_mov_b32_e32 v7, 0x7f800001
	s_and_saveexec_b64 s[94:95], vcc
	s_cbranch_execz .LBB6_7351
; %bb.7350:                             ;   in Loop: Header=BB6_5404 Depth=2
	v_and_b32_e32 v7, 7, v21
	v_ffbh_u32_e32 v7, v7
	v_min_u32_e32 v7, 32, v7
	v_lshrrev_b32_e32 v9, 3, v8
	v_cmp_gt_u32_e32 vcc, 8, v8
	v_subrev_u32_e32 v8, 28, v7
	v_sub_u32_e32 v7, 29, v7
	v_cndmask_b32_e32 v9, v9, v7, vcc
	v_cndmask_b32_e32 v7, 0, v8, vcc
	v_lshlrev_b64 v[7:8], v7, v[18:19]
	v_lshlrev_b32_e32 v8, 24, v18
	v_lshlrev_b32_e32 v7, 20, v7
	v_and_b32_e32 v7, 0x700000, v7
	v_and_b32_e32 v8, 0x80000000, v8
	v_lshl_add_u32 v9, v9, 23, v5
	v_or3_b32 v7, v8, v9, v7
.LBB6_7351:                             ;   in Loop: Header=BB6_5404 Depth=2
	s_or_b64 exec, exec, s[94:95]
.LBB6_7352:                             ;   in Loop: Header=BB6_5404 Depth=2
	s_or_b64 exec, exec, s[92:93]
.LBB6_7353:                             ;   in Loop: Header=BB6_5404 Depth=2
	s_or_b64 exec, exec, s[90:91]
	v_max_f32_e32 v7, v7, v7
	v_max_f32_e32 v6, v6, v6
	;; [unrolled: 1-line block ×3, first 2 shown]
	s_mov_b64 s[90:91], 0
.LBB6_7354:                             ;   in Loop: Header=BB6_5404 Depth=2
	s_and_b64 vcc, exec, s[90:91]
	s_cbranch_vccz .LBB6_7368
; %bb.7355:                             ;   in Loop: Header=BB6_5404 Depth=2
	v_mov_b32_e32 v7, 0
	v_mov_b32_e32 v6, 0
	s_and_saveexec_b64 s[90:91], s[20:21]
	s_cbranch_execz .LBB6_7361
; %bb.7356:                             ;   in Loop: Header=BB6_5404 Depth=2
	v_cmp_ne_u16_sdwa s[92:93], v25, s49 src0_sel:BYTE_0 src1_sel:DWORD
	v_bfrev_b32_e32 v6, 1
	s_and_saveexec_b64 s[20:21], s[92:93]
	s_cbranch_execz .LBB6_7360
; %bb.7357:                             ;   in Loop: Header=BB6_5404 Depth=2
	v_and_b32_e32 v8, 0x7f, v25
	v_cmp_ne_u32_e32 vcc, s51, v8
	v_mov_b32_e32 v6, 0x7f800001
	s_and_saveexec_b64 s[92:93], vcc
	s_cbranch_execz .LBB6_7359
; %bb.7358:                             ;   in Loop: Header=BB6_5404 Depth=2
	v_and_b32_e32 v6, 7, v25
	v_ffbh_u32_e32 v6, v6
	v_min_u32_e32 v6, 32, v6
	v_lshrrev_b32_e32 v9, 3, v8
	v_cmp_gt_u32_e32 vcc, 8, v8
	v_subrev_u32_e32 v8, 28, v6
	v_sub_u32_e32 v6, 29, v6
	v_cndmask_b32_e32 v8, 0, v8, vcc
	v_cndmask_b32_e32 v6, v9, v6, vcc
	v_lshlrev_b64 v[8:9], v8, v[2:3]
	v_lshlrev_b32_e32 v9, 24, v2
	v_lshlrev_b32_e32 v8, 20, v8
	v_and_b32_e32 v8, 0x700000, v8
	v_and_b32_e32 v9, 0x80000000, v9
	v_lshl_add_u32 v6, v6, 23, v5
	v_or3_b32 v6, v9, v6, v8
.LBB6_7359:                             ;   in Loop: Header=BB6_5404 Depth=2
	s_or_b64 exec, exec, s[92:93]
.LBB6_7360:                             ;   in Loop: Header=BB6_5404 Depth=2
	s_or_b64 exec, exec, s[20:21]
.LBB6_7361:                             ;   in Loop: Header=BB6_5404 Depth=2
	s_or_b64 exec, exec, s[90:91]
	v_cmp_ne_u16_sdwa s[90:91], v21, v3 src0_sel:BYTE_0 src1_sel:DWORD
	s_and_saveexec_b64 s[20:21], s[90:91]
	s_cbranch_execz .LBB6_7367
; %bb.7362:                             ;   in Loop: Header=BB6_5404 Depth=2
	v_cmp_ne_u16_sdwa s[92:93], v21, s49 src0_sel:BYTE_0 src1_sel:DWORD
	v_bfrev_b32_e32 v7, 1
	s_and_saveexec_b64 s[90:91], s[92:93]
	s_cbranch_execz .LBB6_7366
; %bb.7363:                             ;   in Loop: Header=BB6_5404 Depth=2
	v_and_b32_e32 v8, 0x7f, v21
	v_cmp_ne_u32_e32 vcc, s51, v8
	v_mov_b32_e32 v7, 0x7f800001
	s_and_saveexec_b64 s[92:93], vcc
	s_cbranch_execz .LBB6_7365
; %bb.7364:                             ;   in Loop: Header=BB6_5404 Depth=2
	v_and_b32_e32 v7, 7, v21
	v_ffbh_u32_e32 v7, v7
	v_min_u32_e32 v7, 32, v7
	v_lshrrev_b32_e32 v9, 3, v8
	v_cmp_gt_u32_e32 vcc, 8, v8
	v_subrev_u32_e32 v8, 28, v7
	v_sub_u32_e32 v7, 29, v7
	v_cndmask_b32_e32 v9, v9, v7, vcc
	v_cndmask_b32_e32 v7, 0, v8, vcc
	v_lshlrev_b64 v[7:8], v7, v[18:19]
	v_lshlrev_b32_e32 v8, 24, v18
	v_lshlrev_b32_e32 v7, 20, v7
	v_and_b32_e32 v7, 0x700000, v7
	v_and_b32_e32 v8, 0x80000000, v8
	v_lshl_add_u32 v9, v9, 23, v5
	v_or3_b32 v7, v8, v9, v7
.LBB6_7365:                             ;   in Loop: Header=BB6_5404 Depth=2
	s_or_b64 exec, exec, s[92:93]
.LBB6_7366:                             ;   in Loop: Header=BB6_5404 Depth=2
	s_or_b64 exec, exec, s[90:91]
.LBB6_7367:                             ;   in Loop: Header=BB6_5404 Depth=2
	s_or_b64 exec, exec, s[20:21]
	v_max_f32_e32 v7, v7, v7
	v_max_f32_e32 v6, v6, v6
	v_min_f32_e32 v8, v6, v7
.LBB6_7368:                             ;   in Loop: Header=BB6_5404 Depth=2
	v_and_b32_e32 v6, 0x7f800000, v8
	v_mov_b32_e32 v7, v3
	v_cmp_ne_u64_e32 vcc, s[62:63], v[6:7]
                                        ; implicit-def: $vgpr6
	s_and_saveexec_b64 s[20:21], vcc
	s_xor_b64 s[90:91], exec, s[20:21]
	s_cbranch_execz .LBB6_7382
; %bb.7369:                             ;   in Loop: Header=BB6_5404 Depth=2
	v_and_b32_e32 v6, 0x7fffffff, v8
	v_mov_b32_e32 v7, v3
	v_cmp_gt_u64_e32 vcc, s[72:73], v[6:7]
	v_and_b32_sdwa v7, v8, s49 dst_sel:DWORD dst_unused:UNUSED_PAD src0_sel:BYTE_3 src1_sel:DWORD
                                        ; implicit-def: $vgpr6
	s_and_saveexec_b64 s[20:21], vcc
	s_xor_b64 s[92:93], exec, s[20:21]
	s_cbranch_execz .LBB6_7379
; %bb.7370:                             ;   in Loop: Header=BB6_5404 Depth=2
	v_mov_b32_e32 v6, 0
	v_cmp_ne_u32_e32 vcc, 0, v8
	s_and_saveexec_b64 s[94:95], vcc
	s_cbranch_execz .LBB6_7378
; %bb.7371:                             ;   in Loop: Header=BB6_5404 Depth=2
	v_bfe_u32 v6, v8, 23, 8
	v_and_b32_e32 v9, 0x7fffff, v8
	v_cmp_gt_u32_e64 s[20:21], s53, v6
	v_sub_u32_e32 v8, 0x79, v6
	v_cmp_eq_u32_e32 vcc, 0, v6
	v_cndmask_b32_e64 v8, 0, v8, s[20:21]
	v_mov_b32_e32 v22, 0x78
	v_or_b32_e32 v19, 0x800000, v9
	v_cndmask_b32_e32 v8, v8, v22, vcc
	v_cndmask_b32_e32 v22, v19, v9, vcc
	v_add_u32_e32 v9, 20, v8
	v_lshlrev_b64 v[26:27], v9, -1
	v_mov_b32_e32 v23, v3
	v_add_u32_e32 v9, 19, v8
	v_bfi_b32 v26, v26, 0, v22
	v_lshlrev_b64 v[40:41], v9, 1
	v_lshrrev_b64 v[22:23], v8, v[22:23]
	v_bfi_b32 v27, v27, 0, 0
	v_cmp_eq_u64_e64 s[20:21], v[26:27], v[40:41]
	v_mov_b32_e32 v27, v23
	v_mov_b32_e32 v26, v22
	s_and_saveexec_b64 s[30:31], s[20:21]
; %bb.7372:                             ;   in Loop: Header=BB6_5404 Depth=2
	v_bfe_u32 v9, v22, 20, 1
	v_add_co_u32_e64 v9, s[20:21], v22, v9
	v_add_co_u32_e64 v26, s[20:21], -1, v9
; %bb.7373:                             ;   in Loop: Header=BB6_5404 Depth=2
	s_or_b64 exec, exec, s[30:31]
	v_add_u32_e32 v6, 0xffffff81, v6
	v_cndmask_b32_e32 v6, v6, v59, vcc
	v_lshrrev_b32_e32 v9, 23, v22
	v_add3_u32 v9, v8, v6, v9
	v_add_u32_e32 v8, 6, v9
	v_and_b32_e32 v6, 0xfffff, v26
	v_add_u32_e32 v22, v6, v22
	v_mov_b32_e32 v23, v3
	v_cmp_ne_u32_e32 vcc, 0, v8
                                        ; implicit-def: $vgpr6
	s_and_saveexec_b64 s[20:21], vcc
	s_xor_b64 s[20:21], exec, s[20:21]
; %bb.7374:                             ;   in Loop: Header=BB6_5404 Depth=2
	v_cmp_lt_u64_e32 vcc, s[74:75], v[22:23]
	v_add_u32_e32 v6, 7, v9
	v_cndmask_b32_e32 v6, v8, v6, vcc
	v_cndmask_b32_e64 v8, 0, 1, vcc
	v_lshrrev_b64 v[22:23], v8, v[22:23]
; %bb.7375:                             ;   in Loop: Header=BB6_5404 Depth=2
	s_andn2_saveexec_b64 s[20:21], s[20:21]
; %bb.7376:                             ;   in Loop: Header=BB6_5404 Depth=2
	v_bfe_u32 v6, v22, 23, 1
; %bb.7377:                             ;   in Loop: Header=BB6_5404 Depth=2
	s_or_b64 exec, exec, s[20:21]
	v_lshrrev_b64 v[8:9], 20, v[22:23]
	v_cmp_gt_i32_e32 vcc, 16, v6
	v_cndmask_b32_e32 v9, 0, v9, vcc
	v_cndmask_b32_e32 v8, 7, v8, vcc
	v_cmp_eq_u32_e32 vcc, 0, v6
	v_min_i32_e32 v6, 15, v6
	v_cmp_eq_u64_e64 s[20:21], 0, v[8:9]
	v_lshlrev_b32_e32 v6, 3, v6
	v_and_b32_e32 v6, 0xf8, v6
	v_and_or_b32 v6, v8, 7, v6
	s_and_b64 s[20:21], vcc, s[20:21]
	v_cndmask_b32_e64 v6, v6, 0, s[20:21]
	v_or_b32_e32 v6, v6, v7
.LBB6_7378:                             ;   in Loop: Header=BB6_5404 Depth=2
	s_or_b64 exec, exec, s[94:95]
                                        ; implicit-def: $vgpr7
.LBB6_7379:                             ;   in Loop: Header=BB6_5404 Depth=2
	s_andn2_saveexec_b64 s[20:21], s[92:93]
; %bb.7380:                             ;   in Loop: Header=BB6_5404 Depth=2
	v_or_b32_e32 v6, 0x7e, v7
; %bb.7381:                             ;   in Loop: Header=BB6_5404 Depth=2
	s_or_b64 exec, exec, s[20:21]
                                        ; implicit-def: $vgpr8
.LBB6_7382:                             ;   in Loop: Header=BB6_5404 Depth=2
	s_andn2_saveexec_b64 s[20:21], s[90:91]
; %bb.7383:                             ;   in Loop: Header=BB6_5404 Depth=2
	v_or_b32_sdwa v6, v8, s51 dst_sel:DWORD dst_unused:UNUSED_PAD src0_sel:BYTE_3 src1_sel:DWORD
; %bb.7384:                             ;   in Loop: Header=BB6_5404 Depth=2
	s_or_b64 exec, exec, s[20:21]
	v_lshrrev_b16_e32 v22, 8, v2
	v_lshrrev_b16_e32 v19, 8, v18
	v_cmp_ne_u16_e64 s[20:21], 0, v22
	s_and_b64 vcc, exec, s[18:19]
	s_mov_b64 s[90:91], -1
                                        ; implicit-def: $vgpr9
	s_cbranch_vccnz .LBB6_7398
; %bb.7385:                             ;   in Loop: Header=BB6_5404 Depth=2
	v_mov_b32_e32 v8, 0
	v_mov_b32_e32 v7, 0
	s_and_saveexec_b64 s[90:91], s[20:21]
	s_cbranch_execz .LBB6_7391
; %bb.7386:                             ;   in Loop: Header=BB6_5404 Depth=2
	v_cmp_ne_u16_e32 vcc, s49, v22
	v_bfrev_b32_e32 v7, 1
	s_and_saveexec_b64 s[92:93], vcc
	s_cbranch_execz .LBB6_7390
; %bb.7387:                             ;   in Loop: Header=BB6_5404 Depth=2
	v_and_b32_e32 v9, 0x7f, v22
	v_cmp_ne_u32_e32 vcc, s51, v9
	v_mov_b32_e32 v7, 0x7f800001
	s_and_saveexec_b64 s[94:95], vcc
	s_cbranch_execz .LBB6_7389
; %bb.7388:                             ;   in Loop: Header=BB6_5404 Depth=2
	v_and_b32_e32 v7, 7, v22
	v_lshrrev_b32_e32 v23, 3, v9
	v_cmp_gt_u32_e32 vcc, 8, v9
	v_ffbh_u32_e32 v9, v7
	v_min_u32_e32 v9, 32, v9
	v_subrev_u32_e32 v26, 28, v9
	v_lshlrev_b64 v[26:27], v26, v[22:23]
	v_sub_u32_e32 v9, 29, v9
	v_and_b32_e32 v26, 7, v26
	v_cndmask_b32_e32 v9, v23, v9, vcc
	v_cndmask_b32_e32 v7, v7, v26, vcc
	v_lshlrev_b32_e32 v23, 16, v2
	v_lshlrev_b32_e32 v7, 20, v7
	v_and_b32_e32 v23, 0x80000000, v23
	v_lshl_add_u32 v9, v9, 23, v5
	v_or3_b32 v7, v23, v9, v7
.LBB6_7389:                             ;   in Loop: Header=BB6_5404 Depth=2
	s_or_b64 exec, exec, s[94:95]
.LBB6_7390:                             ;   in Loop: Header=BB6_5404 Depth=2
	s_or_b64 exec, exec, s[92:93]
.LBB6_7391:                             ;   in Loop: Header=BB6_5404 Depth=2
	s_or_b64 exec, exec, s[90:91]
	v_cmp_ne_u16_e32 vcc, 0, v19
	s_and_saveexec_b64 s[90:91], vcc
	s_cbranch_execz .LBB6_7397
; %bb.7392:                             ;   in Loop: Header=BB6_5404 Depth=2
	v_cmp_ne_u16_e32 vcc, s49, v19
	v_bfrev_b32_e32 v8, 1
	s_and_saveexec_b64 s[92:93], vcc
	s_cbranch_execz .LBB6_7396
; %bb.7393:                             ;   in Loop: Header=BB6_5404 Depth=2
	v_and_b32_e32 v9, 0x7f, v19
	v_cmp_ne_u32_e32 vcc, s51, v9
	v_mov_b32_e32 v8, 0x7f800001
	s_and_saveexec_b64 s[94:95], vcc
	s_cbranch_execz .LBB6_7395
; %bb.7394:                             ;   in Loop: Header=BB6_5404 Depth=2
	v_and_b32_e32 v23, 7, v19
	v_ffbh_u32_e32 v8, v23
	v_min_u32_e32 v27, 32, v8
	v_subrev_u32_e32 v8, 28, v27
	v_lshrrev_b32_e32 v26, 3, v9
	v_cmp_gt_u32_e32 vcc, 8, v9
	v_lshlrev_b64 v[8:9], v8, v[19:20]
	v_sub_u32_e32 v9, 29, v27
	v_and_b32_e32 v8, 7, v8
	v_cndmask_b32_e32 v9, v26, v9, vcc
	v_cndmask_b32_e32 v8, v23, v8, vcc
	v_lshlrev_b32_e32 v23, 16, v18
	v_lshlrev_b32_e32 v8, 20, v8
	v_and_b32_e32 v23, 0x80000000, v23
	v_lshl_add_u32 v9, v9, 23, v5
	v_or3_b32 v8, v23, v9, v8
.LBB6_7395:                             ;   in Loop: Header=BB6_5404 Depth=2
	s_or_b64 exec, exec, s[94:95]
.LBB6_7396:                             ;   in Loop: Header=BB6_5404 Depth=2
	s_or_b64 exec, exec, s[92:93]
.LBB6_7397:                             ;   in Loop: Header=BB6_5404 Depth=2
	s_or_b64 exec, exec, s[90:91]
	v_max_f32_e32 v8, v8, v8
	v_max_f32_e32 v7, v7, v7
	;; [unrolled: 1-line block ×3, first 2 shown]
	s_mov_b64 s[90:91], 0
.LBB6_7398:                             ;   in Loop: Header=BB6_5404 Depth=2
	s_and_b64 vcc, exec, s[90:91]
	s_cbranch_vccz .LBB6_7412
; %bb.7399:                             ;   in Loop: Header=BB6_5404 Depth=2
	v_mov_b32_e32 v8, 0
	v_mov_b32_e32 v7, 0
	s_and_saveexec_b64 s[90:91], s[20:21]
	s_cbranch_execz .LBB6_7405
; %bb.7400:                             ;   in Loop: Header=BB6_5404 Depth=2
	v_cmp_ne_u16_e32 vcc, s49, v22
	v_bfrev_b32_e32 v7, 1
	s_and_saveexec_b64 s[20:21], vcc
	s_cbranch_execz .LBB6_7404
; %bb.7401:                             ;   in Loop: Header=BB6_5404 Depth=2
	v_and_b32_e32 v9, 0x7f, v22
	v_cmp_ne_u32_e32 vcc, s51, v9
	v_mov_b32_e32 v7, 0x7f800001
	s_and_saveexec_b64 s[92:93], vcc
	s_cbranch_execz .LBB6_7403
; %bb.7402:                             ;   in Loop: Header=BB6_5404 Depth=2
	v_and_b32_e32 v7, 7, v22
	v_lshrrev_b32_e32 v26, 3, v9
	v_cmp_gt_u32_e32 vcc, 8, v9
	v_ffbh_u32_e32 v9, v7
	v_min_u32_e32 v9, 32, v9
	v_subrev_u32_e32 v23, 28, v9
	v_lshlrev_b64 v[22:23], v23, v[22:23]
	v_sub_u32_e32 v9, 29, v9
	v_and_b32_e32 v22, 7, v22
	v_cndmask_b32_e32 v9, v26, v9, vcc
	v_cndmask_b32_e32 v7, v7, v22, vcc
	v_lshlrev_b32_e32 v2, 16, v2
	v_lshlrev_b32_e32 v7, 20, v7
	v_and_b32_e32 v2, 0x80000000, v2
	v_lshl_add_u32 v9, v9, 23, v5
	v_or3_b32 v7, v2, v9, v7
.LBB6_7403:                             ;   in Loop: Header=BB6_5404 Depth=2
	s_or_b64 exec, exec, s[92:93]
.LBB6_7404:                             ;   in Loop: Header=BB6_5404 Depth=2
	s_or_b64 exec, exec, s[20:21]
.LBB6_7405:                             ;   in Loop: Header=BB6_5404 Depth=2
	s_or_b64 exec, exec, s[90:91]
	v_cmp_ne_u16_e32 vcc, 0, v19
	s_and_saveexec_b64 s[20:21], vcc
	s_cbranch_execz .LBB6_7411
; %bb.7406:                             ;   in Loop: Header=BB6_5404 Depth=2
	v_cmp_ne_u16_e32 vcc, s49, v19
	v_bfrev_b32_e32 v8, 1
	s_and_saveexec_b64 s[90:91], vcc
	s_cbranch_execz .LBB6_7410
; %bb.7407:                             ;   in Loop: Header=BB6_5404 Depth=2
	v_and_b32_e32 v2, 0x7f, v19
	v_cmp_ne_u32_e32 vcc, s51, v2
	v_mov_b32_e32 v8, 0x7f800001
	s_and_saveexec_b64 s[92:93], vcc
	s_cbranch_execz .LBB6_7409
; %bb.7408:                             ;   in Loop: Header=BB6_5404 Depth=2
	v_and_b32_e32 v22, 7, v19
	v_lshrrev_b32_e32 v23, 3, v2
	v_cmp_gt_u32_e32 vcc, 8, v2
	v_ffbh_u32_e32 v2, v22
	v_min_u32_e32 v2, 32, v2
	v_subrev_u32_e32 v8, 28, v2
	v_lshlrev_b64 v[8:9], v8, v[19:20]
	v_sub_u32_e32 v2, 29, v2
	v_and_b32_e32 v8, 7, v8
	v_cndmask_b32_e32 v2, v23, v2, vcc
	v_cndmask_b32_e32 v8, v22, v8, vcc
	v_lshlrev_b32_e32 v9, 16, v18
	v_lshlrev_b32_e32 v8, 20, v8
	v_and_b32_e32 v9, 0x80000000, v9
	v_lshl_add_u32 v2, v2, 23, v5
	v_or3_b32 v8, v9, v2, v8
.LBB6_7409:                             ;   in Loop: Header=BB6_5404 Depth=2
	s_or_b64 exec, exec, s[92:93]
.LBB6_7410:                             ;   in Loop: Header=BB6_5404 Depth=2
	s_or_b64 exec, exec, s[90:91]
.LBB6_7411:                             ;   in Loop: Header=BB6_5404 Depth=2
	s_or_b64 exec, exec, s[20:21]
	v_max_f32_e32 v2, v8, v8
	v_max_f32_e32 v7, v7, v7
	v_min_f32_e32 v9, v7, v2
.LBB6_7412:                             ;   in Loop: Header=BB6_5404 Depth=2
	v_and_b32_e32 v2, 0x7f800000, v9
	v_cmp_ne_u64_e32 vcc, s[62:63], v[2:3]
                                        ; implicit-def: $vgpr7
	s_and_saveexec_b64 s[20:21], vcc
	s_xor_b64 s[90:91], exec, s[20:21]
	s_cbranch_execz .LBB6_7426
; %bb.7413:                             ;   in Loop: Header=BB6_5404 Depth=2
	v_and_b32_e32 v2, 0x7fffffff, v9
	v_cmp_gt_u64_e32 vcc, s[72:73], v[2:3]
	v_and_b32_sdwa v8, v9, s49 dst_sel:DWORD dst_unused:UNUSED_PAD src0_sel:BYTE_3 src1_sel:DWORD
                                        ; implicit-def: $vgpr7
	s_and_saveexec_b64 s[20:21], vcc
	s_xor_b64 s[92:93], exec, s[20:21]
	s_cbranch_execz .LBB6_7423
; %bb.7414:                             ;   in Loop: Header=BB6_5404 Depth=2
	v_mov_b32_e32 v7, 0
	v_cmp_ne_u32_e32 vcc, 0, v9
	s_and_saveexec_b64 s[94:95], vcc
	s_cbranch_execz .LBB6_7422
; %bb.7415:                             ;   in Loop: Header=BB6_5404 Depth=2
	v_bfe_u32 v7, v9, 23, 8
	v_and_b32_e32 v2, 0x7fffff, v9
	v_cmp_gt_u32_e64 s[20:21], s53, v7
	v_sub_u32_e32 v9, 0x79, v7
	v_cmp_eq_u32_e32 vcc, 0, v7
	v_cndmask_b32_e64 v9, 0, v9, s[20:21]
	v_mov_b32_e32 v19, 0x78
	v_or_b32_e32 v18, 0x800000, v2
	v_cndmask_b32_e32 v9, v9, v19, vcc
	v_cndmask_b32_e32 v2, v18, v2, vcc
	v_add_u32_e32 v18, 20, v9
	v_lshlrev_b64 v[18:19], v18, -1
	v_add_u32_e32 v22, 19, v9
	v_lshlrev_b64 v[22:23], v22, 1
	v_bfi_b32 v19, v19, 0, 0
	v_bfi_b32 v18, v18, 0, v2
	v_cmp_eq_u64_e64 s[20:21], v[18:19], v[22:23]
	v_lshrrev_b64 v[18:19], v9, v[2:3]
	v_mov_b32_e32 v23, v19
	v_mov_b32_e32 v22, v18
	s_and_saveexec_b64 s[30:31], s[20:21]
; %bb.7416:                             ;   in Loop: Header=BB6_5404 Depth=2
	v_bfe_u32 v2, v18, 20, 1
	v_add_co_u32_e64 v2, s[20:21], v18, v2
	v_add_co_u32_e64 v22, s[20:21], -1, v2
; %bb.7417:                             ;   in Loop: Header=BB6_5404 Depth=2
	s_or_b64 exec, exec, s[30:31]
	v_add_u32_e32 v2, 0xffffff81, v7
	v_cndmask_b32_e32 v2, v2, v59, vcc
	v_lshrrev_b32_e32 v7, 23, v18
	v_add3_u32 v23, v9, v2, v7
	v_add_u32_e32 v9, 6, v23
	v_and_b32_e32 v2, 0xfffff, v22
	v_add_u32_e32 v2, v2, v18
	v_cmp_ne_u32_e32 vcc, 0, v9
                                        ; implicit-def: $vgpr18_vgpr19
                                        ; implicit-def: $vgpr7
	s_and_saveexec_b64 s[20:21], vcc
	s_xor_b64 s[20:21], exec, s[20:21]
; %bb.7418:                             ;   in Loop: Header=BB6_5404 Depth=2
	v_cmp_lt_u64_e32 vcc, s[74:75], v[2:3]
	v_add_u32_e32 v7, 7, v23
	v_cndmask_b32_e32 v7, v9, v7, vcc
	v_cndmask_b32_e64 v9, 0, 1, vcc
	v_lshrrev_b64 v[18:19], v9, v[2:3]
; %bb.7419:                             ;   in Loop: Header=BB6_5404 Depth=2
	s_andn2_saveexec_b64 s[20:21], s[20:21]
; %bb.7420:                             ;   in Loop: Header=BB6_5404 Depth=2
	v_mov_b32_e32 v19, v3
	v_bfe_u32 v7, v2, 23, 1
	v_mov_b32_e32 v18, v2
; %bb.7421:                             ;   in Loop: Header=BB6_5404 Depth=2
	s_or_b64 exec, exec, s[20:21]
	v_lshrrev_b64 v[18:19], 20, v[18:19]
	v_cmp_gt_i32_e32 vcc, 16, v7
	v_cndmask_b32_e32 v19, 0, v19, vcc
	v_cndmask_b32_e32 v18, 7, v18, vcc
	v_min_i32_e32 v2, 15, v7
	v_cmp_eq_u64_e64 s[20:21], 0, v[18:19]
	v_lshlrev_b32_e32 v2, 3, v2
	v_cmp_eq_u32_e32 vcc, 0, v7
	v_and_b32_e32 v2, 0xf8, v2
	v_and_or_b32 v2, v18, 7, v2
	s_and_b64 s[20:21], vcc, s[20:21]
	v_cndmask_b32_e64 v2, v2, 0, s[20:21]
	v_or_b32_e32 v7, v2, v8
.LBB6_7422:                             ;   in Loop: Header=BB6_5404 Depth=2
	s_or_b64 exec, exec, s[94:95]
                                        ; implicit-def: $vgpr8
.LBB6_7423:                             ;   in Loop: Header=BB6_5404 Depth=2
	s_andn2_saveexec_b64 s[20:21], s[92:93]
; %bb.7424:                             ;   in Loop: Header=BB6_5404 Depth=2
	v_or_b32_e32 v7, 0x7e, v8
; %bb.7425:                             ;   in Loop: Header=BB6_5404 Depth=2
	s_or_b64 exec, exec, s[20:21]
                                        ; implicit-def: $vgpr9
.LBB6_7426:                             ;   in Loop: Header=BB6_5404 Depth=2
	s_andn2_saveexec_b64 s[20:21], s[90:91]
; %bb.7427:                             ;   in Loop: Header=BB6_5404 Depth=2
	v_or_b32_sdwa v7, v9, s51 dst_sel:DWORD dst_unused:UNUSED_PAD src0_sel:BYTE_3 src1_sel:DWORD
; %bb.7428:                             ;   in Loop: Header=BB6_5404 Depth=2
	s_or_b64 exec, exec, s[20:21]
	v_lshrrev_b32_e32 v18, 16, v25
	v_lshrrev_b32_e32 v2, 16, v21
	v_cmp_ne_u16_sdwa s[20:21], v18, v3 src0_sel:BYTE_0 src1_sel:DWORD
	s_and_b64 vcc, exec, s[18:19]
	s_mov_b64 s[90:91], -1
                                        ; implicit-def: $vgpr19
	s_cbranch_vccnz .LBB6_7442
; %bb.7429:                             ;   in Loop: Header=BB6_5404 Depth=2
	v_mov_b32_e32 v9, 0
	v_mov_b32_e32 v8, 0
	s_and_saveexec_b64 s[90:91], s[20:21]
	s_cbranch_execz .LBB6_7435
; %bb.7430:                             ;   in Loop: Header=BB6_5404 Depth=2
	v_cmp_ne_u16_sdwa s[94:95], v18, s49 src0_sel:BYTE_0 src1_sel:DWORD
	v_bfrev_b32_e32 v8, 1
	s_and_saveexec_b64 s[92:93], s[94:95]
	s_cbranch_execz .LBB6_7434
; %bb.7431:                             ;   in Loop: Header=BB6_5404 Depth=2
	v_bfe_u32 v19, v25, 16, 7
	v_cmp_ne_u32_e32 vcc, s51, v19
	v_mov_b32_e32 v8, 0x7f800001
	s_and_saveexec_b64 s[94:95], vcc
	s_cbranch_execz .LBB6_7433
; %bb.7432:                             ;   in Loop: Header=BB6_5404 Depth=2
	v_and_b32_e32 v8, 7, v18
	v_lshrrev_b32_e32 v26, 3, v19
	v_cmp_gt_u32_e32 vcc, 8, v19
	v_ffbh_u32_e32 v19, v8
	v_min_u32_e32 v19, 32, v19
	v_subrev_u32_e32 v22, 28, v19
	v_lshlrev_b64 v[22:23], v22, v[18:19]
	v_sub_u32_e32 v19, 29, v19
	v_and_b32_e32 v22, 7, v22
	v_cndmask_b32_e32 v19, v26, v19, vcc
	v_cndmask_b32_e32 v8, v8, v22, vcc
	v_lshlrev_b32_e32 v22, 24, v18
	v_lshlrev_b32_e32 v8, 20, v8
	v_and_b32_e32 v22, 0x80000000, v22
	v_lshl_add_u32 v19, v19, 23, v5
	v_or3_b32 v8, v22, v19, v8
.LBB6_7433:                             ;   in Loop: Header=BB6_5404 Depth=2
	s_or_b64 exec, exec, s[94:95]
.LBB6_7434:                             ;   in Loop: Header=BB6_5404 Depth=2
	s_or_b64 exec, exec, s[92:93]
.LBB6_7435:                             ;   in Loop: Header=BB6_5404 Depth=2
	s_or_b64 exec, exec, s[90:91]
	v_cmp_ne_u16_sdwa s[92:93], v2, v3 src0_sel:BYTE_0 src1_sel:DWORD
	s_and_saveexec_b64 s[90:91], s[92:93]
	s_cbranch_execz .LBB6_7441
; %bb.7436:                             ;   in Loop: Header=BB6_5404 Depth=2
	v_cmp_ne_u16_sdwa s[94:95], v2, s49 src0_sel:BYTE_0 src1_sel:DWORD
	v_bfrev_b32_e32 v9, 1
	s_and_saveexec_b64 s[92:93], s[94:95]
	s_cbranch_execz .LBB6_7440
; %bb.7437:                             ;   in Loop: Header=BB6_5404 Depth=2
	v_bfe_u32 v19, v21, 16, 7
	v_cmp_ne_u32_e32 vcc, s51, v19
	v_mov_b32_e32 v9, 0x7f800001
	s_and_saveexec_b64 s[94:95], vcc
	s_cbranch_execz .LBB6_7439
; %bb.7438:                             ;   in Loop: Header=BB6_5404 Depth=2
	v_and_b32_e32 v9, 7, v2
	v_lshrrev_b32_e32 v26, 3, v19
	v_cmp_gt_u32_e32 vcc, 8, v19
	v_ffbh_u32_e32 v19, v9
	v_min_u32_e32 v19, 32, v19
	v_subrev_u32_e32 v22, 28, v19
	v_lshlrev_b64 v[22:23], v22, v[2:3]
	v_sub_u32_e32 v19, 29, v19
	v_and_b32_e32 v22, 7, v22
	v_cndmask_b32_e32 v19, v26, v19, vcc
	v_cndmask_b32_e32 v9, v9, v22, vcc
	v_lshlrev_b32_e32 v22, 24, v2
	v_lshlrev_b32_e32 v9, 20, v9
	v_and_b32_e32 v22, 0x80000000, v22
	v_lshl_add_u32 v19, v19, 23, v5
	v_or3_b32 v9, v22, v19, v9
.LBB6_7439:                             ;   in Loop: Header=BB6_5404 Depth=2
	s_or_b64 exec, exec, s[94:95]
.LBB6_7440:                             ;   in Loop: Header=BB6_5404 Depth=2
	s_or_b64 exec, exec, s[92:93]
.LBB6_7441:                             ;   in Loop: Header=BB6_5404 Depth=2
	s_or_b64 exec, exec, s[90:91]
	v_max_f32_e32 v9, v9, v9
	v_max_f32_e32 v8, v8, v8
	;; [unrolled: 1-line block ×3, first 2 shown]
	s_mov_b64 s[90:91], 0
.LBB6_7442:                             ;   in Loop: Header=BB6_5404 Depth=2
	s_and_b64 vcc, exec, s[90:91]
	s_cbranch_vccz .LBB6_7456
; %bb.7443:                             ;   in Loop: Header=BB6_5404 Depth=2
	v_mov_b32_e32 v9, 0
	v_mov_b32_e32 v8, 0
	s_and_saveexec_b64 s[90:91], s[20:21]
	s_cbranch_execz .LBB6_7449
; %bb.7444:                             ;   in Loop: Header=BB6_5404 Depth=2
	v_cmp_ne_u16_sdwa s[92:93], v18, s49 src0_sel:BYTE_0 src1_sel:DWORD
	v_bfrev_b32_e32 v8, 1
	s_and_saveexec_b64 s[20:21], s[92:93]
	s_cbranch_execz .LBB6_7448
; %bb.7445:                             ;   in Loop: Header=BB6_5404 Depth=2
	v_bfe_u32 v19, v25, 16, 7
	v_cmp_ne_u32_e32 vcc, s51, v19
	v_mov_b32_e32 v8, 0x7f800001
	s_and_saveexec_b64 s[92:93], vcc
	s_cbranch_execz .LBB6_7447
; %bb.7446:                             ;   in Loop: Header=BB6_5404 Depth=2
	v_and_b32_e32 v8, 7, v18
	v_lshrrev_b32_e32 v26, 3, v19
	v_cmp_gt_u32_e32 vcc, 8, v19
	v_ffbh_u32_e32 v19, v8
	v_min_u32_e32 v19, 32, v19
	v_subrev_u32_e32 v22, 28, v19
	v_lshlrev_b64 v[22:23], v22, v[18:19]
	v_sub_u32_e32 v19, 29, v19
	v_and_b32_e32 v22, 7, v22
	v_cndmask_b32_e32 v19, v26, v19, vcc
	v_cndmask_b32_e32 v8, v8, v22, vcc
	v_lshlrev_b32_e32 v18, 24, v18
	v_lshlrev_b32_e32 v8, 20, v8
	v_and_b32_e32 v18, 0x80000000, v18
	v_lshl_add_u32 v19, v19, 23, v5
	v_or3_b32 v8, v18, v19, v8
.LBB6_7447:                             ;   in Loop: Header=BB6_5404 Depth=2
	s_or_b64 exec, exec, s[92:93]
.LBB6_7448:                             ;   in Loop: Header=BB6_5404 Depth=2
	s_or_b64 exec, exec, s[20:21]
.LBB6_7449:                             ;   in Loop: Header=BB6_5404 Depth=2
	s_or_b64 exec, exec, s[90:91]
	v_cmp_ne_u16_sdwa s[90:91], v2, v3 src0_sel:BYTE_0 src1_sel:DWORD
	s_and_saveexec_b64 s[20:21], s[90:91]
	s_cbranch_execz .LBB6_7455
; %bb.7450:                             ;   in Loop: Header=BB6_5404 Depth=2
	v_cmp_ne_u16_sdwa s[92:93], v2, s49 src0_sel:BYTE_0 src1_sel:DWORD
	v_bfrev_b32_e32 v9, 1
	s_and_saveexec_b64 s[90:91], s[92:93]
	s_cbranch_execz .LBB6_7454
; %bb.7451:                             ;   in Loop: Header=BB6_5404 Depth=2
	v_bfe_u32 v18, v21, 16, 7
	v_cmp_ne_u32_e32 vcc, s51, v18
	v_mov_b32_e32 v9, 0x7f800001
	s_and_saveexec_b64 s[92:93], vcc
	s_cbranch_execz .LBB6_7453
; %bb.7452:                             ;   in Loop: Header=BB6_5404 Depth=2
	v_and_b32_e32 v9, 7, v2
	v_lshrrev_b32_e32 v22, 3, v18
	v_cmp_gt_u32_e32 vcc, 8, v18
	v_ffbh_u32_e32 v18, v9
	v_min_u32_e32 v23, 32, v18
	v_subrev_u32_e32 v18, 28, v23
	v_lshlrev_b64 v[18:19], v18, v[2:3]
	v_sub_u32_e32 v19, 29, v23
	v_and_b32_e32 v18, 7, v18
	v_cndmask_b32_e32 v19, v22, v19, vcc
	v_cndmask_b32_e32 v9, v9, v18, vcc
	v_lshlrev_b32_e32 v2, 24, v2
	v_lshlrev_b32_e32 v9, 20, v9
	v_and_b32_e32 v2, 0x80000000, v2
	v_lshl_add_u32 v18, v19, 23, v5
	v_or3_b32 v9, v2, v18, v9
.LBB6_7453:                             ;   in Loop: Header=BB6_5404 Depth=2
	s_or_b64 exec, exec, s[92:93]
.LBB6_7454:                             ;   in Loop: Header=BB6_5404 Depth=2
	s_or_b64 exec, exec, s[90:91]
.LBB6_7455:                             ;   in Loop: Header=BB6_5404 Depth=2
	s_or_b64 exec, exec, s[20:21]
	v_max_f32_e32 v2, v9, v9
	v_max_f32_e32 v8, v8, v8
	v_min_f32_e32 v19, v8, v2
.LBB6_7456:                             ;   in Loop: Header=BB6_5404 Depth=2
	v_and_b32_e32 v2, 0x7f800000, v19
	v_cmp_ne_u64_e32 vcc, s[62:63], v[2:3]
                                        ; implicit-def: $vgpr8
	s_and_saveexec_b64 s[20:21], vcc
	s_xor_b64 s[90:91], exec, s[20:21]
	s_cbranch_execz .LBB6_7470
; %bb.7457:                             ;   in Loop: Header=BB6_5404 Depth=2
	v_and_b32_e32 v2, 0x7fffffff, v19
	v_cmp_gt_u64_e32 vcc, s[72:73], v[2:3]
	v_and_b32_sdwa v9, v19, s49 dst_sel:DWORD dst_unused:UNUSED_PAD src0_sel:BYTE_3 src1_sel:DWORD
                                        ; implicit-def: $vgpr8
	s_and_saveexec_b64 s[20:21], vcc
	s_xor_b64 s[92:93], exec, s[20:21]
	s_cbranch_execz .LBB6_7467
; %bb.7458:                             ;   in Loop: Header=BB6_5404 Depth=2
	v_mov_b32_e32 v8, 0
	v_cmp_ne_u32_e32 vcc, 0, v19
	s_and_saveexec_b64 s[94:95], vcc
	s_cbranch_execz .LBB6_7466
; %bb.7459:                             ;   in Loop: Header=BB6_5404 Depth=2
	v_bfe_u32 v8, v19, 23, 8
	v_cmp_gt_u32_e64 s[20:21], s53, v8
	v_sub_u32_e32 v18, 0x79, v8
	v_cmp_eq_u32_e32 vcc, 0, v8
	v_cndmask_b32_e64 v18, 0, v18, s[20:21]
	v_mov_b32_e32 v22, 0x78
	v_and_b32_e32 v2, 0x7fffff, v19
	v_cndmask_b32_e32 v26, v18, v22, vcc
	v_or_b32_e32 v19, 0x800000, v2
	v_add_u32_e32 v18, 20, v26
	v_cndmask_b32_e32 v2, v19, v2, vcc
	v_lshlrev_b64 v[18:19], v18, -1
	v_add_u32_e32 v22, 19, v26
	v_lshlrev_b64 v[22:23], v22, 1
	v_bfi_b32 v19, v19, 0, 0
	v_bfi_b32 v18, v18, 0, v2
	v_cmp_eq_u64_e64 s[20:21], v[18:19], v[22:23]
	v_lshrrev_b64 v[18:19], v26, v[2:3]
	v_mov_b32_e32 v23, v19
	v_mov_b32_e32 v22, v18
	s_and_saveexec_b64 s[30:31], s[20:21]
; %bb.7460:                             ;   in Loop: Header=BB6_5404 Depth=2
	v_bfe_u32 v2, v18, 20, 1
	v_add_co_u32_e64 v2, s[20:21], v18, v2
	v_add_co_u32_e64 v22, s[20:21], -1, v2
; %bb.7461:                             ;   in Loop: Header=BB6_5404 Depth=2
	s_or_b64 exec, exec, s[30:31]
	v_add_u32_e32 v2, 0xffffff81, v8
	v_cndmask_b32_e32 v2, v2, v59, vcc
	v_lshrrev_b32_e32 v8, 23, v18
	v_add3_u32 v26, v26, v2, v8
	v_add_u32_e32 v23, 6, v26
	v_and_b32_e32 v2, 0xfffff, v22
	v_add_u32_e32 v2, v2, v18
	v_cmp_ne_u32_e32 vcc, 0, v23
                                        ; implicit-def: $vgpr18_vgpr19
                                        ; implicit-def: $vgpr8
	s_and_saveexec_b64 s[20:21], vcc
	s_xor_b64 s[20:21], exec, s[20:21]
; %bb.7462:                             ;   in Loop: Header=BB6_5404 Depth=2
	v_cmp_lt_u64_e32 vcc, s[74:75], v[2:3]
	v_add_u32_e32 v8, 7, v26
	v_cndmask_b32_e64 v18, 0, 1, vcc
	v_lshrrev_b64 v[18:19], v18, v[2:3]
	v_cndmask_b32_e32 v8, v23, v8, vcc
; %bb.7463:                             ;   in Loop: Header=BB6_5404 Depth=2
	s_andn2_saveexec_b64 s[20:21], s[20:21]
; %bb.7464:                             ;   in Loop: Header=BB6_5404 Depth=2
	v_mov_b32_e32 v19, v3
	v_bfe_u32 v8, v2, 23, 1
	v_mov_b32_e32 v18, v2
; %bb.7465:                             ;   in Loop: Header=BB6_5404 Depth=2
	s_or_b64 exec, exec, s[20:21]
	v_lshrrev_b64 v[18:19], 20, v[18:19]
	v_cmp_gt_i32_e32 vcc, 16, v8
	v_cndmask_b32_e32 v19, 0, v19, vcc
	v_cndmask_b32_e32 v18, 7, v18, vcc
	v_min_i32_e32 v2, 15, v8
	v_cmp_eq_u64_e64 s[20:21], 0, v[18:19]
	v_lshlrev_b32_e32 v2, 3, v2
	v_cmp_eq_u32_e32 vcc, 0, v8
	v_and_b32_e32 v2, 0xf8, v2
	v_and_or_b32 v2, v18, 7, v2
	s_and_b64 s[20:21], vcc, s[20:21]
	v_cndmask_b32_e64 v2, v2, 0, s[20:21]
	v_or_b32_e32 v8, v2, v9
.LBB6_7466:                             ;   in Loop: Header=BB6_5404 Depth=2
	s_or_b64 exec, exec, s[94:95]
                                        ; implicit-def: $vgpr9
.LBB6_7467:                             ;   in Loop: Header=BB6_5404 Depth=2
	s_andn2_saveexec_b64 s[20:21], s[92:93]
; %bb.7468:                             ;   in Loop: Header=BB6_5404 Depth=2
	v_or_b32_e32 v8, 0x7e, v9
; %bb.7469:                             ;   in Loop: Header=BB6_5404 Depth=2
	s_or_b64 exec, exec, s[20:21]
                                        ; implicit-def: $vgpr19
.LBB6_7470:                             ;   in Loop: Header=BB6_5404 Depth=2
	s_andn2_saveexec_b64 s[20:21], s[90:91]
; %bb.7471:                             ;   in Loop: Header=BB6_5404 Depth=2
	v_or_b32_sdwa v8, v19, s51 dst_sel:DWORD dst_unused:UNUSED_PAD src0_sel:BYTE_3 src1_sel:DWORD
; %bb.7472:                             ;   in Loop: Header=BB6_5404 Depth=2
	s_or_b64 exec, exec, s[20:21]
	v_cmp_lt_u64_e64 s[20:21], s[76:77], v[24:25]
	v_lshrrev_b32_e32 v18, 24, v25
	v_lshrrev_b32_e32 v2, 24, v21
	s_and_b64 vcc, exec, s[18:19]
	s_mov_b64 s[90:91], -1
                                        ; implicit-def: $vgpr19
	s_cbranch_vccnz .LBB6_7486
; %bb.7473:                             ;   in Loop: Header=BB6_5404 Depth=2
	v_mov_b32_e32 v19, 0
	v_mov_b32_e32 v9, 0
	s_and_saveexec_b64 s[90:91], s[20:21]
	s_cbranch_execz .LBB6_7479
; %bb.7474:                             ;   in Loop: Header=BB6_5404 Depth=2
	v_cmp_ne_u32_e32 vcc, s49, v18
	v_bfrev_b32_e32 v9, 1
	s_and_saveexec_b64 s[92:93], vcc
	s_cbranch_execz .LBB6_7478
; %bb.7475:                             ;   in Loop: Header=BB6_5404 Depth=2
	v_bfe_u32 v22, v25, 24, 7
	v_cmp_ne_u32_e32 vcc, s51, v22
	v_mov_b32_e32 v9, 0x7f800001
	s_and_saveexec_b64 s[94:95], vcc
	s_cbranch_execz .LBB6_7477
; %bb.7476:                             ;   in Loop: Header=BB6_5404 Depth=2
	v_and_b32_e32 v9, 7, v18
	v_lshrrev_b32_e32 v24, 3, v22
	v_cmp_gt_u32_e32 vcc, 8, v22
	v_ffbh_u32_e32 v22, v9
	v_min_u32_e32 v26, 32, v22
	v_subrev_u32_e32 v22, 28, v26
	v_lshlrev_b64 v[22:23], v22, v[18:19]
	v_sub_u32_e32 v23, 29, v26
	v_and_b32_e32 v22, 7, v22
	v_cndmask_b32_e32 v23, v24, v23, vcc
	v_cndmask_b32_e32 v9, v9, v22, vcc
	v_lshlrev_b32_e32 v22, 24, v18
	v_lshlrev_b32_e32 v9, 20, v9
	v_and_b32_e32 v22, 0x80000000, v22
	v_lshl_add_u32 v23, v23, 23, v5
	v_or3_b32 v9, v22, v23, v9
.LBB6_7477:                             ;   in Loop: Header=BB6_5404 Depth=2
	s_or_b64 exec, exec, s[94:95]
.LBB6_7478:                             ;   in Loop: Header=BB6_5404 Depth=2
	s_or_b64 exec, exec, s[92:93]
.LBB6_7479:                             ;   in Loop: Header=BB6_5404 Depth=2
	s_or_b64 exec, exec, s[90:91]
	v_cmp_lt_u64_e32 vcc, s[76:77], v[20:21]
	s_and_saveexec_b64 s[90:91], vcc
	s_cbranch_execz .LBB6_7485
; %bb.7480:                             ;   in Loop: Header=BB6_5404 Depth=2
	v_cmp_ne_u32_e32 vcc, s49, v2
	v_bfrev_b32_e32 v19, 1
	s_and_saveexec_b64 s[92:93], vcc
	s_cbranch_execz .LBB6_7484
; %bb.7481:                             ;   in Loop: Header=BB6_5404 Depth=2
	v_bfe_u32 v22, v21, 24, 7
	v_cmp_ne_u32_e32 vcc, s51, v22
	v_mov_b32_e32 v19, 0x7f800001
	s_and_saveexec_b64 s[94:95], vcc
	s_cbranch_execz .LBB6_7483
; %bb.7482:                             ;   in Loop: Header=BB6_5404 Depth=2
	v_and_b32_e32 v19, 7, v2
	v_lshrrev_b32_e32 v24, 3, v22
	v_cmp_gt_u32_e32 vcc, 8, v22
	v_ffbh_u32_e32 v22, v19
	v_min_u32_e32 v26, 32, v22
	v_subrev_u32_e32 v22, 28, v26
	v_lshlrev_b64 v[22:23], v22, v[2:3]
	v_sub_u32_e32 v23, 29, v26
	v_and_b32_e32 v22, 7, v22
	v_cndmask_b32_e32 v23, v24, v23, vcc
	v_cndmask_b32_e32 v19, v19, v22, vcc
	v_lshlrev_b32_e32 v22, 24, v2
	v_lshlrev_b32_e32 v19, 20, v19
	v_and_b32_e32 v22, 0x80000000, v22
	v_lshl_add_u32 v23, v23, 23, v5
	v_or3_b32 v19, v22, v23, v19
.LBB6_7483:                             ;   in Loop: Header=BB6_5404 Depth=2
	s_or_b64 exec, exec, s[94:95]
.LBB6_7484:                             ;   in Loop: Header=BB6_5404 Depth=2
	s_or_b64 exec, exec, s[92:93]
.LBB6_7485:                             ;   in Loop: Header=BB6_5404 Depth=2
	s_or_b64 exec, exec, s[90:91]
	v_max_f32_e32 v19, v19, v19
	v_max_f32_e32 v9, v9, v9
	;; [unrolled: 1-line block ×3, first 2 shown]
	s_mov_b64 s[90:91], 0
.LBB6_7486:                             ;   in Loop: Header=BB6_5404 Depth=2
	s_and_b64 vcc, exec, s[90:91]
	s_cbranch_vccz .LBB6_7500
; %bb.7487:                             ;   in Loop: Header=BB6_5404 Depth=2
	v_mov_b32_e32 v19, 0
	v_mov_b32_e32 v9, 0
	s_and_saveexec_b64 s[90:91], s[20:21]
	s_cbranch_execz .LBB6_7493
; %bb.7488:                             ;   in Loop: Header=BB6_5404 Depth=2
	v_cmp_ne_u32_e32 vcc, s49, v18
	v_bfrev_b32_e32 v9, 1
	s_and_saveexec_b64 s[20:21], vcc
	s_cbranch_execz .LBB6_7492
; %bb.7489:                             ;   in Loop: Header=BB6_5404 Depth=2
	v_bfe_u32 v22, v25, 24, 7
	v_cmp_ne_u32_e32 vcc, s51, v22
	v_mov_b32_e32 v9, 0x7f800001
	s_and_saveexec_b64 s[92:93], vcc
	s_cbranch_execz .LBB6_7491
; %bb.7490:                             ;   in Loop: Header=BB6_5404 Depth=2
	v_and_b32_e32 v9, 7, v18
	v_lshrrev_b32_e32 v24, 3, v22
	v_cmp_gt_u32_e32 vcc, 8, v22
	v_ffbh_u32_e32 v22, v9
	v_min_u32_e32 v25, 32, v22
	v_subrev_u32_e32 v22, 28, v25
	v_lshlrev_b64 v[22:23], v22, v[18:19]
	v_sub_u32_e32 v23, 29, v25
	v_and_b32_e32 v22, 7, v22
	v_cndmask_b32_e32 v23, v24, v23, vcc
	v_cndmask_b32_e32 v9, v9, v22, vcc
	v_lshlrev_b32_e32 v18, 24, v18
	v_lshlrev_b32_e32 v9, 20, v9
	v_and_b32_e32 v18, 0x80000000, v18
	v_lshl_add_u32 v22, v23, 23, v5
	v_or3_b32 v9, v18, v22, v9
.LBB6_7491:                             ;   in Loop: Header=BB6_5404 Depth=2
	s_or_b64 exec, exec, s[92:93]
.LBB6_7492:                             ;   in Loop: Header=BB6_5404 Depth=2
	s_or_b64 exec, exec, s[20:21]
.LBB6_7493:                             ;   in Loop: Header=BB6_5404 Depth=2
	s_or_b64 exec, exec, s[90:91]
	v_cmp_lt_u64_e32 vcc, s[76:77], v[20:21]
	s_and_saveexec_b64 s[20:21], vcc
	s_cbranch_execz .LBB6_7499
; %bb.7494:                             ;   in Loop: Header=BB6_5404 Depth=2
	v_cmp_ne_u32_e32 vcc, s49, v2
	v_bfrev_b32_e32 v19, 1
	s_and_saveexec_b64 s[90:91], vcc
	s_cbranch_execz .LBB6_7498
; %bb.7495:                             ;   in Loop: Header=BB6_5404 Depth=2
	v_bfe_u32 v18, v21, 24, 7
	v_cmp_ne_u32_e32 vcc, s51, v18
	v_mov_b32_e32 v19, 0x7f800001
	s_and_saveexec_b64 s[92:93], vcc
	s_cbranch_execz .LBB6_7497
; %bb.7496:                             ;   in Loop: Header=BB6_5404 Depth=2
	v_and_b32_e32 v20, 7, v2
	v_lshrrev_b32_e32 v21, 3, v18
	v_cmp_gt_u32_e32 vcc, 8, v18
	v_ffbh_u32_e32 v18, v20
	v_min_u32_e32 v22, 32, v18
	v_subrev_u32_e32 v18, 28, v22
	v_lshlrev_b64 v[18:19], v18, v[2:3]
	v_sub_u32_e32 v19, 29, v22
	v_and_b32_e32 v18, 7, v18
	v_cndmask_b32_e32 v19, v21, v19, vcc
	v_cndmask_b32_e32 v18, v20, v18, vcc
	v_lshlrev_b32_e32 v2, 24, v2
	v_lshlrev_b32_e32 v18, 20, v18
	v_and_b32_e32 v2, 0x80000000, v2
	v_lshl_add_u32 v19, v19, 23, v5
	v_or3_b32 v19, v2, v19, v18
.LBB6_7497:                             ;   in Loop: Header=BB6_5404 Depth=2
	s_or_b64 exec, exec, s[92:93]
.LBB6_7498:                             ;   in Loop: Header=BB6_5404 Depth=2
	s_or_b64 exec, exec, s[90:91]
.LBB6_7499:                             ;   in Loop: Header=BB6_5404 Depth=2
	s_or_b64 exec, exec, s[20:21]
	v_max_f32_e32 v2, v19, v19
	v_max_f32_e32 v9, v9, v9
	v_min_f32_e32 v19, v9, v2
.LBB6_7500:                             ;   in Loop: Header=BB6_5404 Depth=2
	v_and_b32_e32 v2, 0x7f800000, v19
	v_cmp_ne_u64_e32 vcc, s[62:63], v[2:3]
                                        ; implicit-def: $vgpr9
	s_and_saveexec_b64 s[20:21], vcc
	s_xor_b64 s[90:91], exec, s[20:21]
	s_cbranch_execz .LBB6_7514
; %bb.7501:                             ;   in Loop: Header=BB6_5404 Depth=2
	v_and_b32_e32 v2, 0x7fffffff, v19
	v_cmp_gt_u64_e32 vcc, s[72:73], v[2:3]
	v_and_b32_sdwa v21, v19, s49 dst_sel:DWORD dst_unused:UNUSED_PAD src0_sel:BYTE_3 src1_sel:DWORD
                                        ; implicit-def: $vgpr9
	s_and_saveexec_b64 s[20:21], vcc
	s_xor_b64 s[92:93], exec, s[20:21]
	s_cbranch_execz .LBB6_7511
; %bb.7502:                             ;   in Loop: Header=BB6_5404 Depth=2
	v_mov_b32_e32 v9, 0
	v_cmp_ne_u32_e32 vcc, 0, v19
	s_and_saveexec_b64 s[94:95], vcc
	s_cbranch_execz .LBB6_7510
; %bb.7503:                             ;   in Loop: Header=BB6_5404 Depth=2
	v_bfe_u32 v9, v19, 23, 8
	v_cmp_gt_u32_e64 s[20:21], s53, v9
	v_sub_u32_e32 v18, 0x79, v9
	v_cmp_eq_u32_e32 vcc, 0, v9
	v_cndmask_b32_e64 v18, 0, v18, s[20:21]
	v_mov_b32_e32 v20, 0x78
	v_and_b32_e32 v2, 0x7fffff, v19
	v_cndmask_b32_e32 v22, v18, v20, vcc
	v_or_b32_e32 v19, 0x800000, v2
	v_add_u32_e32 v18, 20, v22
	v_cndmask_b32_e32 v2, v19, v2, vcc
	v_lshlrev_b64 v[18:19], v18, -1
	v_add_u32_e32 v20, 19, v22
	v_lshlrev_b64 v[23:24], v20, 1
	v_bfi_b32 v19, v19, 0, 0
	v_bfi_b32 v18, v18, 0, v2
	v_cmp_eq_u64_e64 s[20:21], v[18:19], v[23:24]
	v_lshrrev_b64 v[18:19], v22, v[2:3]
	v_mov_b32_e32 v20, v19
	v_mov_b32_e32 v19, v18
	s_and_saveexec_b64 s[30:31], s[20:21]
; %bb.7504:                             ;   in Loop: Header=BB6_5404 Depth=2
	v_bfe_u32 v2, v18, 20, 1
	v_add_co_u32_e64 v2, s[20:21], v18, v2
	v_add_co_u32_e64 v19, s[20:21], -1, v2
; %bb.7505:                             ;   in Loop: Header=BB6_5404 Depth=2
	s_or_b64 exec, exec, s[30:31]
	v_add_u32_e32 v2, 0xffffff81, v9
	v_cndmask_b32_e32 v2, v2, v59, vcc
	v_lshrrev_b32_e32 v9, 23, v18
	v_add3_u32 v22, v22, v2, v9
	v_add_u32_e32 v20, 6, v22
	v_and_b32_e32 v2, 0xfffff, v19
	v_add_u32_e32 v2, v2, v18
	v_cmp_ne_u32_e32 vcc, 0, v20
                                        ; implicit-def: $vgpr18_vgpr19
                                        ; implicit-def: $vgpr9
	s_and_saveexec_b64 s[20:21], vcc
	s_xor_b64 s[20:21], exec, s[20:21]
; %bb.7506:                             ;   in Loop: Header=BB6_5404 Depth=2
	v_cmp_lt_u64_e32 vcc, s[74:75], v[2:3]
	v_add_u32_e32 v9, 7, v22
	v_cndmask_b32_e64 v18, 0, 1, vcc
	v_lshrrev_b64 v[18:19], v18, v[2:3]
	v_cndmask_b32_e32 v9, v20, v9, vcc
; %bb.7507:                             ;   in Loop: Header=BB6_5404 Depth=2
	s_andn2_saveexec_b64 s[20:21], s[20:21]
; %bb.7508:                             ;   in Loop: Header=BB6_5404 Depth=2
	v_mov_b32_e32 v19, v3
	v_bfe_u32 v9, v2, 23, 1
	v_mov_b32_e32 v18, v2
; %bb.7509:                             ;   in Loop: Header=BB6_5404 Depth=2
	s_or_b64 exec, exec, s[20:21]
	v_lshrrev_b64 v[18:19], 20, v[18:19]
	v_cmp_gt_i32_e32 vcc, 16, v9
	v_cndmask_b32_e32 v19, 0, v19, vcc
	v_cndmask_b32_e32 v18, 7, v18, vcc
	v_min_i32_e32 v2, 15, v9
	v_cmp_eq_u64_e64 s[20:21], 0, v[18:19]
	v_lshlrev_b32_e32 v2, 3, v2
	v_cmp_eq_u32_e32 vcc, 0, v9
	v_and_b32_e32 v2, 0xf8, v2
	v_and_or_b32 v2, v18, 7, v2
	s_and_b64 s[20:21], vcc, s[20:21]
	v_cndmask_b32_e64 v2, v2, 0, s[20:21]
	v_or_b32_e32 v9, v2, v21
.LBB6_7510:                             ;   in Loop: Header=BB6_5404 Depth=2
	s_or_b64 exec, exec, s[94:95]
                                        ; implicit-def: $vgpr21
.LBB6_7511:                             ;   in Loop: Header=BB6_5404 Depth=2
	s_andn2_saveexec_b64 s[20:21], s[92:93]
; %bb.7512:                             ;   in Loop: Header=BB6_5404 Depth=2
	v_or_b32_e32 v9, 0x7e, v21
; %bb.7513:                             ;   in Loop: Header=BB6_5404 Depth=2
	s_or_b64 exec, exec, s[20:21]
                                        ; implicit-def: $vgpr19
.LBB6_7514:                             ;   in Loop: Header=BB6_5404 Depth=2
	s_andn2_saveexec_b64 s[20:21], s[90:91]
; %bb.7515:                             ;   in Loop: Header=BB6_5404 Depth=2
	v_or_b32_sdwa v9, v19, s51 dst_sel:DWORD dst_unused:UNUSED_PAD src0_sel:BYTE_3 src1_sel:DWORD
; %bb.7516:                             ;   in Loop: Header=BB6_5404 Depth=2
	s_or_b64 exec, exec, s[20:21]
	v_cmp_ne_u16_sdwa s[20:21], v14, v3 src0_sel:BYTE_0 src1_sel:DWORD
	s_and_b64 vcc, exec, s[18:19]
	s_mov_b64 s[90:91], -1
                                        ; implicit-def: $vgpr18
	s_cbranch_vccnz .LBB6_7530
; %bb.7517:                             ;   in Loop: Header=BB6_5404 Depth=2
	v_mov_b32_e32 v18, 0
	v_mov_b32_e32 v2, 0
	s_and_saveexec_b64 s[90:91], s[20:21]
	s_cbranch_execz .LBB6_7523
; %bb.7518:                             ;   in Loop: Header=BB6_5404 Depth=2
	v_cmp_ne_u16_sdwa s[94:95], v14, s49 src0_sel:BYTE_0 src1_sel:DWORD
	v_bfrev_b32_e32 v2, 1
	s_and_saveexec_b64 s[92:93], s[94:95]
	s_cbranch_execz .LBB6_7522
; %bb.7519:                             ;   in Loop: Header=BB6_5404 Depth=2
	v_and_b32_e32 v19, 0x7f, v14
	v_cmp_ne_u32_e32 vcc, s51, v19
	v_mov_b32_e32 v2, 0x7f800001
	s_and_saveexec_b64 s[94:95], vcc
	s_cbranch_execz .LBB6_7521
; %bb.7520:                             ;   in Loop: Header=BB6_5404 Depth=2
	v_and_b32_e32 v2, 7, v14
	v_ffbh_u32_e32 v2, v2
	v_min_u32_e32 v2, 32, v2
	v_lshrrev_b32_e32 v20, 3, v19
	v_cmp_gt_u32_e32 vcc, 8, v19
	v_subrev_u32_e32 v19, 28, v2
	v_sub_u32_e32 v2, 29, v2
	v_cndmask_b32_e32 v19, 0, v19, vcc
	v_cndmask_b32_e32 v2, v20, v2, vcc
	v_lshlrev_b64 v[19:20], v19, v[14:15]
	v_lshlrev_b32_e32 v20, 24, v14
	v_lshlrev_b32_e32 v19, 20, v19
	v_and_b32_e32 v19, 0x700000, v19
	v_and_b32_e32 v20, 0x80000000, v20
	v_lshl_add_u32 v2, v2, 23, v5
	v_or3_b32 v2, v20, v2, v19
.LBB6_7521:                             ;   in Loop: Header=BB6_5404 Depth=2
	s_or_b64 exec, exec, s[94:95]
.LBB6_7522:                             ;   in Loop: Header=BB6_5404 Depth=2
	s_or_b64 exec, exec, s[92:93]
.LBB6_7523:                             ;   in Loop: Header=BB6_5404 Depth=2
	s_or_b64 exec, exec, s[90:91]
	s_waitcnt vmcnt(7)
	v_cmp_ne_u16_sdwa s[92:93], v10, v3 src0_sel:BYTE_0 src1_sel:DWORD
	s_and_saveexec_b64 s[90:91], s[92:93]
	s_cbranch_execz .LBB6_7529
; %bb.7524:                             ;   in Loop: Header=BB6_5404 Depth=2
	v_cmp_ne_u16_sdwa s[94:95], v10, s49 src0_sel:BYTE_0 src1_sel:DWORD
	v_bfrev_b32_e32 v18, 1
	s_and_saveexec_b64 s[92:93], s[94:95]
	s_cbranch_execz .LBB6_7528
; %bb.7525:                             ;   in Loop: Header=BB6_5404 Depth=2
	v_and_b32_e32 v19, 0x7f, v10
	v_cmp_ne_u32_e32 vcc, s51, v19
	v_mov_b32_e32 v18, 0x7f800001
	s_and_saveexec_b64 s[94:95], vcc
	s_cbranch_execz .LBB6_7527
; %bb.7526:                             ;   in Loop: Header=BB6_5404 Depth=2
	v_and_b32_e32 v18, 7, v10
	v_ffbh_u32_e32 v18, v18
	v_min_u32_e32 v18, 32, v18
	v_lshrrev_b32_e32 v20, 3, v19
	v_cmp_gt_u32_e32 vcc, 8, v19
	v_subrev_u32_e32 v19, 28, v18
	v_sub_u32_e32 v18, 29, v18
	v_cndmask_b32_e32 v20, v20, v18, vcc
	v_cndmask_b32_e32 v18, 0, v19, vcc
	v_lshlrev_b64 v[18:19], v18, v[10:11]
	v_lshlrev_b32_e32 v19, 24, v10
	v_lshlrev_b32_e32 v18, 20, v18
	v_and_b32_e32 v18, 0x700000, v18
	v_and_b32_e32 v19, 0x80000000, v19
	v_lshl_add_u32 v20, v20, 23, v5
	v_or3_b32 v18, v19, v20, v18
.LBB6_7527:                             ;   in Loop: Header=BB6_5404 Depth=2
	s_or_b64 exec, exec, s[94:95]
.LBB6_7528:                             ;   in Loop: Header=BB6_5404 Depth=2
	s_or_b64 exec, exec, s[92:93]
.LBB6_7529:                             ;   in Loop: Header=BB6_5404 Depth=2
	s_or_b64 exec, exec, s[90:91]
	v_max_f32_e32 v18, v18, v18
	v_max_f32_e32 v2, v2, v2
	;; [unrolled: 1-line block ×3, first 2 shown]
	s_mov_b64 s[90:91], 0
.LBB6_7530:                             ;   in Loop: Header=BB6_5404 Depth=2
	s_and_b64 vcc, exec, s[90:91]
	s_cbranch_vccz .LBB6_7544
; %bb.7531:                             ;   in Loop: Header=BB6_5404 Depth=2
	v_mov_b32_e32 v18, 0
	v_mov_b32_e32 v2, 0
	s_and_saveexec_b64 s[90:91], s[20:21]
	s_cbranch_execz .LBB6_7537
; %bb.7532:                             ;   in Loop: Header=BB6_5404 Depth=2
	v_cmp_ne_u16_sdwa s[92:93], v14, s49 src0_sel:BYTE_0 src1_sel:DWORD
	v_bfrev_b32_e32 v2, 1
	s_and_saveexec_b64 s[20:21], s[92:93]
	s_cbranch_execz .LBB6_7536
; %bb.7533:                             ;   in Loop: Header=BB6_5404 Depth=2
	v_and_b32_e32 v19, 0x7f, v14
	v_cmp_ne_u32_e32 vcc, s51, v19
	v_mov_b32_e32 v2, 0x7f800001
	s_and_saveexec_b64 s[92:93], vcc
	s_cbranch_execz .LBB6_7535
; %bb.7534:                             ;   in Loop: Header=BB6_5404 Depth=2
	v_and_b32_e32 v2, 7, v14
	v_ffbh_u32_e32 v2, v2
	v_min_u32_e32 v2, 32, v2
	v_lshrrev_b32_e32 v20, 3, v19
	v_cmp_gt_u32_e32 vcc, 8, v19
	v_subrev_u32_e32 v19, 28, v2
	v_sub_u32_e32 v2, 29, v2
	v_cndmask_b32_e32 v19, 0, v19, vcc
	v_cndmask_b32_e32 v2, v20, v2, vcc
	v_lshlrev_b64 v[19:20], v19, v[14:15]
	v_lshlrev_b32_e32 v20, 24, v14
	v_lshlrev_b32_e32 v19, 20, v19
	v_and_b32_e32 v19, 0x700000, v19
	v_and_b32_e32 v20, 0x80000000, v20
	v_lshl_add_u32 v2, v2, 23, v5
	v_or3_b32 v2, v20, v2, v19
.LBB6_7535:                             ;   in Loop: Header=BB6_5404 Depth=2
	s_or_b64 exec, exec, s[92:93]
.LBB6_7536:                             ;   in Loop: Header=BB6_5404 Depth=2
	s_or_b64 exec, exec, s[20:21]
.LBB6_7537:                             ;   in Loop: Header=BB6_5404 Depth=2
	s_or_b64 exec, exec, s[90:91]
	s_waitcnt vmcnt(7)
	v_cmp_ne_u16_sdwa s[90:91], v10, v3 src0_sel:BYTE_0 src1_sel:DWORD
	s_and_saveexec_b64 s[20:21], s[90:91]
	s_cbranch_execz .LBB6_7543
; %bb.7538:                             ;   in Loop: Header=BB6_5404 Depth=2
	v_cmp_ne_u16_sdwa s[92:93], v10, s49 src0_sel:BYTE_0 src1_sel:DWORD
	v_bfrev_b32_e32 v18, 1
	s_and_saveexec_b64 s[90:91], s[92:93]
	s_cbranch_execz .LBB6_7542
; %bb.7539:                             ;   in Loop: Header=BB6_5404 Depth=2
	v_and_b32_e32 v19, 0x7f, v10
	v_cmp_ne_u32_e32 vcc, s51, v19
	v_mov_b32_e32 v18, 0x7f800001
	s_and_saveexec_b64 s[92:93], vcc
	s_cbranch_execz .LBB6_7541
; %bb.7540:                             ;   in Loop: Header=BB6_5404 Depth=2
	v_and_b32_e32 v18, 7, v10
	v_ffbh_u32_e32 v18, v18
	v_min_u32_e32 v18, 32, v18
	v_lshrrev_b32_e32 v20, 3, v19
	v_cmp_gt_u32_e32 vcc, 8, v19
	v_subrev_u32_e32 v19, 28, v18
	v_sub_u32_e32 v18, 29, v18
	v_cndmask_b32_e32 v20, v20, v18, vcc
	v_cndmask_b32_e32 v18, 0, v19, vcc
	v_lshlrev_b64 v[18:19], v18, v[10:11]
	v_lshlrev_b32_e32 v19, 24, v10
	v_lshlrev_b32_e32 v18, 20, v18
	v_and_b32_e32 v18, 0x700000, v18
	v_and_b32_e32 v19, 0x80000000, v19
	v_lshl_add_u32 v20, v20, 23, v5
	v_or3_b32 v18, v19, v20, v18
.LBB6_7541:                             ;   in Loop: Header=BB6_5404 Depth=2
	s_or_b64 exec, exec, s[92:93]
.LBB6_7542:                             ;   in Loop: Header=BB6_5404 Depth=2
	s_or_b64 exec, exec, s[90:91]
.LBB6_7543:                             ;   in Loop: Header=BB6_5404 Depth=2
	s_or_b64 exec, exec, s[20:21]
	v_max_f32_e32 v18, v18, v18
	v_max_f32_e32 v2, v2, v2
	v_min_f32_e32 v18, v2, v18
.LBB6_7544:                             ;   in Loop: Header=BB6_5404 Depth=2
	v_and_b32_e32 v2, 0x7f800000, v18
	v_cmp_ne_u64_e32 vcc, s[62:63], v[2:3]
                                        ; implicit-def: $vgpr22
	s_and_saveexec_b64 s[20:21], vcc
	s_xor_b64 s[90:91], exec, s[20:21]
	s_cbranch_execz .LBB6_7558
; %bb.7545:                             ;   in Loop: Header=BB6_5404 Depth=2
	v_and_b32_e32 v2, 0x7fffffff, v18
	v_cmp_gt_u64_e32 vcc, s[72:73], v[2:3]
	v_and_b32_sdwa v21, v18, s49 dst_sel:DWORD dst_unused:UNUSED_PAD src0_sel:BYTE_3 src1_sel:DWORD
                                        ; implicit-def: $vgpr22
	s_and_saveexec_b64 s[20:21], vcc
	s_xor_b64 s[92:93], exec, s[20:21]
	s_cbranch_execz .LBB6_7555
; %bb.7546:                             ;   in Loop: Header=BB6_5404 Depth=2
	v_mov_b32_e32 v22, 0
	v_cmp_ne_u32_e32 vcc, 0, v18
	s_and_saveexec_b64 s[94:95], vcc
	s_cbranch_execz .LBB6_7554
; %bb.7547:                             ;   in Loop: Header=BB6_5404 Depth=2
	v_bfe_u32 v22, v18, 23, 8
	v_and_b32_e32 v2, 0x7fffff, v18
	v_cmp_gt_u32_e64 s[20:21], s53, v22
	v_sub_u32_e32 v18, 0x79, v22
	v_cmp_eq_u32_e32 vcc, 0, v22
	v_cndmask_b32_e64 v18, 0, v18, s[20:21]
	v_mov_b32_e32 v20, 0x78
	v_cndmask_b32_e32 v23, v18, v20, vcc
	v_or_b32_e32 v19, 0x800000, v2
	v_add_u32_e32 v18, 20, v23
	v_cndmask_b32_e32 v2, v19, v2, vcc
	v_lshlrev_b64 v[18:19], v18, -1
	v_add_u32_e32 v20, 19, v23
	v_lshlrev_b64 v[24:25], v20, 1
	v_bfi_b32 v19, v19, 0, 0
	v_bfi_b32 v18, v18, 0, v2
	v_cmp_eq_u64_e64 s[20:21], v[18:19], v[24:25]
	v_lshrrev_b64 v[18:19], v23, v[2:3]
	v_mov_b32_e32 v20, v19
	v_mov_b32_e32 v19, v18
	s_and_saveexec_b64 s[30:31], s[20:21]
; %bb.7548:                             ;   in Loop: Header=BB6_5404 Depth=2
	v_bfe_u32 v2, v18, 20, 1
	v_add_co_u32_e64 v2, s[20:21], v18, v2
	v_add_co_u32_e64 v19, s[20:21], -1, v2
; %bb.7549:                             ;   in Loop: Header=BB6_5404 Depth=2
	s_or_b64 exec, exec, s[30:31]
	v_add_u32_e32 v2, 0xffffff81, v22
	v_cndmask_b32_e32 v2, v2, v59, vcc
	v_lshrrev_b32_e32 v20, 23, v18
	v_add3_u32 v23, v23, v2, v20
	v_add_u32_e32 v22, 6, v23
	v_and_b32_e32 v2, 0xfffff, v19
	v_add_u32_e32 v2, v2, v18
	v_cmp_ne_u32_e32 vcc, 0, v22
                                        ; implicit-def: $vgpr18_vgpr19
                                        ; implicit-def: $vgpr20
	s_and_saveexec_b64 s[20:21], vcc
	s_xor_b64 s[20:21], exec, s[20:21]
; %bb.7550:                             ;   in Loop: Header=BB6_5404 Depth=2
	v_cmp_lt_u64_e32 vcc, s[74:75], v[2:3]
	v_add_u32_e32 v18, 7, v23
	v_cndmask_b32_e32 v20, v22, v18, vcc
	v_cndmask_b32_e64 v18, 0, 1, vcc
	v_lshrrev_b64 v[18:19], v18, v[2:3]
; %bb.7551:                             ;   in Loop: Header=BB6_5404 Depth=2
	s_andn2_saveexec_b64 s[20:21], s[20:21]
; %bb.7552:                             ;   in Loop: Header=BB6_5404 Depth=2
	v_mov_b32_e32 v19, v3
	v_bfe_u32 v20, v2, 23, 1
	v_mov_b32_e32 v18, v2
; %bb.7553:                             ;   in Loop: Header=BB6_5404 Depth=2
	s_or_b64 exec, exec, s[20:21]
	v_lshrrev_b64 v[18:19], 20, v[18:19]
	v_cmp_gt_i32_e32 vcc, 16, v20
	v_cndmask_b32_e32 v19, 0, v19, vcc
	v_cndmask_b32_e32 v18, 7, v18, vcc
	v_min_i32_e32 v2, 15, v20
	v_cmp_eq_u64_e64 s[20:21], 0, v[18:19]
	v_lshlrev_b32_e32 v2, 3, v2
	v_cmp_eq_u32_e32 vcc, 0, v20
	v_and_b32_e32 v2, 0xf8, v2
	v_and_or_b32 v2, v18, 7, v2
	s_and_b64 s[20:21], vcc, s[20:21]
	v_cndmask_b32_e64 v2, v2, 0, s[20:21]
	v_or_b32_e32 v22, v2, v21
.LBB6_7554:                             ;   in Loop: Header=BB6_5404 Depth=2
	s_or_b64 exec, exec, s[94:95]
                                        ; implicit-def: $vgpr21
.LBB6_7555:                             ;   in Loop: Header=BB6_5404 Depth=2
	s_andn2_saveexec_b64 s[20:21], s[92:93]
; %bb.7556:                             ;   in Loop: Header=BB6_5404 Depth=2
	v_or_b32_e32 v22, 0x7e, v21
; %bb.7557:                             ;   in Loop: Header=BB6_5404 Depth=2
	s_or_b64 exec, exec, s[20:21]
                                        ; implicit-def: $vgpr18
.LBB6_7558:                             ;   in Loop: Header=BB6_5404 Depth=2
	s_andn2_saveexec_b64 s[20:21], s[90:91]
; %bb.7559:                             ;   in Loop: Header=BB6_5404 Depth=2
	v_or_b32_sdwa v22, v18, s51 dst_sel:DWORD dst_unused:UNUSED_PAD src0_sel:BYTE_3 src1_sel:DWORD
; %bb.7560:                             ;   in Loop: Header=BB6_5404 Depth=2
	s_or_b64 exec, exec, s[20:21]
	v_lshrrev_b16_e32 v18, 8, v14
	s_waitcnt vmcnt(7)
	v_lshrrev_b16_e32 v2, 8, v10
	v_cmp_ne_u16_e64 s[20:21], 0, v18
	s_and_b64 vcc, exec, s[18:19]
	s_mov_b64 s[90:91], -1
                                        ; implicit-def: $vgpr19
	s_cbranch_vccnz .LBB6_7574
; %bb.7561:                             ;   in Loop: Header=BB6_5404 Depth=2
	v_mov_b32_e32 v20, 0
	v_mov_b32_e32 v19, 0
	s_and_saveexec_b64 s[90:91], s[20:21]
	s_cbranch_execz .LBB6_7567
; %bb.7562:                             ;   in Loop: Header=BB6_5404 Depth=2
	v_cmp_ne_u16_e32 vcc, s49, v18
	v_bfrev_b32_e32 v19, 1
	s_and_saveexec_b64 s[92:93], vcc
	s_cbranch_execz .LBB6_7566
; %bb.7563:                             ;   in Loop: Header=BB6_5404 Depth=2
	v_and_b32_e32 v21, 0x7f, v18
	v_cmp_ne_u32_e32 vcc, s51, v21
	v_mov_b32_e32 v19, 0x7f800001
	s_and_saveexec_b64 s[94:95], vcc
	s_cbranch_execz .LBB6_7565
; %bb.7564:                             ;   in Loop: Header=BB6_5404 Depth=2
	v_and_b32_e32 v19, 7, v18
	v_lshrrev_b32_e32 v25, 3, v21
	v_cmp_gt_u32_e32 vcc, 8, v21
	v_ffbh_u32_e32 v21, v19
	v_min_u32_e32 v21, 32, v21
	v_subrev_u32_e32 v23, 28, v21
	v_lshlrev_b64 v[23:24], v23, v[18:19]
	v_sub_u32_e32 v21, 29, v21
	v_and_b32_e32 v23, 7, v23
	v_cndmask_b32_e32 v21, v25, v21, vcc
	v_cndmask_b32_e32 v19, v19, v23, vcc
	v_lshlrev_b32_e32 v23, 16, v14
	v_lshlrev_b32_e32 v19, 20, v19
	v_and_b32_e32 v23, 0x80000000, v23
	v_lshl_add_u32 v21, v21, 23, v5
	v_or3_b32 v19, v23, v21, v19
.LBB6_7565:                             ;   in Loop: Header=BB6_5404 Depth=2
	s_or_b64 exec, exec, s[94:95]
.LBB6_7566:                             ;   in Loop: Header=BB6_5404 Depth=2
	s_or_b64 exec, exec, s[92:93]
.LBB6_7567:                             ;   in Loop: Header=BB6_5404 Depth=2
	s_or_b64 exec, exec, s[90:91]
	v_cmp_ne_u16_e32 vcc, 0, v2
	s_and_saveexec_b64 s[90:91], vcc
	s_cbranch_execz .LBB6_7573
; %bb.7568:                             ;   in Loop: Header=BB6_5404 Depth=2
	v_cmp_ne_u16_e32 vcc, s49, v2
	v_bfrev_b32_e32 v20, 1
	s_and_saveexec_b64 s[92:93], vcc
	s_cbranch_execz .LBB6_7572
; %bb.7569:                             ;   in Loop: Header=BB6_5404 Depth=2
	v_and_b32_e32 v21, 0x7f, v2
	v_cmp_ne_u32_e32 vcc, s51, v21
	v_mov_b32_e32 v20, 0x7f800001
	s_and_saveexec_b64 s[94:95], vcc
	s_cbranch_execz .LBB6_7571
; %bb.7570:                             ;   in Loop: Header=BB6_5404 Depth=2
	v_and_b32_e32 v23, 7, v2
	v_ffbh_u32_e32 v20, v23
	v_min_u32_e32 v25, 32, v20
	v_subrev_u32_e32 v20, 28, v25
	v_lshrrev_b32_e32 v24, 3, v21
	v_cmp_gt_u32_e32 vcc, 8, v21
	v_lshlrev_b64 v[20:21], v20, v[2:3]
	v_sub_u32_e32 v21, 29, v25
	v_and_b32_e32 v20, 7, v20
	v_cndmask_b32_e32 v21, v24, v21, vcc
	v_cndmask_b32_e32 v20, v23, v20, vcc
	v_lshlrev_b32_e32 v23, 16, v10
	v_lshlrev_b32_e32 v20, 20, v20
	v_and_b32_e32 v23, 0x80000000, v23
	v_lshl_add_u32 v21, v21, 23, v5
	v_or3_b32 v20, v23, v21, v20
.LBB6_7571:                             ;   in Loop: Header=BB6_5404 Depth=2
	s_or_b64 exec, exec, s[94:95]
.LBB6_7572:                             ;   in Loop: Header=BB6_5404 Depth=2
	s_or_b64 exec, exec, s[92:93]
.LBB6_7573:                             ;   in Loop: Header=BB6_5404 Depth=2
	s_or_b64 exec, exec, s[90:91]
	v_max_f32_e32 v20, v20, v20
	v_max_f32_e32 v19, v19, v19
	;; [unrolled: 1-line block ×3, first 2 shown]
	s_mov_b64 s[90:91], 0
.LBB6_7574:                             ;   in Loop: Header=BB6_5404 Depth=2
	s_and_b64 vcc, exec, s[90:91]
	s_cbranch_vccz .LBB6_7588
; %bb.7575:                             ;   in Loop: Header=BB6_5404 Depth=2
	v_mov_b32_e32 v20, 0
	v_mov_b32_e32 v19, 0
	s_and_saveexec_b64 s[90:91], s[20:21]
	s_cbranch_execz .LBB6_7581
; %bb.7576:                             ;   in Loop: Header=BB6_5404 Depth=2
	v_cmp_ne_u16_e32 vcc, s49, v18
	v_bfrev_b32_e32 v19, 1
	s_and_saveexec_b64 s[20:21], vcc
	s_cbranch_execz .LBB6_7580
; %bb.7577:                             ;   in Loop: Header=BB6_5404 Depth=2
	v_and_b32_e32 v21, 0x7f, v18
	v_cmp_ne_u32_e32 vcc, s51, v21
	v_mov_b32_e32 v19, 0x7f800001
	s_and_saveexec_b64 s[92:93], vcc
	s_cbranch_execz .LBB6_7579
; %bb.7578:                             ;   in Loop: Header=BB6_5404 Depth=2
	v_and_b32_e32 v23, 7, v18
	v_ffbh_u32_e32 v19, v23
	v_lshrrev_b32_e32 v24, 3, v21
	v_cmp_gt_u32_e32 vcc, 8, v21
	v_min_u32_e32 v21, 32, v19
	v_subrev_u32_e32 v19, 28, v21
	v_lshlrev_b64 v[18:19], v19, v[18:19]
	v_sub_u32_e32 v19, 29, v21
	v_and_b32_e32 v18, 7, v18
	v_cndmask_b32_e32 v19, v24, v19, vcc
	v_cndmask_b32_e32 v18, v23, v18, vcc
	v_lshlrev_b32_e32 v21, 16, v14
	v_lshlrev_b32_e32 v18, 20, v18
	v_and_b32_e32 v21, 0x80000000, v21
	v_lshl_add_u32 v19, v19, 23, v5
	v_or3_b32 v19, v21, v19, v18
.LBB6_7579:                             ;   in Loop: Header=BB6_5404 Depth=2
	s_or_b64 exec, exec, s[92:93]
.LBB6_7580:                             ;   in Loop: Header=BB6_5404 Depth=2
	s_or_b64 exec, exec, s[20:21]
.LBB6_7581:                             ;   in Loop: Header=BB6_5404 Depth=2
	s_or_b64 exec, exec, s[90:91]
	v_cmp_ne_u16_e32 vcc, 0, v2
	s_and_saveexec_b64 s[20:21], vcc
	s_cbranch_execz .LBB6_7587
; %bb.7582:                             ;   in Loop: Header=BB6_5404 Depth=2
	v_cmp_ne_u16_e32 vcc, s49, v2
	v_bfrev_b32_e32 v20, 1
	s_and_saveexec_b64 s[90:91], vcc
	s_cbranch_execz .LBB6_7586
; %bb.7583:                             ;   in Loop: Header=BB6_5404 Depth=2
	v_and_b32_e32 v18, 0x7f, v2
	v_cmp_ne_u32_e32 vcc, s51, v18
	v_mov_b32_e32 v20, 0x7f800001
	s_and_saveexec_b64 s[92:93], vcc
	s_cbranch_execz .LBB6_7585
; %bb.7584:                             ;   in Loop: Header=BB6_5404 Depth=2
	v_and_b32_e32 v23, 7, v2
	v_lshrrev_b32_e32 v24, 3, v18
	v_cmp_gt_u32_e32 vcc, 8, v18
	v_ffbh_u32_e32 v18, v23
	v_min_u32_e32 v18, 32, v18
	v_subrev_u32_e32 v20, 28, v18
	v_lshlrev_b64 v[20:21], v20, v[2:3]
	v_sub_u32_e32 v2, 29, v18
	v_and_b32_e32 v18, 7, v20
	v_cndmask_b32_e32 v2, v24, v2, vcc
	v_cndmask_b32_e32 v18, v23, v18, vcc
	v_lshlrev_b32_e32 v20, 16, v10
	v_lshlrev_b32_e32 v18, 20, v18
	v_and_b32_e32 v20, 0x80000000, v20
	v_lshl_add_u32 v2, v2, 23, v5
	v_or3_b32 v20, v20, v2, v18
.LBB6_7585:                             ;   in Loop: Header=BB6_5404 Depth=2
	s_or_b64 exec, exec, s[92:93]
.LBB6_7586:                             ;   in Loop: Header=BB6_5404 Depth=2
	s_or_b64 exec, exec, s[90:91]
.LBB6_7587:                             ;   in Loop: Header=BB6_5404 Depth=2
	s_or_b64 exec, exec, s[20:21]
	v_max_f32_e32 v2, v20, v20
	v_max_f32_e32 v18, v19, v19
	v_min_f32_e32 v19, v18, v2
.LBB6_7588:                             ;   in Loop: Header=BB6_5404 Depth=2
	v_and_b32_e32 v2, 0x7f800000, v19
	v_cmp_ne_u64_e32 vcc, s[62:63], v[2:3]
                                        ; implicit-def: $vgpr23
	s_and_saveexec_b64 s[20:21], vcc
	s_xor_b64 s[90:91], exec, s[20:21]
	s_cbranch_execz .LBB6_7602
; %bb.7589:                             ;   in Loop: Header=BB6_5404 Depth=2
	v_and_b32_e32 v2, 0x7fffffff, v19
	v_cmp_gt_u64_e32 vcc, s[72:73], v[2:3]
	v_and_b32_sdwa v21, v19, s49 dst_sel:DWORD dst_unused:UNUSED_PAD src0_sel:BYTE_3 src1_sel:DWORD
                                        ; implicit-def: $vgpr23
	s_and_saveexec_b64 s[20:21], vcc
	s_xor_b64 s[92:93], exec, s[20:21]
	s_cbranch_execz .LBB6_7599
; %bb.7590:                             ;   in Loop: Header=BB6_5404 Depth=2
	v_mov_b32_e32 v23, 0
	v_cmp_ne_u32_e32 vcc, 0, v19
	s_and_saveexec_b64 s[94:95], vcc
	s_cbranch_execz .LBB6_7598
; %bb.7591:                             ;   in Loop: Header=BB6_5404 Depth=2
	v_bfe_u32 v23, v19, 23, 8
	v_cmp_gt_u32_e64 s[20:21], s53, v23
	v_sub_u32_e32 v18, 0x79, v23
	v_cmp_eq_u32_e32 vcc, 0, v23
	v_cndmask_b32_e64 v18, 0, v18, s[20:21]
	v_mov_b32_e32 v20, 0x78
	v_and_b32_e32 v2, 0x7fffff, v19
	v_cndmask_b32_e32 v24, v18, v20, vcc
	v_or_b32_e32 v19, 0x800000, v2
	v_add_u32_e32 v18, 20, v24
	v_cndmask_b32_e32 v2, v19, v2, vcc
	v_lshlrev_b64 v[18:19], v18, -1
	v_add_u32_e32 v20, 19, v24
	v_lshlrev_b64 v[25:26], v20, 1
	v_bfi_b32 v19, v19, 0, 0
	v_bfi_b32 v18, v18, 0, v2
	v_cmp_eq_u64_e64 s[20:21], v[18:19], v[25:26]
	v_lshrrev_b64 v[18:19], v24, v[2:3]
	v_mov_b32_e32 v20, v19
	v_mov_b32_e32 v19, v18
	s_and_saveexec_b64 s[30:31], s[20:21]
; %bb.7592:                             ;   in Loop: Header=BB6_5404 Depth=2
	v_bfe_u32 v2, v18, 20, 1
	v_add_co_u32_e64 v2, s[20:21], v18, v2
	v_add_co_u32_e64 v19, s[20:21], -1, v2
; %bb.7593:                             ;   in Loop: Header=BB6_5404 Depth=2
	s_or_b64 exec, exec, s[30:31]
	v_add_u32_e32 v2, 0xffffff81, v23
	v_cndmask_b32_e32 v2, v2, v59, vcc
	v_lshrrev_b32_e32 v20, 23, v18
	v_add3_u32 v24, v24, v2, v20
	v_add_u32_e32 v23, 6, v24
	v_and_b32_e32 v2, 0xfffff, v19
	v_add_u32_e32 v2, v2, v18
	v_cmp_ne_u32_e32 vcc, 0, v23
                                        ; implicit-def: $vgpr18_vgpr19
                                        ; implicit-def: $vgpr20
	s_and_saveexec_b64 s[20:21], vcc
	s_xor_b64 s[20:21], exec, s[20:21]
; %bb.7594:                             ;   in Loop: Header=BB6_5404 Depth=2
	v_cmp_lt_u64_e32 vcc, s[74:75], v[2:3]
	v_add_u32_e32 v18, 7, v24
	v_cndmask_b32_e32 v20, v23, v18, vcc
	v_cndmask_b32_e64 v18, 0, 1, vcc
	v_lshrrev_b64 v[18:19], v18, v[2:3]
; %bb.7595:                             ;   in Loop: Header=BB6_5404 Depth=2
	s_andn2_saveexec_b64 s[20:21], s[20:21]
; %bb.7596:                             ;   in Loop: Header=BB6_5404 Depth=2
	v_mov_b32_e32 v19, v3
	v_bfe_u32 v20, v2, 23, 1
	v_mov_b32_e32 v18, v2
; %bb.7597:                             ;   in Loop: Header=BB6_5404 Depth=2
	s_or_b64 exec, exec, s[20:21]
	v_lshrrev_b64 v[18:19], 20, v[18:19]
	v_cmp_gt_i32_e32 vcc, 16, v20
	v_cndmask_b32_e32 v19, 0, v19, vcc
	v_cndmask_b32_e32 v18, 7, v18, vcc
	v_min_i32_e32 v2, 15, v20
	v_cmp_eq_u64_e64 s[20:21], 0, v[18:19]
	v_lshlrev_b32_e32 v2, 3, v2
	v_cmp_eq_u32_e32 vcc, 0, v20
	v_and_b32_e32 v2, 0xf8, v2
	v_and_or_b32 v2, v18, 7, v2
	s_and_b64 s[20:21], vcc, s[20:21]
	v_cndmask_b32_e64 v2, v2, 0, s[20:21]
	v_or_b32_e32 v23, v2, v21
.LBB6_7598:                             ;   in Loop: Header=BB6_5404 Depth=2
	s_or_b64 exec, exec, s[94:95]
                                        ; implicit-def: $vgpr21
.LBB6_7599:                             ;   in Loop: Header=BB6_5404 Depth=2
	s_andn2_saveexec_b64 s[20:21], s[92:93]
; %bb.7600:                             ;   in Loop: Header=BB6_5404 Depth=2
	v_or_b32_e32 v23, 0x7e, v21
; %bb.7601:                             ;   in Loop: Header=BB6_5404 Depth=2
	s_or_b64 exec, exec, s[20:21]
                                        ; implicit-def: $vgpr19
.LBB6_7602:                             ;   in Loop: Header=BB6_5404 Depth=2
	s_andn2_saveexec_b64 s[20:21], s[90:91]
; %bb.7603:                             ;   in Loop: Header=BB6_5404 Depth=2
	v_or_b32_sdwa v23, v19, s51 dst_sel:DWORD dst_unused:UNUSED_PAD src0_sel:BYTE_3 src1_sel:DWORD
; %bb.7604:                             ;   in Loop: Header=BB6_5404 Depth=2
	s_or_b64 exec, exec, s[20:21]
	v_lshrrev_b32_e32 v18, 16, v14
	v_lshrrev_b32_e32 v2, 16, v10
	v_cmp_ne_u16_sdwa s[20:21], v18, v3 src0_sel:BYTE_0 src1_sel:DWORD
	s_and_b64 vcc, exec, s[18:19]
	s_mov_b64 s[90:91], -1
                                        ; implicit-def: $vgpr19
	s_cbranch_vccnz .LBB6_7618
; %bb.7605:                             ;   in Loop: Header=BB6_5404 Depth=2
	v_mov_b32_e32 v20, 0
	v_mov_b32_e32 v19, 0
	s_and_saveexec_b64 s[90:91], s[20:21]
	s_cbranch_execz .LBB6_7611
; %bb.7606:                             ;   in Loop: Header=BB6_5404 Depth=2
	v_cmp_ne_u16_sdwa s[94:95], v18, s49 src0_sel:BYTE_0 src1_sel:DWORD
	v_bfrev_b32_e32 v19, 1
	s_and_saveexec_b64 s[92:93], s[94:95]
	s_cbranch_execz .LBB6_7610
; %bb.7607:                             ;   in Loop: Header=BB6_5404 Depth=2
	v_bfe_u32 v21, v14, 16, 7
	v_cmp_ne_u32_e32 vcc, s51, v21
	v_mov_b32_e32 v19, 0x7f800001
	s_and_saveexec_b64 s[94:95], vcc
	s_cbranch_execz .LBB6_7609
; %bb.7608:                             ;   in Loop: Header=BB6_5404 Depth=2
	v_and_b32_e32 v19, 7, v18
	v_lshrrev_b32_e32 v26, 3, v21
	v_cmp_gt_u32_e32 vcc, 8, v21
	v_ffbh_u32_e32 v21, v19
	v_min_u32_e32 v21, 32, v21
	v_subrev_u32_e32 v24, 28, v21
	v_lshlrev_b64 v[24:25], v24, v[18:19]
	v_sub_u32_e32 v21, 29, v21
	v_and_b32_e32 v24, 7, v24
	v_cndmask_b32_e32 v21, v26, v21, vcc
	v_cndmask_b32_e32 v19, v19, v24, vcc
	v_lshlrev_b32_e32 v24, 24, v18
	v_lshlrev_b32_e32 v19, 20, v19
	v_and_b32_e32 v24, 0x80000000, v24
	v_lshl_add_u32 v21, v21, 23, v5
	v_or3_b32 v19, v24, v21, v19
.LBB6_7609:                             ;   in Loop: Header=BB6_5404 Depth=2
	s_or_b64 exec, exec, s[94:95]
.LBB6_7610:                             ;   in Loop: Header=BB6_5404 Depth=2
	s_or_b64 exec, exec, s[92:93]
.LBB6_7611:                             ;   in Loop: Header=BB6_5404 Depth=2
	s_or_b64 exec, exec, s[90:91]
	v_cmp_ne_u16_sdwa s[92:93], v2, v3 src0_sel:BYTE_0 src1_sel:DWORD
	s_and_saveexec_b64 s[90:91], s[92:93]
	s_cbranch_execz .LBB6_7617
; %bb.7612:                             ;   in Loop: Header=BB6_5404 Depth=2
	v_cmp_ne_u16_sdwa s[94:95], v2, s49 src0_sel:BYTE_0 src1_sel:DWORD
	v_bfrev_b32_e32 v20, 1
	s_and_saveexec_b64 s[92:93], s[94:95]
	s_cbranch_execz .LBB6_7616
; %bb.7613:                             ;   in Loop: Header=BB6_5404 Depth=2
	v_bfe_u32 v21, v10, 16, 7
	v_cmp_ne_u32_e32 vcc, s51, v21
	v_mov_b32_e32 v20, 0x7f800001
	s_and_saveexec_b64 s[94:95], vcc
	s_cbranch_execz .LBB6_7615
; %bb.7614:                             ;   in Loop: Header=BB6_5404 Depth=2
	v_and_b32_e32 v24, 7, v2
	v_ffbh_u32_e32 v20, v24
	v_min_u32_e32 v26, 32, v20
	v_subrev_u32_e32 v20, 28, v26
	v_lshrrev_b32_e32 v25, 3, v21
	v_cmp_gt_u32_e32 vcc, 8, v21
	v_lshlrev_b64 v[20:21], v20, v[2:3]
	v_sub_u32_e32 v21, 29, v26
	v_and_b32_e32 v20, 7, v20
	v_cndmask_b32_e32 v21, v25, v21, vcc
	v_cndmask_b32_e32 v20, v24, v20, vcc
	v_lshlrev_b32_e32 v24, 24, v2
	v_lshlrev_b32_e32 v20, 20, v20
	v_and_b32_e32 v24, 0x80000000, v24
	v_lshl_add_u32 v21, v21, 23, v5
	v_or3_b32 v20, v24, v21, v20
.LBB6_7615:                             ;   in Loop: Header=BB6_5404 Depth=2
	s_or_b64 exec, exec, s[94:95]
.LBB6_7616:                             ;   in Loop: Header=BB6_5404 Depth=2
	s_or_b64 exec, exec, s[92:93]
.LBB6_7617:                             ;   in Loop: Header=BB6_5404 Depth=2
	s_or_b64 exec, exec, s[90:91]
	v_max_f32_e32 v20, v20, v20
	v_max_f32_e32 v19, v19, v19
	;; [unrolled: 1-line block ×3, first 2 shown]
	s_mov_b64 s[90:91], 0
.LBB6_7618:                             ;   in Loop: Header=BB6_5404 Depth=2
	s_and_b64 vcc, exec, s[90:91]
	s_cbranch_vccz .LBB6_7632
; %bb.7619:                             ;   in Loop: Header=BB6_5404 Depth=2
	v_mov_b32_e32 v20, 0
	v_mov_b32_e32 v19, 0
	s_and_saveexec_b64 s[90:91], s[20:21]
	s_cbranch_execz .LBB6_7625
; %bb.7620:                             ;   in Loop: Header=BB6_5404 Depth=2
	v_cmp_ne_u16_sdwa s[92:93], v18, s49 src0_sel:BYTE_0 src1_sel:DWORD
	v_bfrev_b32_e32 v19, 1
	s_and_saveexec_b64 s[20:21], s[92:93]
	s_cbranch_execz .LBB6_7624
; %bb.7621:                             ;   in Loop: Header=BB6_5404 Depth=2
	v_bfe_u32 v21, v14, 16, 7
	v_cmp_ne_u32_e32 vcc, s51, v21
	v_mov_b32_e32 v19, 0x7f800001
	s_and_saveexec_b64 s[92:93], vcc
	s_cbranch_execz .LBB6_7623
; %bb.7622:                             ;   in Loop: Header=BB6_5404 Depth=2
	v_and_b32_e32 v19, 7, v18
	v_lshrrev_b32_e32 v26, 3, v21
	v_cmp_gt_u32_e32 vcc, 8, v21
	v_ffbh_u32_e32 v21, v19
	v_min_u32_e32 v21, 32, v21
	v_subrev_u32_e32 v24, 28, v21
	v_lshlrev_b64 v[24:25], v24, v[18:19]
	v_sub_u32_e32 v21, 29, v21
	v_and_b32_e32 v24, 7, v24
	v_cndmask_b32_e32 v21, v26, v21, vcc
	v_cndmask_b32_e32 v19, v19, v24, vcc
	v_lshlrev_b32_e32 v18, 24, v18
	v_lshlrev_b32_e32 v19, 20, v19
	v_and_b32_e32 v18, 0x80000000, v18
	v_lshl_add_u32 v21, v21, 23, v5
	v_or3_b32 v19, v18, v21, v19
.LBB6_7623:                             ;   in Loop: Header=BB6_5404 Depth=2
	s_or_b64 exec, exec, s[92:93]
.LBB6_7624:                             ;   in Loop: Header=BB6_5404 Depth=2
	s_or_b64 exec, exec, s[20:21]
.LBB6_7625:                             ;   in Loop: Header=BB6_5404 Depth=2
	s_or_b64 exec, exec, s[90:91]
	v_cmp_ne_u16_sdwa s[90:91], v2, v3 src0_sel:BYTE_0 src1_sel:DWORD
	s_and_saveexec_b64 s[20:21], s[90:91]
	s_cbranch_execz .LBB6_7631
; %bb.7626:                             ;   in Loop: Header=BB6_5404 Depth=2
	v_cmp_ne_u16_sdwa s[92:93], v2, s49 src0_sel:BYTE_0 src1_sel:DWORD
	v_bfrev_b32_e32 v20, 1
	s_and_saveexec_b64 s[90:91], s[92:93]
	s_cbranch_execz .LBB6_7630
; %bb.7627:                             ;   in Loop: Header=BB6_5404 Depth=2
	v_bfe_u32 v18, v10, 16, 7
	v_cmp_ne_u32_e32 vcc, s51, v18
	v_mov_b32_e32 v20, 0x7f800001
	s_and_saveexec_b64 s[92:93], vcc
	s_cbranch_execz .LBB6_7629
; %bb.7628:                             ;   in Loop: Header=BB6_5404 Depth=2
	v_and_b32_e32 v24, 7, v2
	v_lshrrev_b32_e32 v25, 3, v18
	v_cmp_gt_u32_e32 vcc, 8, v18
	v_ffbh_u32_e32 v18, v24
	v_min_u32_e32 v18, 32, v18
	v_subrev_u32_e32 v20, 28, v18
	v_lshlrev_b64 v[20:21], v20, v[2:3]
	v_sub_u32_e32 v18, 29, v18
	v_and_b32_e32 v20, 7, v20
	v_cndmask_b32_e32 v18, v25, v18, vcc
	v_cndmask_b32_e32 v20, v24, v20, vcc
	v_lshlrev_b32_e32 v2, 24, v2
	v_lshlrev_b32_e32 v20, 20, v20
	v_and_b32_e32 v2, 0x80000000, v2
	v_lshl_add_u32 v18, v18, 23, v5
	v_or3_b32 v20, v2, v18, v20
.LBB6_7629:                             ;   in Loop: Header=BB6_5404 Depth=2
	s_or_b64 exec, exec, s[92:93]
.LBB6_7630:                             ;   in Loop: Header=BB6_5404 Depth=2
	s_or_b64 exec, exec, s[90:91]
.LBB6_7631:                             ;   in Loop: Header=BB6_5404 Depth=2
	s_or_b64 exec, exec, s[20:21]
	v_max_f32_e32 v2, v20, v20
	v_max_f32_e32 v18, v19, v19
	v_min_f32_e32 v19, v18, v2
.LBB6_7632:                             ;   in Loop: Header=BB6_5404 Depth=2
	v_and_b32_e32 v2, 0x7f800000, v19
	v_cmp_ne_u64_e32 vcc, s[62:63], v[2:3]
                                        ; implicit-def: $vgpr24
	s_and_saveexec_b64 s[20:21], vcc
	s_xor_b64 s[90:91], exec, s[20:21]
	s_cbranch_execz .LBB6_7646
; %bb.7633:                             ;   in Loop: Header=BB6_5404 Depth=2
	v_and_b32_e32 v2, 0x7fffffff, v19
	v_cmp_gt_u64_e32 vcc, s[72:73], v[2:3]
	v_and_b32_sdwa v21, v19, s49 dst_sel:DWORD dst_unused:UNUSED_PAD src0_sel:BYTE_3 src1_sel:DWORD
                                        ; implicit-def: $vgpr24
	s_and_saveexec_b64 s[20:21], vcc
	s_xor_b64 s[92:93], exec, s[20:21]
	s_cbranch_execz .LBB6_7643
; %bb.7634:                             ;   in Loop: Header=BB6_5404 Depth=2
	v_mov_b32_e32 v24, 0
	v_cmp_ne_u32_e32 vcc, 0, v19
	s_and_saveexec_b64 s[94:95], vcc
	s_cbranch_execz .LBB6_7642
; %bb.7635:                             ;   in Loop: Header=BB6_5404 Depth=2
	v_bfe_u32 v24, v19, 23, 8
	v_cmp_gt_u32_e64 s[20:21], s53, v24
	v_sub_u32_e32 v18, 0x79, v24
	v_cmp_eq_u32_e32 vcc, 0, v24
	v_cndmask_b32_e64 v18, 0, v18, s[20:21]
	v_mov_b32_e32 v20, 0x78
	v_and_b32_e32 v2, 0x7fffff, v19
	v_cndmask_b32_e32 v25, v18, v20, vcc
	v_or_b32_e32 v19, 0x800000, v2
	v_add_u32_e32 v18, 20, v25
	v_cndmask_b32_e32 v2, v19, v2, vcc
	v_lshlrev_b64 v[18:19], v18, -1
	v_add_u32_e32 v20, 19, v25
	v_lshlrev_b64 v[26:27], v20, 1
	v_bfi_b32 v19, v19, 0, 0
	v_bfi_b32 v18, v18, 0, v2
	v_cmp_eq_u64_e64 s[20:21], v[18:19], v[26:27]
	v_lshrrev_b64 v[18:19], v25, v[2:3]
	v_mov_b32_e32 v20, v19
	v_mov_b32_e32 v19, v18
	s_and_saveexec_b64 s[30:31], s[20:21]
; %bb.7636:                             ;   in Loop: Header=BB6_5404 Depth=2
	v_bfe_u32 v2, v18, 20, 1
	v_add_co_u32_e64 v2, s[20:21], v18, v2
	v_add_co_u32_e64 v19, s[20:21], -1, v2
; %bb.7637:                             ;   in Loop: Header=BB6_5404 Depth=2
	s_or_b64 exec, exec, s[30:31]
	v_add_u32_e32 v2, 0xffffff81, v24
	v_cndmask_b32_e32 v2, v2, v59, vcc
	v_lshrrev_b32_e32 v20, 23, v18
	v_add3_u32 v25, v25, v2, v20
	v_add_u32_e32 v24, 6, v25
	v_and_b32_e32 v2, 0xfffff, v19
	v_add_u32_e32 v2, v2, v18
	v_cmp_ne_u32_e32 vcc, 0, v24
                                        ; implicit-def: $vgpr18_vgpr19
                                        ; implicit-def: $vgpr20
	s_and_saveexec_b64 s[20:21], vcc
	s_xor_b64 s[20:21], exec, s[20:21]
; %bb.7638:                             ;   in Loop: Header=BB6_5404 Depth=2
	v_cmp_lt_u64_e32 vcc, s[74:75], v[2:3]
	v_add_u32_e32 v18, 7, v25
	v_cndmask_b32_e32 v20, v24, v18, vcc
	v_cndmask_b32_e64 v18, 0, 1, vcc
	v_lshrrev_b64 v[18:19], v18, v[2:3]
; %bb.7639:                             ;   in Loop: Header=BB6_5404 Depth=2
	s_andn2_saveexec_b64 s[20:21], s[20:21]
; %bb.7640:                             ;   in Loop: Header=BB6_5404 Depth=2
	v_mov_b32_e32 v19, v3
	v_bfe_u32 v20, v2, 23, 1
	v_mov_b32_e32 v18, v2
; %bb.7641:                             ;   in Loop: Header=BB6_5404 Depth=2
	s_or_b64 exec, exec, s[20:21]
	v_lshrrev_b64 v[18:19], 20, v[18:19]
	v_cmp_gt_i32_e32 vcc, 16, v20
	v_cndmask_b32_e32 v19, 0, v19, vcc
	v_cndmask_b32_e32 v18, 7, v18, vcc
	v_min_i32_e32 v2, 15, v20
	v_cmp_eq_u64_e64 s[20:21], 0, v[18:19]
	v_lshlrev_b32_e32 v2, 3, v2
	v_cmp_eq_u32_e32 vcc, 0, v20
	v_and_b32_e32 v2, 0xf8, v2
	v_and_or_b32 v2, v18, 7, v2
	s_and_b64 s[20:21], vcc, s[20:21]
	v_cndmask_b32_e64 v2, v2, 0, s[20:21]
	v_or_b32_e32 v24, v2, v21
.LBB6_7642:                             ;   in Loop: Header=BB6_5404 Depth=2
	s_or_b64 exec, exec, s[94:95]
                                        ; implicit-def: $vgpr21
.LBB6_7643:                             ;   in Loop: Header=BB6_5404 Depth=2
	s_andn2_saveexec_b64 s[20:21], s[92:93]
; %bb.7644:                             ;   in Loop: Header=BB6_5404 Depth=2
	v_or_b32_e32 v24, 0x7e, v21
; %bb.7645:                             ;   in Loop: Header=BB6_5404 Depth=2
	s_or_b64 exec, exec, s[20:21]
                                        ; implicit-def: $vgpr19
.LBB6_7646:                             ;   in Loop: Header=BB6_5404 Depth=2
	s_andn2_saveexec_b64 s[20:21], s[90:91]
; %bb.7647:                             ;   in Loop: Header=BB6_5404 Depth=2
	v_or_b32_sdwa v24, v19, s51 dst_sel:DWORD dst_unused:UNUSED_PAD src0_sel:BYTE_3 src1_sel:DWORD
; %bb.7648:                             ;   in Loop: Header=BB6_5404 Depth=2
	s_or_b64 exec, exec, s[20:21]
	v_lshrrev_b32_e32 v18, 24, v14
	v_lshrrev_b32_e32 v2, 24, v10
	v_cmp_lt_u32_e64 s[20:21], s77, v14
	s_and_b64 vcc, exec, s[18:19]
	s_mov_b64 s[90:91], -1
                                        ; implicit-def: $vgpr19
	s_cbranch_vccnz .LBB6_7662
; %bb.7649:                             ;   in Loop: Header=BB6_5404 Depth=2
	v_mov_b32_e32 v20, 0
	v_mov_b32_e32 v19, 0
	s_and_saveexec_b64 s[90:91], s[20:21]
	s_cbranch_execz .LBB6_7655
; %bb.7650:                             ;   in Loop: Header=BB6_5404 Depth=2
	v_cmp_ne_u32_e32 vcc, s49, v18
	v_bfrev_b32_e32 v19, 1
	s_and_saveexec_b64 s[92:93], vcc
	s_cbranch_execz .LBB6_7654
; %bb.7651:                             ;   in Loop: Header=BB6_5404 Depth=2
	v_bfe_u32 v21, v14, 24, 7
	v_cmp_ne_u32_e32 vcc, s51, v21
	v_mov_b32_e32 v19, 0x7f800001
	s_and_saveexec_b64 s[94:95], vcc
	s_cbranch_execz .LBB6_7653
; %bb.7652:                             ;   in Loop: Header=BB6_5404 Depth=2
	v_and_b32_e32 v19, 7, v18
	v_lshrrev_b32_e32 v27, 3, v21
	v_cmp_gt_u32_e32 vcc, 8, v21
	v_ffbh_u32_e32 v21, v19
	v_min_u32_e32 v21, 32, v21
	v_subrev_u32_e32 v25, 28, v21
	v_lshlrev_b64 v[25:26], v25, v[18:19]
	v_sub_u32_e32 v21, 29, v21
	v_and_b32_e32 v25, 7, v25
	v_cndmask_b32_e32 v21, v27, v21, vcc
	v_cndmask_b32_e32 v19, v19, v25, vcc
	v_lshlrev_b32_e32 v25, 24, v18
	v_lshlrev_b32_e32 v19, 20, v19
	v_and_b32_e32 v25, 0x80000000, v25
	v_lshl_add_u32 v21, v21, 23, v5
	v_or3_b32 v19, v25, v21, v19
.LBB6_7653:                             ;   in Loop: Header=BB6_5404 Depth=2
	s_or_b64 exec, exec, s[94:95]
.LBB6_7654:                             ;   in Loop: Header=BB6_5404 Depth=2
	s_or_b64 exec, exec, s[92:93]
.LBB6_7655:                             ;   in Loop: Header=BB6_5404 Depth=2
	s_or_b64 exec, exec, s[90:91]
	v_cmp_lt_u32_e32 vcc, s77, v10
	s_and_saveexec_b64 s[90:91], vcc
	s_cbranch_execz .LBB6_7661
; %bb.7656:                             ;   in Loop: Header=BB6_5404 Depth=2
	v_cmp_ne_u32_e32 vcc, s49, v2
	v_bfrev_b32_e32 v20, 1
	s_and_saveexec_b64 s[92:93], vcc
	s_cbranch_execz .LBB6_7660
; %bb.7657:                             ;   in Loop: Header=BB6_5404 Depth=2
	v_bfe_u32 v21, v10, 24, 7
	v_cmp_ne_u32_e32 vcc, s51, v21
	v_mov_b32_e32 v20, 0x7f800001
	s_and_saveexec_b64 s[94:95], vcc
	s_cbranch_execz .LBB6_7659
; %bb.7658:                             ;   in Loop: Header=BB6_5404 Depth=2
	v_and_b32_e32 v25, 7, v2
	v_ffbh_u32_e32 v20, v25
	v_min_u32_e32 v27, 32, v20
	v_subrev_u32_e32 v20, 28, v27
	v_lshrrev_b32_e32 v26, 3, v21
	v_cmp_gt_u32_e32 vcc, 8, v21
	v_lshlrev_b64 v[20:21], v20, v[2:3]
	v_sub_u32_e32 v21, 29, v27
	v_and_b32_e32 v20, 7, v20
	v_cndmask_b32_e32 v21, v26, v21, vcc
	v_cndmask_b32_e32 v20, v25, v20, vcc
	v_lshlrev_b32_e32 v25, 24, v2
	v_lshlrev_b32_e32 v20, 20, v20
	v_and_b32_e32 v25, 0x80000000, v25
	v_lshl_add_u32 v21, v21, 23, v5
	v_or3_b32 v20, v25, v21, v20
.LBB6_7659:                             ;   in Loop: Header=BB6_5404 Depth=2
	s_or_b64 exec, exec, s[94:95]
.LBB6_7660:                             ;   in Loop: Header=BB6_5404 Depth=2
	s_or_b64 exec, exec, s[92:93]
.LBB6_7661:                             ;   in Loop: Header=BB6_5404 Depth=2
	s_or_b64 exec, exec, s[90:91]
	v_max_f32_e32 v20, v20, v20
	v_max_f32_e32 v19, v19, v19
	;; [unrolled: 1-line block ×3, first 2 shown]
	s_mov_b64 s[90:91], 0
.LBB6_7662:                             ;   in Loop: Header=BB6_5404 Depth=2
	s_and_b64 vcc, exec, s[90:91]
	s_cbranch_vccz .LBB6_7676
; %bb.7663:                             ;   in Loop: Header=BB6_5404 Depth=2
	v_mov_b32_e32 v20, 0
	v_mov_b32_e32 v19, 0
	s_and_saveexec_b64 s[90:91], s[20:21]
	s_cbranch_execz .LBB6_7669
; %bb.7664:                             ;   in Loop: Header=BB6_5404 Depth=2
	v_cmp_ne_u32_e32 vcc, s49, v18
	v_bfrev_b32_e32 v19, 1
	s_and_saveexec_b64 s[20:21], vcc
	s_cbranch_execz .LBB6_7668
; %bb.7665:                             ;   in Loop: Header=BB6_5404 Depth=2
	v_bfe_u32 v21, v14, 24, 7
	v_cmp_ne_u32_e32 vcc, s51, v21
	v_mov_b32_e32 v19, 0x7f800001
	s_and_saveexec_b64 s[92:93], vcc
	s_cbranch_execz .LBB6_7667
; %bb.7666:                             ;   in Loop: Header=BB6_5404 Depth=2
	v_and_b32_e32 v19, 7, v18
	v_lshrrev_b32_e32 v27, 3, v21
	v_cmp_gt_u32_e32 vcc, 8, v21
	v_ffbh_u32_e32 v21, v19
	v_min_u32_e32 v21, 32, v21
	v_subrev_u32_e32 v25, 28, v21
	v_lshlrev_b64 v[25:26], v25, v[18:19]
	v_sub_u32_e32 v21, 29, v21
	v_and_b32_e32 v25, 7, v25
	v_cndmask_b32_e32 v21, v27, v21, vcc
	v_cndmask_b32_e32 v19, v19, v25, vcc
	v_lshlrev_b32_e32 v18, 24, v18
	v_lshlrev_b32_e32 v19, 20, v19
	v_and_b32_e32 v18, 0x80000000, v18
	v_lshl_add_u32 v21, v21, 23, v5
	v_or3_b32 v19, v18, v21, v19
.LBB6_7667:                             ;   in Loop: Header=BB6_5404 Depth=2
	s_or_b64 exec, exec, s[92:93]
.LBB6_7668:                             ;   in Loop: Header=BB6_5404 Depth=2
	s_or_b64 exec, exec, s[20:21]
.LBB6_7669:                             ;   in Loop: Header=BB6_5404 Depth=2
	s_or_b64 exec, exec, s[90:91]
	v_cmp_lt_u32_e32 vcc, s77, v10
	s_and_saveexec_b64 s[20:21], vcc
	s_cbranch_execz .LBB6_7675
; %bb.7670:                             ;   in Loop: Header=BB6_5404 Depth=2
	v_cmp_ne_u32_e32 vcc, s49, v2
	v_bfrev_b32_e32 v20, 1
	s_and_saveexec_b64 s[90:91], vcc
	s_cbranch_execz .LBB6_7674
; %bb.7671:                             ;   in Loop: Header=BB6_5404 Depth=2
	v_bfe_u32 v18, v10, 24, 7
	v_cmp_ne_u32_e32 vcc, s51, v18
	v_mov_b32_e32 v20, 0x7f800001
	s_and_saveexec_b64 s[92:93], vcc
	s_cbranch_execz .LBB6_7673
; %bb.7672:                             ;   in Loop: Header=BB6_5404 Depth=2
	v_and_b32_e32 v25, 7, v2
	v_lshrrev_b32_e32 v26, 3, v18
	v_cmp_gt_u32_e32 vcc, 8, v18
	v_ffbh_u32_e32 v18, v25
	v_min_u32_e32 v18, 32, v18
	v_subrev_u32_e32 v20, 28, v18
	v_lshlrev_b64 v[20:21], v20, v[2:3]
	v_sub_u32_e32 v18, 29, v18
	v_and_b32_e32 v20, 7, v20
	v_cndmask_b32_e32 v18, v26, v18, vcc
	v_cndmask_b32_e32 v20, v25, v20, vcc
	v_lshlrev_b32_e32 v2, 24, v2
	v_lshlrev_b32_e32 v20, 20, v20
	v_and_b32_e32 v2, 0x80000000, v2
	v_lshl_add_u32 v18, v18, 23, v5
	v_or3_b32 v20, v2, v18, v20
.LBB6_7673:                             ;   in Loop: Header=BB6_5404 Depth=2
	s_or_b64 exec, exec, s[92:93]
.LBB6_7674:                             ;   in Loop: Header=BB6_5404 Depth=2
	s_or_b64 exec, exec, s[90:91]
.LBB6_7675:                             ;   in Loop: Header=BB6_5404 Depth=2
	s_or_b64 exec, exec, s[20:21]
	v_max_f32_e32 v2, v20, v20
	v_max_f32_e32 v18, v19, v19
	v_min_f32_e32 v19, v18, v2
.LBB6_7676:                             ;   in Loop: Header=BB6_5404 Depth=2
	v_and_b32_e32 v2, 0x7f800000, v19
	v_cmp_ne_u64_e32 vcc, s[62:63], v[2:3]
                                        ; implicit-def: $vgpr25
	s_and_saveexec_b64 s[20:21], vcc
	s_xor_b64 s[90:91], exec, s[20:21]
	s_cbranch_execz .LBB6_7690
; %bb.7677:                             ;   in Loop: Header=BB6_5404 Depth=2
	v_and_b32_e32 v2, 0x7fffffff, v19
	v_cmp_gt_u64_e32 vcc, s[72:73], v[2:3]
	v_and_b32_sdwa v21, v19, s49 dst_sel:DWORD dst_unused:UNUSED_PAD src0_sel:BYTE_3 src1_sel:DWORD
                                        ; implicit-def: $vgpr25
	s_and_saveexec_b64 s[20:21], vcc
	s_xor_b64 s[92:93], exec, s[20:21]
	s_cbranch_execz .LBB6_7687
; %bb.7678:                             ;   in Loop: Header=BB6_5404 Depth=2
	v_mov_b32_e32 v25, 0
	v_cmp_ne_u32_e32 vcc, 0, v19
	s_and_saveexec_b64 s[94:95], vcc
	s_cbranch_execz .LBB6_7686
; %bb.7679:                             ;   in Loop: Header=BB6_5404 Depth=2
	v_bfe_u32 v25, v19, 23, 8
	v_cmp_gt_u32_e64 s[20:21], s53, v25
	v_sub_u32_e32 v18, 0x79, v25
	v_cmp_eq_u32_e32 vcc, 0, v25
	v_cndmask_b32_e64 v18, 0, v18, s[20:21]
	v_mov_b32_e32 v20, 0x78
	v_and_b32_e32 v2, 0x7fffff, v19
	v_cndmask_b32_e32 v26, v18, v20, vcc
	v_or_b32_e32 v19, 0x800000, v2
	v_add_u32_e32 v18, 20, v26
	v_cndmask_b32_e32 v2, v19, v2, vcc
	v_lshlrev_b64 v[18:19], v18, -1
	v_add_u32_e32 v20, 19, v26
	v_lshlrev_b64 v[40:41], v20, 1
	v_bfi_b32 v19, v19, 0, 0
	v_bfi_b32 v18, v18, 0, v2
	v_cmp_eq_u64_e64 s[20:21], v[18:19], v[40:41]
	v_lshrrev_b64 v[18:19], v26, v[2:3]
	v_mov_b32_e32 v20, v19
	v_mov_b32_e32 v19, v18
	s_and_saveexec_b64 s[30:31], s[20:21]
; %bb.7680:                             ;   in Loop: Header=BB6_5404 Depth=2
	v_bfe_u32 v2, v18, 20, 1
	v_add_co_u32_e64 v2, s[20:21], v18, v2
	v_add_co_u32_e64 v19, s[20:21], -1, v2
; %bb.7681:                             ;   in Loop: Header=BB6_5404 Depth=2
	s_or_b64 exec, exec, s[30:31]
	v_add_u32_e32 v2, 0xffffff81, v25
	v_cndmask_b32_e32 v2, v2, v59, vcc
	v_lshrrev_b32_e32 v20, 23, v18
	v_add3_u32 v26, v26, v2, v20
	v_add_u32_e32 v25, 6, v26
	v_and_b32_e32 v2, 0xfffff, v19
	v_add_u32_e32 v2, v2, v18
	v_cmp_ne_u32_e32 vcc, 0, v25
                                        ; implicit-def: $vgpr18_vgpr19
                                        ; implicit-def: $vgpr20
	s_and_saveexec_b64 s[20:21], vcc
	s_xor_b64 s[20:21], exec, s[20:21]
; %bb.7682:                             ;   in Loop: Header=BB6_5404 Depth=2
	v_cmp_lt_u64_e32 vcc, s[74:75], v[2:3]
	v_add_u32_e32 v18, 7, v26
	v_cndmask_b32_e32 v20, v25, v18, vcc
	v_cndmask_b32_e64 v18, 0, 1, vcc
	v_lshrrev_b64 v[18:19], v18, v[2:3]
; %bb.7683:                             ;   in Loop: Header=BB6_5404 Depth=2
	s_andn2_saveexec_b64 s[20:21], s[20:21]
; %bb.7684:                             ;   in Loop: Header=BB6_5404 Depth=2
	v_mov_b32_e32 v19, v3
	v_bfe_u32 v20, v2, 23, 1
	v_mov_b32_e32 v18, v2
; %bb.7685:                             ;   in Loop: Header=BB6_5404 Depth=2
	s_or_b64 exec, exec, s[20:21]
	v_lshrrev_b64 v[18:19], 20, v[18:19]
	v_cmp_gt_i32_e32 vcc, 16, v20
	v_cndmask_b32_e32 v19, 0, v19, vcc
	v_cndmask_b32_e32 v18, 7, v18, vcc
	v_min_i32_e32 v2, 15, v20
	v_cmp_eq_u64_e64 s[20:21], 0, v[18:19]
	v_lshlrev_b32_e32 v2, 3, v2
	v_cmp_eq_u32_e32 vcc, 0, v20
	v_and_b32_e32 v2, 0xf8, v2
	v_and_or_b32 v2, v18, 7, v2
	s_and_b64 s[20:21], vcc, s[20:21]
	v_cndmask_b32_e64 v2, v2, 0, s[20:21]
	v_or_b32_e32 v25, v2, v21
.LBB6_7686:                             ;   in Loop: Header=BB6_5404 Depth=2
	s_or_b64 exec, exec, s[94:95]
                                        ; implicit-def: $vgpr21
.LBB6_7687:                             ;   in Loop: Header=BB6_5404 Depth=2
	s_andn2_saveexec_b64 s[20:21], s[92:93]
; %bb.7688:                             ;   in Loop: Header=BB6_5404 Depth=2
	v_or_b32_e32 v25, 0x7e, v21
; %bb.7689:                             ;   in Loop: Header=BB6_5404 Depth=2
	s_or_b64 exec, exec, s[20:21]
                                        ; implicit-def: $vgpr19
.LBB6_7690:                             ;   in Loop: Header=BB6_5404 Depth=2
	s_andn2_saveexec_b64 s[20:21], s[90:91]
; %bb.7691:                             ;   in Loop: Header=BB6_5404 Depth=2
	v_or_b32_sdwa v25, v19, s51 dst_sel:DWORD dst_unused:UNUSED_PAD src0_sel:BYTE_3 src1_sel:DWORD
; %bb.7692:                             ;   in Loop: Header=BB6_5404 Depth=2
	s_or_b64 exec, exec, s[20:21]
	v_mov_b32_e32 v2, v15
	v_mov_b32_e32 v18, v11
	;; [unrolled: 1-line block ×3, first 2 shown]
	v_cmp_ne_u16_sdwa s[20:21], v15, v3 src0_sel:BYTE_0 src1_sel:DWORD
	s_and_b64 vcc, exec, s[18:19]
	s_mov_b64 s[90:91], -1
                                        ; implicit-def: $vgpr20
	s_cbranch_vccnz .LBB6_7706
; %bb.7693:                             ;   in Loop: Header=BB6_5404 Depth=2
	v_mov_b32_e32 v21, 0
	v_mov_b32_e32 v20, 0
	s_and_saveexec_b64 s[90:91], s[20:21]
	s_cbranch_execz .LBB6_7699
; %bb.7694:                             ;   in Loop: Header=BB6_5404 Depth=2
	v_cmp_ne_u16_sdwa s[94:95], v15, s49 src0_sel:BYTE_0 src1_sel:DWORD
	v_bfrev_b32_e32 v20, 1
	s_and_saveexec_b64 s[92:93], s[94:95]
	s_cbranch_execz .LBB6_7698
; %bb.7695:                             ;   in Loop: Header=BB6_5404 Depth=2
	v_and_b32_e32 v26, 0x7f, v15
	v_cmp_ne_u32_e32 vcc, s51, v26
	v_mov_b32_e32 v20, 0x7f800001
	s_and_saveexec_b64 s[94:95], vcc
	s_cbranch_execz .LBB6_7697
; %bb.7696:                             ;   in Loop: Header=BB6_5404 Depth=2
	v_and_b32_e32 v20, 7, v15
	v_ffbh_u32_e32 v20, v20
	v_min_u32_e32 v20, 32, v20
	v_lshrrev_b32_e32 v27, 3, v26
	v_cmp_gt_u32_e32 vcc, 8, v26
	v_subrev_u32_e32 v26, 28, v20
	v_sub_u32_e32 v20, 29, v20
	v_cndmask_b32_e32 v26, 0, v26, vcc
	v_cndmask_b32_e32 v20, v27, v20, vcc
	v_lshlrev_b64 v[26:27], v26, v[2:3]
	v_lshlrev_b32_e32 v27, 24, v2
	v_lshlrev_b32_e32 v26, 20, v26
	v_and_b32_e32 v26, 0x700000, v26
	v_and_b32_e32 v27, 0x80000000, v27
	v_lshl_add_u32 v20, v20, 23, v5
	v_or3_b32 v20, v27, v20, v26
.LBB6_7697:                             ;   in Loop: Header=BB6_5404 Depth=2
	s_or_b64 exec, exec, s[94:95]
.LBB6_7698:                             ;   in Loop: Header=BB6_5404 Depth=2
	s_or_b64 exec, exec, s[92:93]
.LBB6_7699:                             ;   in Loop: Header=BB6_5404 Depth=2
	s_or_b64 exec, exec, s[90:91]
	v_cmp_ne_u16_sdwa s[92:93], v11, v3 src0_sel:BYTE_0 src1_sel:DWORD
	s_and_saveexec_b64 s[90:91], s[92:93]
	s_cbranch_execz .LBB6_7705
; %bb.7700:                             ;   in Loop: Header=BB6_5404 Depth=2
	v_cmp_ne_u16_sdwa s[94:95], v11, s49 src0_sel:BYTE_0 src1_sel:DWORD
	v_bfrev_b32_e32 v21, 1
	s_and_saveexec_b64 s[92:93], s[94:95]
	s_cbranch_execz .LBB6_7704
; %bb.7701:                             ;   in Loop: Header=BB6_5404 Depth=2
	v_and_b32_e32 v26, 0x7f, v11
	v_cmp_ne_u32_e32 vcc, s51, v26
	v_mov_b32_e32 v21, 0x7f800001
	s_and_saveexec_b64 s[94:95], vcc
	s_cbranch_execz .LBB6_7703
; %bb.7702:                             ;   in Loop: Header=BB6_5404 Depth=2
	v_and_b32_e32 v21, 7, v11
	v_ffbh_u32_e32 v21, v21
	v_min_u32_e32 v21, 32, v21
	v_lshrrev_b32_e32 v27, 3, v26
	v_cmp_gt_u32_e32 vcc, 8, v26
	v_subrev_u32_e32 v26, 28, v21
	v_sub_u32_e32 v21, 29, v21
	v_cndmask_b32_e32 v26, 0, v26, vcc
	v_cndmask_b32_e32 v21, v27, v21, vcc
	v_lshlrev_b64 v[26:27], v26, v[18:19]
	v_lshlrev_b32_e32 v27, 24, v18
	v_lshlrev_b32_e32 v26, 20, v26
	v_and_b32_e32 v26, 0x700000, v26
	v_and_b32_e32 v27, 0x80000000, v27
	v_lshl_add_u32 v21, v21, 23, v5
	v_or3_b32 v21, v27, v21, v26
.LBB6_7703:                             ;   in Loop: Header=BB6_5404 Depth=2
	s_or_b64 exec, exec, s[94:95]
.LBB6_7704:                             ;   in Loop: Header=BB6_5404 Depth=2
	s_or_b64 exec, exec, s[92:93]
.LBB6_7705:                             ;   in Loop: Header=BB6_5404 Depth=2
	s_or_b64 exec, exec, s[90:91]
	v_max_f32_e32 v21, v21, v21
	v_max_f32_e32 v20, v20, v20
	;; [unrolled: 1-line block ×3, first 2 shown]
	s_mov_b64 s[90:91], 0
.LBB6_7706:                             ;   in Loop: Header=BB6_5404 Depth=2
	s_and_b64 vcc, exec, s[90:91]
	s_cbranch_vccz .LBB6_7720
; %bb.7707:                             ;   in Loop: Header=BB6_5404 Depth=2
	v_mov_b32_e32 v21, 0
	v_mov_b32_e32 v20, 0
	s_and_saveexec_b64 s[90:91], s[20:21]
	s_cbranch_execz .LBB6_7713
; %bb.7708:                             ;   in Loop: Header=BB6_5404 Depth=2
	v_cmp_ne_u16_sdwa s[92:93], v15, s49 src0_sel:BYTE_0 src1_sel:DWORD
	v_bfrev_b32_e32 v20, 1
	s_and_saveexec_b64 s[20:21], s[92:93]
	s_cbranch_execz .LBB6_7712
; %bb.7709:                             ;   in Loop: Header=BB6_5404 Depth=2
	v_and_b32_e32 v26, 0x7f, v15
	v_cmp_ne_u32_e32 vcc, s51, v26
	v_mov_b32_e32 v20, 0x7f800001
	s_and_saveexec_b64 s[92:93], vcc
	s_cbranch_execz .LBB6_7711
; %bb.7710:                             ;   in Loop: Header=BB6_5404 Depth=2
	v_and_b32_e32 v20, 7, v15
	v_ffbh_u32_e32 v20, v20
	v_min_u32_e32 v20, 32, v20
	v_lshrrev_b32_e32 v27, 3, v26
	v_cmp_gt_u32_e32 vcc, 8, v26
	v_subrev_u32_e32 v26, 28, v20
	v_sub_u32_e32 v20, 29, v20
	v_cndmask_b32_e32 v26, 0, v26, vcc
	v_cndmask_b32_e32 v20, v27, v20, vcc
	v_lshlrev_b64 v[26:27], v26, v[2:3]
	v_lshlrev_b32_e32 v27, 24, v2
	v_lshlrev_b32_e32 v26, 20, v26
	v_and_b32_e32 v26, 0x700000, v26
	v_and_b32_e32 v27, 0x80000000, v27
	v_lshl_add_u32 v20, v20, 23, v5
	v_or3_b32 v20, v27, v20, v26
.LBB6_7711:                             ;   in Loop: Header=BB6_5404 Depth=2
	s_or_b64 exec, exec, s[92:93]
.LBB6_7712:                             ;   in Loop: Header=BB6_5404 Depth=2
	s_or_b64 exec, exec, s[20:21]
.LBB6_7713:                             ;   in Loop: Header=BB6_5404 Depth=2
	s_or_b64 exec, exec, s[90:91]
	v_cmp_ne_u16_sdwa s[90:91], v11, v3 src0_sel:BYTE_0 src1_sel:DWORD
	s_and_saveexec_b64 s[20:21], s[90:91]
	s_cbranch_execz .LBB6_7719
; %bb.7714:                             ;   in Loop: Header=BB6_5404 Depth=2
	v_cmp_ne_u16_sdwa s[92:93], v11, s49 src0_sel:BYTE_0 src1_sel:DWORD
	v_bfrev_b32_e32 v21, 1
	s_and_saveexec_b64 s[90:91], s[92:93]
	s_cbranch_execz .LBB6_7718
; %bb.7715:                             ;   in Loop: Header=BB6_5404 Depth=2
	v_and_b32_e32 v26, 0x7f, v11
	v_cmp_ne_u32_e32 vcc, s51, v26
	v_mov_b32_e32 v21, 0x7f800001
	s_and_saveexec_b64 s[92:93], vcc
	s_cbranch_execz .LBB6_7717
; %bb.7716:                             ;   in Loop: Header=BB6_5404 Depth=2
	v_and_b32_e32 v21, 7, v11
	v_ffbh_u32_e32 v21, v21
	v_min_u32_e32 v21, 32, v21
	v_lshrrev_b32_e32 v27, 3, v26
	v_cmp_gt_u32_e32 vcc, 8, v26
	v_subrev_u32_e32 v26, 28, v21
	v_sub_u32_e32 v21, 29, v21
	v_cndmask_b32_e32 v26, 0, v26, vcc
	v_cndmask_b32_e32 v21, v27, v21, vcc
	v_lshlrev_b64 v[26:27], v26, v[18:19]
	v_lshl_add_u32 v21, v21, 23, v5
	v_lshlrev_b32_e32 v19, 20, v26
	v_lshlrev_b32_e32 v26, 24, v18
	v_and_b32_e32 v19, 0x700000, v19
	v_and_b32_e32 v26, 0x80000000, v26
	v_or3_b32 v21, v26, v21, v19
.LBB6_7717:                             ;   in Loop: Header=BB6_5404 Depth=2
	s_or_b64 exec, exec, s[92:93]
.LBB6_7718:                             ;   in Loop: Header=BB6_5404 Depth=2
	s_or_b64 exec, exec, s[90:91]
.LBB6_7719:                             ;   in Loop: Header=BB6_5404 Depth=2
	s_or_b64 exec, exec, s[20:21]
	v_max_f32_e32 v19, v21, v21
	v_max_f32_e32 v20, v20, v20
	v_min_f32_e32 v20, v20, v19
.LBB6_7720:                             ;   in Loop: Header=BB6_5404 Depth=2
	v_and_b32_e32 v26, 0x7f800000, v20
	v_mov_b32_e32 v27, v3
	v_cmp_ne_u64_e32 vcc, s[62:63], v[26:27]
                                        ; implicit-def: $vgpr21
	s_and_saveexec_b64 s[20:21], vcc
	s_xor_b64 s[90:91], exec, s[20:21]
	s_cbranch_execz .LBB6_7734
; %bb.7721:                             ;   in Loop: Header=BB6_5404 Depth=2
	v_and_b32_e32 v26, 0x7fffffff, v20
	v_mov_b32_e32 v27, v3
	v_cmp_gt_u64_e32 vcc, s[72:73], v[26:27]
	v_and_b32_sdwa v26, v20, s49 dst_sel:DWORD dst_unused:UNUSED_PAD src0_sel:BYTE_3 src1_sel:DWORD
                                        ; implicit-def: $vgpr21
	s_and_saveexec_b64 s[20:21], vcc
	s_xor_b64 s[92:93], exec, s[20:21]
	s_cbranch_execz .LBB6_7731
; %bb.7722:                             ;   in Loop: Header=BB6_5404 Depth=2
	v_mov_b32_e32 v21, 0
	v_cmp_ne_u32_e32 vcc, 0, v20
	s_and_saveexec_b64 s[94:95], vcc
	s_cbranch_execz .LBB6_7730
; %bb.7723:                             ;   in Loop: Header=BB6_5404 Depth=2
	v_bfe_u32 v27, v20, 23, 8
	v_and_b32_e32 v19, 0x7fffff, v20
	v_cmp_gt_u32_e64 s[20:21], s53, v27
	v_sub_u32_e32 v20, 0x79, v27
	v_cmp_eq_u32_e32 vcc, 0, v27
	v_cndmask_b32_e64 v20, 0, v20, s[20:21]
	v_mov_b32_e32 v36, 0x78
	v_or_b32_e32 v21, 0x800000, v19
	v_cndmask_b32_e32 v55, v20, v36, vcc
	v_cndmask_b32_e32 v19, v21, v19, vcc
	v_add_u32_e32 v21, 20, v55
	v_lshlrev_b64 v[40:41], v21, -1
	v_mov_b32_e32 v20, v3
	v_add_u32_e32 v21, 19, v55
	v_bfi_b32 v40, v40, 0, v19
	v_lshlrev_b64 v[56:57], v21, 1
	v_lshrrev_b64 v[19:20], v55, v[19:20]
	v_bfi_b32 v41, v41, 0, 0
	v_cmp_eq_u64_e64 s[20:21], v[40:41], v[56:57]
	v_mov_b32_e32 v21, v20
	v_mov_b32_e32 v20, v19
	s_and_saveexec_b64 s[30:31], s[20:21]
; %bb.7724:                             ;   in Loop: Header=BB6_5404 Depth=2
	v_bfe_u32 v20, v19, 20, 1
	v_add_co_u32_e64 v20, s[20:21], v19, v20
	v_add_co_u32_e64 v20, s[20:21], -1, v20
; %bb.7725:                             ;   in Loop: Header=BB6_5404 Depth=2
	s_or_b64 exec, exec, s[30:31]
	v_add_u32_e32 v21, 0xffffff81, v27
	v_cndmask_b32_e32 v21, v21, v59, vcc
	v_lshrrev_b32_e32 v27, 23, v19
	v_add3_u32 v55, v55, v21, v27
	v_add_u32_e32 v27, 6, v55
	v_and_b32_e32 v20, 0xfffff, v20
	v_add_u32_e32 v19, v20, v19
	v_mov_b32_e32 v20, v3
	v_cmp_ne_u32_e32 vcc, 0, v27
                                        ; implicit-def: $vgpr21
	s_and_saveexec_b64 s[20:21], vcc
	s_xor_b64 s[20:21], exec, s[20:21]
; %bb.7726:                             ;   in Loop: Header=BB6_5404 Depth=2
	v_cmp_lt_u64_e32 vcc, s[74:75], v[19:20]
	v_add_u32_e32 v21, 7, v55
	v_cndmask_b32_e32 v21, v27, v21, vcc
	v_cndmask_b32_e64 v27, 0, 1, vcc
	v_lshrrev_b64 v[19:20], v27, v[19:20]
; %bb.7727:                             ;   in Loop: Header=BB6_5404 Depth=2
	s_andn2_saveexec_b64 s[20:21], s[20:21]
; %bb.7728:                             ;   in Loop: Header=BB6_5404 Depth=2
	v_bfe_u32 v21, v19, 23, 1
; %bb.7729:                             ;   in Loop: Header=BB6_5404 Depth=2
	s_or_b64 exec, exec, s[20:21]
	v_lshrrev_b64 v[19:20], 20, v[19:20]
	v_cmp_gt_i32_e32 vcc, 16, v21
	v_cndmask_b32_e32 v20, 0, v20, vcc
	v_cndmask_b32_e32 v19, 7, v19, vcc
	v_cmp_eq_u64_e64 s[20:21], 0, v[19:20]
	v_min_i32_e32 v20, 15, v21
	v_lshlrev_b32_e32 v20, 3, v20
	v_cmp_eq_u32_e32 vcc, 0, v21
	v_and_b32_e32 v20, 0xf8, v20
	v_and_or_b32 v19, v19, 7, v20
	s_and_b64 s[20:21], vcc, s[20:21]
	v_cndmask_b32_e64 v19, v19, 0, s[20:21]
	v_or_b32_e32 v21, v19, v26
.LBB6_7730:                             ;   in Loop: Header=BB6_5404 Depth=2
	s_or_b64 exec, exec, s[94:95]
                                        ; implicit-def: $vgpr26
.LBB6_7731:                             ;   in Loop: Header=BB6_5404 Depth=2
	s_andn2_saveexec_b64 s[20:21], s[92:93]
; %bb.7732:                             ;   in Loop: Header=BB6_5404 Depth=2
	v_or_b32_e32 v21, 0x7e, v26
; %bb.7733:                             ;   in Loop: Header=BB6_5404 Depth=2
	s_or_b64 exec, exec, s[20:21]
                                        ; implicit-def: $vgpr20
.LBB6_7734:                             ;   in Loop: Header=BB6_5404 Depth=2
	s_andn2_saveexec_b64 s[20:21], s[90:91]
; %bb.7735:                             ;   in Loop: Header=BB6_5404 Depth=2
	v_or_b32_sdwa v21, v20, s51 dst_sel:DWORD dst_unused:UNUSED_PAD src0_sel:BYTE_3 src1_sel:DWORD
; %bb.7736:                             ;   in Loop: Header=BB6_5404 Depth=2
	s_or_b64 exec, exec, s[20:21]
	v_lshrrev_b16_e32 v20, 8, v2
	v_lshrrev_b16_e32 v19, 8, v18
	v_cmp_ne_u16_e64 s[20:21], 0, v20
	s_and_b64 vcc, exec, s[18:19]
	s_mov_b64 s[90:91], -1
                                        ; implicit-def: $vgpr55
	s_cbranch_vccnz .LBB6_7750
; %bb.7737:                             ;   in Loop: Header=BB6_5404 Depth=2
	v_mov_b32_e32 v27, 0
	v_mov_b32_e32 v26, 0
	s_and_saveexec_b64 s[90:91], s[20:21]
	s_cbranch_execz .LBB6_7743
; %bb.7738:                             ;   in Loop: Header=BB6_5404 Depth=2
	v_cmp_ne_u16_e32 vcc, s49, v20
	v_bfrev_b32_e32 v26, 1
	s_and_saveexec_b64 s[92:93], vcc
	s_cbranch_execz .LBB6_7742
; %bb.7739:                             ;   in Loop: Header=BB6_5404 Depth=2
	v_and_b32_e32 v55, 0x7f, v20
	v_cmp_ne_u32_e32 vcc, s51, v55
	v_mov_b32_e32 v26, 0x7f800001
	s_and_saveexec_b64 s[94:95], vcc
	s_cbranch_execz .LBB6_7741
; %bb.7740:                             ;   in Loop: Header=BB6_5404 Depth=2
	v_and_b32_e32 v26, 7, v20
	v_ffbh_u32_e32 v37, v26
	v_min_u32_e32 v37, 32, v37
	v_lshrrev_b32_e32 v36, 3, v55
	v_cmp_gt_u32_e32 vcc, 8, v55
	v_subrev_u32_e32 v55, 28, v37
	v_lshlrev_b64 v[40:41], v55, v[20:21]
	v_sub_u32_e32 v37, 29, v37
	v_and_b32_e32 v55, 7, v40
	v_cndmask_b32_e32 v36, v36, v37, vcc
	v_cndmask_b32_e32 v26, v26, v55, vcc
	v_lshlrev_b32_e32 v37, 16, v2
	v_lshlrev_b32_e32 v26, 20, v26
	v_and_b32_e32 v37, 0x80000000, v37
	v_lshl_add_u32 v36, v36, 23, v5
	v_or3_b32 v26, v37, v36, v26
.LBB6_7741:                             ;   in Loop: Header=BB6_5404 Depth=2
	s_or_b64 exec, exec, s[94:95]
.LBB6_7742:                             ;   in Loop: Header=BB6_5404 Depth=2
	s_or_b64 exec, exec, s[92:93]
.LBB6_7743:                             ;   in Loop: Header=BB6_5404 Depth=2
	s_or_b64 exec, exec, s[90:91]
	v_cmp_ne_u16_e32 vcc, 0, v19
	s_and_saveexec_b64 s[90:91], vcc
	s_cbranch_execz .LBB6_7749
; %bb.7744:                             ;   in Loop: Header=BB6_5404 Depth=2
	v_cmp_ne_u16_e32 vcc, s49, v19
	v_bfrev_b32_e32 v27, 1
	s_and_saveexec_b64 s[92:93], vcc
	s_cbranch_execz .LBB6_7748
; %bb.7745:                             ;   in Loop: Header=BB6_5404 Depth=2
	v_and_b32_e32 v55, 0x7f, v19
	v_cmp_ne_u32_e32 vcc, s51, v55
	v_mov_b32_e32 v27, 0x7f800001
	s_and_saveexec_b64 s[94:95], vcc
	s_cbranch_execz .LBB6_7747
; %bb.7746:                             ;   in Loop: Header=BB6_5404 Depth=2
	v_and_b32_e32 v27, 7, v19
	v_ffbh_u32_e32 v37, v27
	v_min_u32_e32 v37, 32, v37
	v_lshrrev_b32_e32 v36, 3, v55
	v_cmp_gt_u32_e32 vcc, 8, v55
	v_subrev_u32_e32 v55, 28, v37
	v_lshlrev_b64 v[40:41], v55, v[19:20]
	v_sub_u32_e32 v37, 29, v37
	v_and_b32_e32 v55, 7, v40
	v_cndmask_b32_e32 v36, v36, v37, vcc
	v_cndmask_b32_e32 v27, v27, v55, vcc
	v_lshlrev_b32_e32 v37, 16, v18
	v_lshlrev_b32_e32 v27, 20, v27
	v_and_b32_e32 v37, 0x80000000, v37
	v_lshl_add_u32 v36, v36, 23, v5
	v_or3_b32 v27, v37, v36, v27
.LBB6_7747:                             ;   in Loop: Header=BB6_5404 Depth=2
	s_or_b64 exec, exec, s[94:95]
.LBB6_7748:                             ;   in Loop: Header=BB6_5404 Depth=2
	s_or_b64 exec, exec, s[92:93]
.LBB6_7749:                             ;   in Loop: Header=BB6_5404 Depth=2
	s_or_b64 exec, exec, s[90:91]
	v_max_f32_e32 v27, v27, v27
	v_max_f32_e32 v26, v26, v26
	;; [unrolled: 1-line block ×3, first 2 shown]
	s_mov_b64 s[90:91], 0
.LBB6_7750:                             ;   in Loop: Header=BB6_5404 Depth=2
	s_and_b64 vcc, exec, s[90:91]
	s_cbranch_vccz .LBB6_7764
; %bb.7751:                             ;   in Loop: Header=BB6_5404 Depth=2
	v_mov_b32_e32 v27, 0
	v_mov_b32_e32 v26, 0
	s_and_saveexec_b64 s[90:91], s[20:21]
	s_cbranch_execz .LBB6_7757
; %bb.7752:                             ;   in Loop: Header=BB6_5404 Depth=2
	v_cmp_ne_u16_e32 vcc, s49, v20
	v_bfrev_b32_e32 v26, 1
	s_and_saveexec_b64 s[20:21], vcc
	s_cbranch_execz .LBB6_7756
; %bb.7753:                             ;   in Loop: Header=BB6_5404 Depth=2
	v_and_b32_e32 v55, 0x7f, v20
	v_cmp_ne_u32_e32 vcc, s51, v55
	v_mov_b32_e32 v26, 0x7f800001
	s_and_saveexec_b64 s[92:93], vcc
	s_cbranch_execz .LBB6_7755
; %bb.7754:                             ;   in Loop: Header=BB6_5404 Depth=2
	v_and_b32_e32 v26, 7, v20
	v_ffbh_u32_e32 v37, v26
	v_min_u32_e32 v37, 32, v37
	v_lshrrev_b32_e32 v36, 3, v55
	v_cmp_gt_u32_e32 vcc, 8, v55
	v_subrev_u32_e32 v55, 28, v37
	v_lshlrev_b64 v[40:41], v55, v[20:21]
	v_sub_u32_e32 v20, 29, v37
	v_and_b32_e32 v37, 7, v40
	v_cndmask_b32_e32 v20, v36, v20, vcc
	v_cndmask_b32_e32 v26, v26, v37, vcc
	v_lshlrev_b32_e32 v2, 16, v2
	v_lshlrev_b32_e32 v26, 20, v26
	v_and_b32_e32 v2, 0x80000000, v2
	v_lshl_add_u32 v20, v20, 23, v5
	v_or3_b32 v26, v2, v20, v26
.LBB6_7755:                             ;   in Loop: Header=BB6_5404 Depth=2
	s_or_b64 exec, exec, s[92:93]
.LBB6_7756:                             ;   in Loop: Header=BB6_5404 Depth=2
	s_or_b64 exec, exec, s[20:21]
.LBB6_7757:                             ;   in Loop: Header=BB6_5404 Depth=2
	s_or_b64 exec, exec, s[90:91]
	v_cmp_ne_u16_e32 vcc, 0, v19
	s_and_saveexec_b64 s[20:21], vcc
	s_cbranch_execz .LBB6_7763
; %bb.7758:                             ;   in Loop: Header=BB6_5404 Depth=2
	v_cmp_ne_u16_e32 vcc, s49, v19
	v_bfrev_b32_e32 v27, 1
	s_and_saveexec_b64 s[90:91], vcc
	s_cbranch_execz .LBB6_7762
; %bb.7759:                             ;   in Loop: Header=BB6_5404 Depth=2
	v_and_b32_e32 v2, 0x7f, v19
	v_cmp_ne_u32_e32 vcc, s51, v2
	v_mov_b32_e32 v27, 0x7f800001
	s_and_saveexec_b64 s[92:93], vcc
	s_cbranch_execz .LBB6_7761
; %bb.7760:                             ;   in Loop: Header=BB6_5404 Depth=2
	v_and_b32_e32 v27, 7, v19
	v_lshrrev_b32_e32 v36, 3, v2
	v_cmp_gt_u32_e32 vcc, 8, v2
	v_ffbh_u32_e32 v2, v27
	v_min_u32_e32 v2, 32, v2
	v_subrev_u32_e32 v20, 28, v2
	v_lshlrev_b64 v[19:20], v20, v[19:20]
	v_sub_u32_e32 v2, 29, v2
	v_and_b32_e32 v19, 7, v19
	v_cndmask_b32_e32 v2, v36, v2, vcc
	v_cndmask_b32_e32 v19, v27, v19, vcc
	v_lshlrev_b32_e32 v18, 16, v18
	v_lshlrev_b32_e32 v19, 20, v19
	v_and_b32_e32 v18, 0x80000000, v18
	v_lshl_add_u32 v2, v2, 23, v5
	v_or3_b32 v27, v18, v2, v19
.LBB6_7761:                             ;   in Loop: Header=BB6_5404 Depth=2
	s_or_b64 exec, exec, s[92:93]
.LBB6_7762:                             ;   in Loop: Header=BB6_5404 Depth=2
	s_or_b64 exec, exec, s[90:91]
.LBB6_7763:                             ;   in Loop: Header=BB6_5404 Depth=2
	s_or_b64 exec, exec, s[20:21]
	v_max_f32_e32 v2, v27, v27
	v_max_f32_e32 v18, v26, v26
	v_min_f32_e32 v55, v18, v2
.LBB6_7764:                             ;   in Loop: Header=BB6_5404 Depth=2
	v_and_b32_e32 v2, 0x7f800000, v55
	v_cmp_ne_u64_e32 vcc, s[62:63], v[2:3]
                                        ; implicit-def: $vgpr26
	s_and_saveexec_b64 s[20:21], vcc
	s_xor_b64 s[90:91], exec, s[20:21]
	s_cbranch_execz .LBB6_7778
; %bb.7765:                             ;   in Loop: Header=BB6_5404 Depth=2
	v_and_b32_e32 v2, 0x7fffffff, v55
	v_cmp_gt_u64_e32 vcc, s[72:73], v[2:3]
	v_and_b32_sdwa v27, v55, s49 dst_sel:DWORD dst_unused:UNUSED_PAD src0_sel:BYTE_3 src1_sel:DWORD
                                        ; implicit-def: $vgpr26
	s_and_saveexec_b64 s[20:21], vcc
	s_xor_b64 s[92:93], exec, s[20:21]
	s_cbranch_execz .LBB6_7775
; %bb.7766:                             ;   in Loop: Header=BB6_5404 Depth=2
	v_mov_b32_e32 v26, 0
	v_cmp_ne_u32_e32 vcc, 0, v55
	s_and_saveexec_b64 s[94:95], vcc
	s_cbranch_execz .LBB6_7774
; %bb.7767:                             ;   in Loop: Header=BB6_5404 Depth=2
	v_bfe_u32 v26, v55, 23, 8
	v_cmp_gt_u32_e64 s[20:21], s53, v26
	v_sub_u32_e32 v18, 0x79, v26
	v_cmp_eq_u32_e32 vcc, 0, v26
	v_cndmask_b32_e64 v18, 0, v18, s[20:21]
	v_mov_b32_e32 v20, 0x78
	v_and_b32_e32 v2, 0x7fffff, v55
	v_cndmask_b32_e32 v55, v18, v20, vcc
	v_or_b32_e32 v19, 0x800000, v2
	v_add_u32_e32 v18, 20, v55
	v_cndmask_b32_e32 v2, v19, v2, vcc
	v_lshlrev_b64 v[18:19], v18, -1
	v_add_u32_e32 v20, 19, v55
	v_lshlrev_b64 v[40:41], v20, 1
	v_bfi_b32 v19, v19, 0, 0
	v_bfi_b32 v18, v18, 0, v2
	v_cmp_eq_u64_e64 s[20:21], v[18:19], v[40:41]
	v_lshrrev_b64 v[18:19], v55, v[2:3]
	v_mov_b32_e32 v20, v19
	v_mov_b32_e32 v19, v18
	s_and_saveexec_b64 s[30:31], s[20:21]
; %bb.7768:                             ;   in Loop: Header=BB6_5404 Depth=2
	v_bfe_u32 v2, v18, 20, 1
	v_add_co_u32_e64 v2, s[20:21], v18, v2
	v_add_co_u32_e64 v19, s[20:21], -1, v2
; %bb.7769:                             ;   in Loop: Header=BB6_5404 Depth=2
	s_or_b64 exec, exec, s[30:31]
	v_add_u32_e32 v2, 0xffffff81, v26
	v_cndmask_b32_e32 v2, v2, v59, vcc
	v_lshrrev_b32_e32 v20, 23, v18
	v_add3_u32 v55, v55, v2, v20
	v_add_u32_e32 v26, 6, v55
	v_and_b32_e32 v2, 0xfffff, v19
	v_add_u32_e32 v2, v2, v18
	v_cmp_ne_u32_e32 vcc, 0, v26
                                        ; implicit-def: $vgpr18_vgpr19
                                        ; implicit-def: $vgpr20
	s_and_saveexec_b64 s[20:21], vcc
	s_xor_b64 s[20:21], exec, s[20:21]
; %bb.7770:                             ;   in Loop: Header=BB6_5404 Depth=2
	v_cmp_lt_u64_e32 vcc, s[74:75], v[2:3]
	v_add_u32_e32 v18, 7, v55
	v_cndmask_b32_e32 v20, v26, v18, vcc
	v_cndmask_b32_e64 v18, 0, 1, vcc
	v_lshrrev_b64 v[18:19], v18, v[2:3]
; %bb.7771:                             ;   in Loop: Header=BB6_5404 Depth=2
	s_andn2_saveexec_b64 s[20:21], s[20:21]
; %bb.7772:                             ;   in Loop: Header=BB6_5404 Depth=2
	v_mov_b32_e32 v19, v3
	v_bfe_u32 v20, v2, 23, 1
	v_mov_b32_e32 v18, v2
; %bb.7773:                             ;   in Loop: Header=BB6_5404 Depth=2
	s_or_b64 exec, exec, s[20:21]
	v_lshrrev_b64 v[18:19], 20, v[18:19]
	v_cmp_gt_i32_e32 vcc, 16, v20
	v_cndmask_b32_e32 v19, 0, v19, vcc
	v_cndmask_b32_e32 v18, 7, v18, vcc
	v_min_i32_e32 v2, 15, v20
	v_cmp_eq_u64_e64 s[20:21], 0, v[18:19]
	v_lshlrev_b32_e32 v2, 3, v2
	v_cmp_eq_u32_e32 vcc, 0, v20
	v_and_b32_e32 v2, 0xf8, v2
	v_and_or_b32 v2, v18, 7, v2
	s_and_b64 s[20:21], vcc, s[20:21]
	v_cndmask_b32_e64 v2, v2, 0, s[20:21]
	v_or_b32_e32 v26, v2, v27
.LBB6_7774:                             ;   in Loop: Header=BB6_5404 Depth=2
	s_or_b64 exec, exec, s[94:95]
                                        ; implicit-def: $vgpr27
.LBB6_7775:                             ;   in Loop: Header=BB6_5404 Depth=2
	s_andn2_saveexec_b64 s[20:21], s[92:93]
; %bb.7776:                             ;   in Loop: Header=BB6_5404 Depth=2
	v_or_b32_e32 v26, 0x7e, v27
; %bb.7777:                             ;   in Loop: Header=BB6_5404 Depth=2
	s_or_b64 exec, exec, s[20:21]
                                        ; implicit-def: $vgpr55
.LBB6_7778:                             ;   in Loop: Header=BB6_5404 Depth=2
	s_andn2_saveexec_b64 s[20:21], s[90:91]
; %bb.7779:                             ;   in Loop: Header=BB6_5404 Depth=2
	v_or_b32_sdwa v26, v55, s51 dst_sel:DWORD dst_unused:UNUSED_PAD src0_sel:BYTE_3 src1_sel:DWORD
; %bb.7780:                             ;   in Loop: Header=BB6_5404 Depth=2
	s_or_b64 exec, exec, s[20:21]
	v_lshrrev_b32_e32 v18, 16, v15
	v_lshrrev_b32_e32 v2, 16, v11
	v_cmp_ne_u16_sdwa s[20:21], v18, v3 src0_sel:BYTE_0 src1_sel:DWORD
	s_and_b64 vcc, exec, s[18:19]
	s_mov_b64 s[90:91], -1
                                        ; implicit-def: $vgpr19
	s_cbranch_vccnz .LBB6_7794
; %bb.7781:                             ;   in Loop: Header=BB6_5404 Depth=2
	v_mov_b32_e32 v20, 0
	v_mov_b32_e32 v19, 0
	s_and_saveexec_b64 s[90:91], s[20:21]
	s_cbranch_execz .LBB6_7787
; %bb.7782:                             ;   in Loop: Header=BB6_5404 Depth=2
	v_cmp_ne_u16_sdwa s[94:95], v18, s49 src0_sel:BYTE_0 src1_sel:DWORD
	v_bfrev_b32_e32 v19, 1
	s_and_saveexec_b64 s[92:93], s[94:95]
	s_cbranch_execz .LBB6_7786
; %bb.7783:                             ;   in Loop: Header=BB6_5404 Depth=2
	v_bfe_u32 v27, v15, 16, 7
	v_cmp_ne_u32_e32 vcc, s51, v27
	v_mov_b32_e32 v19, 0x7f800001
	s_and_saveexec_b64 s[94:95], vcc
	s_cbranch_execz .LBB6_7785
; %bb.7784:                             ;   in Loop: Header=BB6_5404 Depth=2
	v_and_b32_e32 v19, 7, v18
	v_lshrrev_b32_e32 v36, 3, v27
	v_cmp_gt_u32_e32 vcc, 8, v27
	v_ffbh_u32_e32 v27, v19
	v_min_u32_e32 v27, 32, v27
	v_subrev_u32_e32 v37, 28, v27
	v_lshlrev_b64 v[40:41], v37, v[18:19]
	v_sub_u32_e32 v27, 29, v27
	v_and_b32_e32 v37, 7, v40
	v_cndmask_b32_e32 v27, v36, v27, vcc
	v_cndmask_b32_e32 v19, v19, v37, vcc
	v_lshlrev_b32_e32 v36, 24, v18
	v_lshlrev_b32_e32 v19, 20, v19
	v_and_b32_e32 v36, 0x80000000, v36
	v_lshl_add_u32 v27, v27, 23, v5
	v_or3_b32 v19, v36, v27, v19
.LBB6_7785:                             ;   in Loop: Header=BB6_5404 Depth=2
	s_or_b64 exec, exec, s[94:95]
.LBB6_7786:                             ;   in Loop: Header=BB6_5404 Depth=2
	s_or_b64 exec, exec, s[92:93]
.LBB6_7787:                             ;   in Loop: Header=BB6_5404 Depth=2
	s_or_b64 exec, exec, s[90:91]
	v_cmp_ne_u16_sdwa s[92:93], v2, v3 src0_sel:BYTE_0 src1_sel:DWORD
	s_and_saveexec_b64 s[90:91], s[92:93]
	s_cbranch_execz .LBB6_7793
; %bb.7788:                             ;   in Loop: Header=BB6_5404 Depth=2
	v_cmp_ne_u16_sdwa s[94:95], v2, s49 src0_sel:BYTE_0 src1_sel:DWORD
	v_bfrev_b32_e32 v20, 1
	s_and_saveexec_b64 s[92:93], s[94:95]
	s_cbranch_execz .LBB6_7792
; %bb.7789:                             ;   in Loop: Header=BB6_5404 Depth=2
	v_bfe_u32 v27, v11, 16, 7
	v_cmp_ne_u32_e32 vcc, s51, v27
	v_mov_b32_e32 v20, 0x7f800001
	s_and_saveexec_b64 s[94:95], vcc
	s_cbranch_execz .LBB6_7791
; %bb.7790:                             ;   in Loop: Header=BB6_5404 Depth=2
	v_and_b32_e32 v20, 7, v2
	v_lshrrev_b32_e32 v36, 3, v27
	v_cmp_gt_u32_e32 vcc, 8, v27
	v_ffbh_u32_e32 v27, v20
	v_min_u32_e32 v27, 32, v27
	v_subrev_u32_e32 v37, 28, v27
	v_lshlrev_b64 v[40:41], v37, v[2:3]
	v_sub_u32_e32 v27, 29, v27
	v_and_b32_e32 v37, 7, v40
	v_cndmask_b32_e32 v27, v36, v27, vcc
	v_cndmask_b32_e32 v20, v20, v37, vcc
	v_lshlrev_b32_e32 v36, 24, v2
	v_lshlrev_b32_e32 v20, 20, v20
	v_and_b32_e32 v36, 0x80000000, v36
	v_lshl_add_u32 v27, v27, 23, v5
	v_or3_b32 v20, v36, v27, v20
.LBB6_7791:                             ;   in Loop: Header=BB6_5404 Depth=2
	s_or_b64 exec, exec, s[94:95]
.LBB6_7792:                             ;   in Loop: Header=BB6_5404 Depth=2
	s_or_b64 exec, exec, s[92:93]
.LBB6_7793:                             ;   in Loop: Header=BB6_5404 Depth=2
	s_or_b64 exec, exec, s[90:91]
	v_max_f32_e32 v20, v20, v20
	v_max_f32_e32 v19, v19, v19
	;; [unrolled: 1-line block ×3, first 2 shown]
	s_mov_b64 s[90:91], 0
.LBB6_7794:                             ;   in Loop: Header=BB6_5404 Depth=2
	s_and_b64 vcc, exec, s[90:91]
	s_cbranch_vccz .LBB6_7808
; %bb.7795:                             ;   in Loop: Header=BB6_5404 Depth=2
	v_mov_b32_e32 v20, 0
	v_mov_b32_e32 v19, 0
	s_and_saveexec_b64 s[90:91], s[20:21]
	s_cbranch_execz .LBB6_7801
; %bb.7796:                             ;   in Loop: Header=BB6_5404 Depth=2
	v_cmp_ne_u16_sdwa s[92:93], v18, s49 src0_sel:BYTE_0 src1_sel:DWORD
	v_bfrev_b32_e32 v19, 1
	s_and_saveexec_b64 s[20:21], s[92:93]
	s_cbranch_execz .LBB6_7800
; %bb.7797:                             ;   in Loop: Header=BB6_5404 Depth=2
	v_bfe_u32 v27, v15, 16, 7
	v_cmp_ne_u32_e32 vcc, s51, v27
	v_mov_b32_e32 v19, 0x7f800001
	s_and_saveexec_b64 s[92:93], vcc
	s_cbranch_execz .LBB6_7799
; %bb.7798:                             ;   in Loop: Header=BB6_5404 Depth=2
	v_and_b32_e32 v19, 7, v18
	v_lshrrev_b32_e32 v36, 3, v27
	v_cmp_gt_u32_e32 vcc, 8, v27
	v_ffbh_u32_e32 v27, v19
	v_min_u32_e32 v27, 32, v27
	v_subrev_u32_e32 v37, 28, v27
	v_lshlrev_b64 v[40:41], v37, v[18:19]
	v_sub_u32_e32 v27, 29, v27
	v_and_b32_e32 v37, 7, v40
	v_cndmask_b32_e32 v27, v36, v27, vcc
	v_cndmask_b32_e32 v19, v19, v37, vcc
	v_lshlrev_b32_e32 v18, 24, v18
	v_lshlrev_b32_e32 v19, 20, v19
	v_and_b32_e32 v18, 0x80000000, v18
	v_lshl_add_u32 v27, v27, 23, v5
	v_or3_b32 v19, v18, v27, v19
.LBB6_7799:                             ;   in Loop: Header=BB6_5404 Depth=2
	s_or_b64 exec, exec, s[92:93]
.LBB6_7800:                             ;   in Loop: Header=BB6_5404 Depth=2
	s_or_b64 exec, exec, s[20:21]
.LBB6_7801:                             ;   in Loop: Header=BB6_5404 Depth=2
	s_or_b64 exec, exec, s[90:91]
	v_cmp_ne_u16_sdwa s[90:91], v2, v3 src0_sel:BYTE_0 src1_sel:DWORD
	s_and_saveexec_b64 s[20:21], s[90:91]
	s_cbranch_execz .LBB6_7807
; %bb.7802:                             ;   in Loop: Header=BB6_5404 Depth=2
	v_cmp_ne_u16_sdwa s[92:93], v2, s49 src0_sel:BYTE_0 src1_sel:DWORD
	v_bfrev_b32_e32 v20, 1
	s_and_saveexec_b64 s[90:91], s[92:93]
	s_cbranch_execz .LBB6_7806
; %bb.7803:                             ;   in Loop: Header=BB6_5404 Depth=2
	v_bfe_u32 v18, v11, 16, 7
	v_cmp_ne_u32_e32 vcc, s51, v18
	v_mov_b32_e32 v20, 0x7f800001
	s_and_saveexec_b64 s[92:93], vcc
	s_cbranch_execz .LBB6_7805
; %bb.7804:                             ;   in Loop: Header=BB6_5404 Depth=2
	v_and_b32_e32 v20, 7, v2
	v_lshrrev_b32_e32 v27, 3, v18
	v_cmp_gt_u32_e32 vcc, 8, v18
	v_ffbh_u32_e32 v18, v20
	v_min_u32_e32 v18, 32, v18
	v_subrev_u32_e32 v36, 28, v18
	v_lshlrev_b64 v[40:41], v36, v[2:3]
	v_sub_u32_e32 v18, 29, v18
	v_and_b32_e32 v36, 7, v40
	v_cndmask_b32_e32 v18, v27, v18, vcc
	v_cndmask_b32_e32 v20, v20, v36, vcc
	v_lshlrev_b32_e32 v2, 24, v2
	v_lshlrev_b32_e32 v20, 20, v20
	v_and_b32_e32 v2, 0x80000000, v2
	v_lshl_add_u32 v18, v18, 23, v5
	v_or3_b32 v20, v2, v18, v20
.LBB6_7805:                             ;   in Loop: Header=BB6_5404 Depth=2
	s_or_b64 exec, exec, s[92:93]
.LBB6_7806:                             ;   in Loop: Header=BB6_5404 Depth=2
	s_or_b64 exec, exec, s[90:91]
.LBB6_7807:                             ;   in Loop: Header=BB6_5404 Depth=2
	s_or_b64 exec, exec, s[20:21]
	v_max_f32_e32 v2, v20, v20
	v_max_f32_e32 v18, v19, v19
	v_min_f32_e32 v19, v18, v2
.LBB6_7808:                             ;   in Loop: Header=BB6_5404 Depth=2
	v_and_b32_e32 v2, 0x7f800000, v19
	v_cmp_ne_u64_e32 vcc, s[62:63], v[2:3]
                                        ; implicit-def: $vgpr20
	s_and_saveexec_b64 s[20:21], vcc
	s_xor_b64 s[90:91], exec, s[20:21]
	s_cbranch_execz .LBB6_7822
; %bb.7809:                             ;   in Loop: Header=BB6_5404 Depth=2
	v_and_b32_e32 v2, 0x7fffffff, v19
	v_cmp_gt_u64_e32 vcc, s[72:73], v[2:3]
	v_and_b32_sdwa v27, v19, s49 dst_sel:DWORD dst_unused:UNUSED_PAD src0_sel:BYTE_3 src1_sel:DWORD
                                        ; implicit-def: $vgpr20
	s_and_saveexec_b64 s[20:21], vcc
	s_xor_b64 s[92:93], exec, s[20:21]
	s_cbranch_execz .LBB6_7819
; %bb.7810:                             ;   in Loop: Header=BB6_5404 Depth=2
	v_mov_b32_e32 v20, 0
	v_cmp_ne_u32_e32 vcc, 0, v19
	s_and_saveexec_b64 s[94:95], vcc
	s_cbranch_execz .LBB6_7818
; %bb.7811:                             ;   in Loop: Header=BB6_5404 Depth=2
	v_bfe_u32 v55, v19, 23, 8
	v_cmp_gt_u32_e64 s[20:21], s53, v55
	v_sub_u32_e32 v18, 0x79, v55
	v_cmp_eq_u32_e32 vcc, 0, v55
	v_cndmask_b32_e64 v18, 0, v18, s[20:21]
	v_mov_b32_e32 v20, 0x78
	v_and_b32_e32 v2, 0x7fffff, v19
	v_cndmask_b32_e32 v40, v18, v20, vcc
	v_or_b32_e32 v19, 0x800000, v2
	v_add_u32_e32 v18, 20, v40
	v_cndmask_b32_e32 v2, v19, v2, vcc
	v_lshlrev_b64 v[18:19], v18, -1
	v_add_u32_e32 v20, 19, v40
	v_lshlrev_b64 v[56:57], v20, 1
	v_bfi_b32 v19, v19, 0, 0
	v_bfi_b32 v18, v18, 0, v2
	v_cmp_eq_u64_e64 s[20:21], v[18:19], v[56:57]
	v_lshrrev_b64 v[18:19], v40, v[2:3]
	v_mov_b32_e32 v20, v19
	v_mov_b32_e32 v19, v18
	s_and_saveexec_b64 s[30:31], s[20:21]
; %bb.7812:                             ;   in Loop: Header=BB6_5404 Depth=2
	v_bfe_u32 v2, v18, 20, 1
	v_add_co_u32_e64 v2, s[20:21], v18, v2
	v_add_co_u32_e64 v19, s[20:21], -1, v2
; %bb.7813:                             ;   in Loop: Header=BB6_5404 Depth=2
	s_or_b64 exec, exec, s[30:31]
	v_add_u32_e32 v2, 0xffffff81, v55
	v_cndmask_b32_e32 v2, v2, v59, vcc
	v_lshrrev_b32_e32 v20, 23, v18
	v_add3_u32 v40, v40, v2, v20
	v_add_u32_e32 v55, 6, v40
	v_and_b32_e32 v2, 0xfffff, v19
	v_add_u32_e32 v2, v2, v18
	v_cmp_ne_u32_e32 vcc, 0, v55
                                        ; implicit-def: $vgpr18_vgpr19
                                        ; implicit-def: $vgpr20
	s_and_saveexec_b64 s[20:21], vcc
	s_xor_b64 s[20:21], exec, s[20:21]
; %bb.7814:                             ;   in Loop: Header=BB6_5404 Depth=2
	v_cmp_lt_u64_e32 vcc, s[74:75], v[2:3]
	v_add_u32_e32 v18, 7, v40
	v_cndmask_b32_e32 v20, v55, v18, vcc
	v_cndmask_b32_e64 v18, 0, 1, vcc
	v_lshrrev_b64 v[18:19], v18, v[2:3]
; %bb.7815:                             ;   in Loop: Header=BB6_5404 Depth=2
	s_andn2_saveexec_b64 s[20:21], s[20:21]
; %bb.7816:                             ;   in Loop: Header=BB6_5404 Depth=2
	v_mov_b32_e32 v19, v3
	v_bfe_u32 v20, v2, 23, 1
	v_mov_b32_e32 v18, v2
; %bb.7817:                             ;   in Loop: Header=BB6_5404 Depth=2
	s_or_b64 exec, exec, s[20:21]
	v_lshrrev_b64 v[18:19], 20, v[18:19]
	v_cmp_gt_i32_e32 vcc, 16, v20
	v_cndmask_b32_e32 v19, 0, v19, vcc
	v_cndmask_b32_e32 v18, 7, v18, vcc
	v_min_i32_e32 v2, 15, v20
	v_cmp_eq_u64_e64 s[20:21], 0, v[18:19]
	v_lshlrev_b32_e32 v2, 3, v2
	v_cmp_eq_u32_e32 vcc, 0, v20
	v_and_b32_e32 v2, 0xf8, v2
	v_and_or_b32 v2, v18, 7, v2
	s_and_b64 s[20:21], vcc, s[20:21]
	v_cndmask_b32_e64 v2, v2, 0, s[20:21]
	v_or_b32_e32 v20, v2, v27
.LBB6_7818:                             ;   in Loop: Header=BB6_5404 Depth=2
	s_or_b64 exec, exec, s[94:95]
                                        ; implicit-def: $vgpr27
.LBB6_7819:                             ;   in Loop: Header=BB6_5404 Depth=2
	s_andn2_saveexec_b64 s[20:21], s[92:93]
; %bb.7820:                             ;   in Loop: Header=BB6_5404 Depth=2
	v_or_b32_e32 v20, 0x7e, v27
; %bb.7821:                             ;   in Loop: Header=BB6_5404 Depth=2
	s_or_b64 exec, exec, s[20:21]
                                        ; implicit-def: $vgpr19
.LBB6_7822:                             ;   in Loop: Header=BB6_5404 Depth=2
	s_andn2_saveexec_b64 s[20:21], s[90:91]
; %bb.7823:                             ;   in Loop: Header=BB6_5404 Depth=2
	v_or_b32_sdwa v20, v19, s51 dst_sel:DWORD dst_unused:UNUSED_PAD src0_sel:BYTE_3 src1_sel:DWORD
; %bb.7824:                             ;   in Loop: Header=BB6_5404 Depth=2
	s_or_b64 exec, exec, s[20:21]
	v_cmp_lt_u64_e64 s[20:21], s[76:77], v[14:15]
	v_lshrrev_b32_e32 v18, 24, v15
	v_lshrrev_b32_e32 v2, 24, v11
	s_and_b64 vcc, exec, s[18:19]
	s_mov_b64 s[90:91], -1
                                        ; implicit-def: $vgpr14
	s_cbranch_vccnz .LBB6_7838
; %bb.7825:                             ;   in Loop: Header=BB6_5404 Depth=2
	v_mov_b32_e32 v19, 0
	v_mov_b32_e32 v14, 0
	s_and_saveexec_b64 s[90:91], s[20:21]
	s_cbranch_execz .LBB6_7831
; %bb.7826:                             ;   in Loop: Header=BB6_5404 Depth=2
	v_cmp_ne_u32_e32 vcc, s49, v18
	v_bfrev_b32_e32 v14, 1
	s_and_saveexec_b64 s[92:93], vcc
	s_cbranch_execz .LBB6_7830
; %bb.7827:                             ;   in Loop: Header=BB6_5404 Depth=2
	v_bfe_u32 v27, v15, 24, 7
	v_cmp_ne_u32_e32 vcc, s51, v27
	v_mov_b32_e32 v14, 0x7f800001
	s_and_saveexec_b64 s[94:95], vcc
	s_cbranch_execz .LBB6_7829
; %bb.7828:                             ;   in Loop: Header=BB6_5404 Depth=2
	v_and_b32_e32 v14, 7, v18
	v_lshrrev_b32_e32 v36, 3, v27
	v_cmp_gt_u32_e32 vcc, 8, v27
	v_ffbh_u32_e32 v27, v14
	v_min_u32_e32 v27, 32, v27
	v_subrev_u32_e32 v37, 28, v27
	v_lshlrev_b64 v[40:41], v37, v[18:19]
	v_sub_u32_e32 v27, 29, v27
	v_and_b32_e32 v37, 7, v40
	v_cndmask_b32_e32 v27, v36, v27, vcc
	v_cndmask_b32_e32 v14, v14, v37, vcc
	v_lshlrev_b32_e32 v36, 24, v18
	v_lshlrev_b32_e32 v14, 20, v14
	v_and_b32_e32 v36, 0x80000000, v36
	v_lshl_add_u32 v27, v27, 23, v5
	v_or3_b32 v14, v36, v27, v14
.LBB6_7829:                             ;   in Loop: Header=BB6_5404 Depth=2
	s_or_b64 exec, exec, s[94:95]
.LBB6_7830:                             ;   in Loop: Header=BB6_5404 Depth=2
	s_or_b64 exec, exec, s[92:93]
.LBB6_7831:                             ;   in Loop: Header=BB6_5404 Depth=2
	s_or_b64 exec, exec, s[90:91]
	v_cmp_lt_u64_e32 vcc, s[76:77], v[10:11]
	s_and_saveexec_b64 s[90:91], vcc
	s_cbranch_execz .LBB6_7837
; %bb.7832:                             ;   in Loop: Header=BB6_5404 Depth=2
	v_cmp_ne_u32_e32 vcc, s49, v2
	v_bfrev_b32_e32 v19, 1
	s_and_saveexec_b64 s[92:93], vcc
	s_cbranch_execz .LBB6_7836
; %bb.7833:                             ;   in Loop: Header=BB6_5404 Depth=2
	v_bfe_u32 v27, v11, 24, 7
	v_cmp_ne_u32_e32 vcc, s51, v27
	v_mov_b32_e32 v19, 0x7f800001
	s_and_saveexec_b64 s[94:95], vcc
	s_cbranch_execz .LBB6_7835
; %bb.7834:                             ;   in Loop: Header=BB6_5404 Depth=2
	v_and_b32_e32 v19, 7, v2
	v_lshrrev_b32_e32 v36, 3, v27
	v_cmp_gt_u32_e32 vcc, 8, v27
	v_ffbh_u32_e32 v27, v19
	v_min_u32_e32 v27, 32, v27
	v_subrev_u32_e32 v37, 28, v27
	v_lshlrev_b64 v[40:41], v37, v[2:3]
	v_sub_u32_e32 v27, 29, v27
	v_and_b32_e32 v37, 7, v40
	v_cndmask_b32_e32 v27, v36, v27, vcc
	v_cndmask_b32_e32 v19, v19, v37, vcc
	v_lshlrev_b32_e32 v36, 24, v2
	v_lshlrev_b32_e32 v19, 20, v19
	v_and_b32_e32 v36, 0x80000000, v36
	v_lshl_add_u32 v27, v27, 23, v5
	v_or3_b32 v19, v36, v27, v19
.LBB6_7835:                             ;   in Loop: Header=BB6_5404 Depth=2
	s_or_b64 exec, exec, s[94:95]
.LBB6_7836:                             ;   in Loop: Header=BB6_5404 Depth=2
	s_or_b64 exec, exec, s[92:93]
.LBB6_7837:                             ;   in Loop: Header=BB6_5404 Depth=2
	s_or_b64 exec, exec, s[90:91]
	v_max_f32_e32 v19, v19, v19
	v_max_f32_e32 v14, v14, v14
	;; [unrolled: 1-line block ×3, first 2 shown]
	s_mov_b64 s[90:91], 0
.LBB6_7838:                             ;   in Loop: Header=BB6_5404 Depth=2
	s_and_b64 vcc, exec, s[90:91]
	s_cbranch_vccz .LBB6_7852
; %bb.7839:                             ;   in Loop: Header=BB6_5404 Depth=2
	v_mov_b32_e32 v19, 0
	v_mov_b32_e32 v14, 0
	s_and_saveexec_b64 s[90:91], s[20:21]
	s_cbranch_execz .LBB6_7845
; %bb.7840:                             ;   in Loop: Header=BB6_5404 Depth=2
	v_cmp_ne_u32_e32 vcc, s49, v18
	v_bfrev_b32_e32 v14, 1
	s_and_saveexec_b64 s[20:21], vcc
	s_cbranch_execz .LBB6_7844
; %bb.7841:                             ;   in Loop: Header=BB6_5404 Depth=2
	v_bfe_u32 v15, v15, 24, 7
	v_cmp_ne_u32_e32 vcc, s51, v15
	v_mov_b32_e32 v14, 0x7f800001
	s_and_saveexec_b64 s[92:93], vcc
	s_cbranch_execz .LBB6_7843
; %bb.7842:                             ;   in Loop: Header=BB6_5404 Depth=2
	v_and_b32_e32 v27, 7, v18
	v_ffbh_u32_e32 v14, v27
	v_min_u32_e32 v37, 32, v14
	v_subrev_u32_e32 v14, 28, v37
	v_lshrrev_b32_e32 v36, 3, v15
	v_cmp_gt_u32_e32 vcc, 8, v15
	v_lshlrev_b64 v[14:15], v14, v[18:19]
	v_sub_u32_e32 v15, 29, v37
	v_and_b32_e32 v14, 7, v14
	v_cndmask_b32_e32 v15, v36, v15, vcc
	v_cndmask_b32_e32 v14, v27, v14, vcc
	v_lshlrev_b32_e32 v18, 24, v18
	v_lshlrev_b32_e32 v14, 20, v14
	v_and_b32_e32 v18, 0x80000000, v18
	v_lshl_add_u32 v15, v15, 23, v5
	v_or3_b32 v14, v18, v15, v14
.LBB6_7843:                             ;   in Loop: Header=BB6_5404 Depth=2
	s_or_b64 exec, exec, s[92:93]
.LBB6_7844:                             ;   in Loop: Header=BB6_5404 Depth=2
	s_or_b64 exec, exec, s[20:21]
.LBB6_7845:                             ;   in Loop: Header=BB6_5404 Depth=2
	s_or_b64 exec, exec, s[90:91]
	v_cmp_lt_u64_e32 vcc, s[76:77], v[10:11]
	s_and_saveexec_b64 s[20:21], vcc
	s_cbranch_execz .LBB6_7851
; %bb.7846:                             ;   in Loop: Header=BB6_5404 Depth=2
	v_cmp_ne_u32_e32 vcc, s49, v2
	v_bfrev_b32_e32 v19, 1
	s_and_saveexec_b64 s[90:91], vcc
	s_cbranch_execz .LBB6_7850
; %bb.7847:                             ;   in Loop: Header=BB6_5404 Depth=2
	v_bfe_u32 v10, v11, 24, 7
	v_cmp_ne_u32_e32 vcc, s51, v10
	v_mov_b32_e32 v19, 0x7f800001
	s_and_saveexec_b64 s[92:93], vcc
	s_cbranch_execz .LBB6_7849
; %bb.7848:                             ;   in Loop: Header=BB6_5404 Depth=2
	v_and_b32_e32 v15, 7, v2
	v_lshrrev_b32_e32 v18, 3, v10
	v_cmp_gt_u32_e32 vcc, 8, v10
	v_ffbh_u32_e32 v10, v15
	v_min_u32_e32 v19, 32, v10
	v_subrev_u32_e32 v10, 28, v19
	v_lshlrev_b64 v[10:11], v10, v[2:3]
	v_sub_u32_e32 v11, 29, v19
	v_and_b32_e32 v10, 7, v10
	v_cndmask_b32_e32 v11, v18, v11, vcc
	v_cndmask_b32_e32 v10, v15, v10, vcc
	v_lshlrev_b32_e32 v2, 24, v2
	v_lshlrev_b32_e32 v10, 20, v10
	v_and_b32_e32 v2, 0x80000000, v2
	v_lshl_add_u32 v11, v11, 23, v5
	v_or3_b32 v19, v2, v11, v10
.LBB6_7849:                             ;   in Loop: Header=BB6_5404 Depth=2
	s_or_b64 exec, exec, s[92:93]
.LBB6_7850:                             ;   in Loop: Header=BB6_5404 Depth=2
	s_or_b64 exec, exec, s[90:91]
.LBB6_7851:                             ;   in Loop: Header=BB6_5404 Depth=2
	s_or_b64 exec, exec, s[20:21]
	v_max_f32_e32 v2, v19, v19
	v_max_f32_e32 v10, v14, v14
	v_min_f32_e32 v14, v10, v2
.LBB6_7852:                             ;   in Loop: Header=BB6_5404 Depth=2
	v_and_b32_e32 v2, 0x7f800000, v14
	v_cmp_ne_u64_e32 vcc, s[62:63], v[2:3]
                                        ; implicit-def: $vgpr27
	s_and_saveexec_b64 s[20:21], vcc
	s_xor_b64 s[90:91], exec, s[20:21]
	s_cbranch_execz .LBB6_7866
; %bb.7853:                             ;   in Loop: Header=BB6_5404 Depth=2
	v_and_b32_e32 v2, 0x7fffffff, v14
	v_cmp_gt_u64_e32 vcc, s[72:73], v[2:3]
	v_and_b32_sdwa v18, v14, s49 dst_sel:DWORD dst_unused:UNUSED_PAD src0_sel:BYTE_3 src1_sel:DWORD
                                        ; implicit-def: $vgpr27
	s_and_saveexec_b64 s[20:21], vcc
	s_xor_b64 s[92:93], exec, s[20:21]
	s_cbranch_execz .LBB6_7863
; %bb.7854:                             ;   in Loop: Header=BB6_5404 Depth=2
	v_mov_b32_e32 v27, 0
	v_cmp_ne_u32_e32 vcc, 0, v14
	s_and_saveexec_b64 s[94:95], vcc
	s_cbranch_execz .LBB6_7862
; %bb.7855:                             ;   in Loop: Header=BB6_5404 Depth=2
	v_bfe_u32 v19, v14, 23, 8
	v_cmp_gt_u32_e64 s[20:21], s53, v19
	v_sub_u32_e32 v10, 0x79, v19
	v_and_b32_e32 v2, 0x7fffff, v14
	v_cmp_eq_u32_e32 vcc, 0, v19
	v_cndmask_b32_e64 v10, 0, v10, s[20:21]
	v_mov_b32_e32 v14, 0x78
	v_cndmask_b32_e32 v27, v10, v14, vcc
	v_or_b32_e32 v11, 0x800000, v2
	v_add_u32_e32 v10, 20, v27
	v_cndmask_b32_e32 v2, v11, v2, vcc
	v_lshlrev_b64 v[10:11], v10, -1
	v_add_u32_e32 v14, 19, v27
	v_lshlrev_b64 v[14:15], v14, 1
	v_bfi_b32 v11, v11, 0, 0
	v_bfi_b32 v10, v10, 0, v2
	v_cmp_eq_u64_e64 s[20:21], v[10:11], v[14:15]
	v_lshrrev_b64 v[10:11], v27, v[2:3]
	v_mov_b32_e32 v15, v11
	v_mov_b32_e32 v14, v10
	s_and_saveexec_b64 s[30:31], s[20:21]
; %bb.7856:                             ;   in Loop: Header=BB6_5404 Depth=2
	v_bfe_u32 v2, v10, 20, 1
	v_add_co_u32_e64 v2, s[20:21], v10, v2
	v_add_co_u32_e64 v14, s[20:21], -1, v2
; %bb.7857:                             ;   in Loop: Header=BB6_5404 Depth=2
	s_or_b64 exec, exec, s[30:31]
	v_add_u32_e32 v2, 0xffffff81, v19
	v_cndmask_b32_e32 v2, v2, v59, vcc
	v_lshrrev_b32_e32 v11, 23, v10
	v_add3_u32 v19, v27, v2, v11
	v_add_u32_e32 v15, 6, v19
	v_and_b32_e32 v2, 0xfffff, v14
	v_add_u32_e32 v2, v2, v10
	v_cmp_ne_u32_e32 vcc, 0, v15
                                        ; implicit-def: $vgpr10_vgpr11
                                        ; implicit-def: $vgpr14
	s_and_saveexec_b64 s[20:21], vcc
	s_xor_b64 s[20:21], exec, s[20:21]
; %bb.7858:                             ;   in Loop: Header=BB6_5404 Depth=2
	v_cmp_lt_u64_e32 vcc, s[74:75], v[2:3]
	v_add_u32_e32 v10, 7, v19
	v_cndmask_b32_e32 v14, v15, v10, vcc
	v_cndmask_b32_e64 v10, 0, 1, vcc
	v_lshrrev_b64 v[10:11], v10, v[2:3]
; %bb.7859:                             ;   in Loop: Header=BB6_5404 Depth=2
	s_andn2_saveexec_b64 s[20:21], s[20:21]
; %bb.7860:                             ;   in Loop: Header=BB6_5404 Depth=2
	v_mov_b32_e32 v11, v3
	v_bfe_u32 v14, v2, 23, 1
	v_mov_b32_e32 v10, v2
; %bb.7861:                             ;   in Loop: Header=BB6_5404 Depth=2
	s_or_b64 exec, exec, s[20:21]
	v_lshrrev_b64 v[10:11], 20, v[10:11]
	v_cmp_gt_i32_e32 vcc, 16, v14
	v_cndmask_b32_e32 v11, 0, v11, vcc
	v_cndmask_b32_e32 v10, 7, v10, vcc
	v_min_i32_e32 v2, 15, v14
	v_cmp_eq_u64_e64 s[20:21], 0, v[10:11]
	v_lshlrev_b32_e32 v2, 3, v2
	v_cmp_eq_u32_e32 vcc, 0, v14
	v_and_b32_e32 v2, 0xf8, v2
	v_and_or_b32 v2, v10, 7, v2
	s_and_b64 s[20:21], vcc, s[20:21]
	v_cndmask_b32_e64 v2, v2, 0, s[20:21]
	v_or_b32_e32 v27, v2, v18
.LBB6_7862:                             ;   in Loop: Header=BB6_5404 Depth=2
	s_or_b64 exec, exec, s[94:95]
                                        ; implicit-def: $vgpr18
.LBB6_7863:                             ;   in Loop: Header=BB6_5404 Depth=2
	s_andn2_saveexec_b64 s[20:21], s[92:93]
; %bb.7864:                             ;   in Loop: Header=BB6_5404 Depth=2
	v_or_b32_e32 v27, 0x7e, v18
; %bb.7865:                             ;   in Loop: Header=BB6_5404 Depth=2
	s_or_b64 exec, exec, s[20:21]
                                        ; implicit-def: $vgpr14
.LBB6_7866:                             ;   in Loop: Header=BB6_5404 Depth=2
	s_andn2_saveexec_b64 s[20:21], s[90:91]
; %bb.7867:                             ;   in Loop: Header=BB6_5404 Depth=2
	v_or_b32_sdwa v27, v14, s51 dst_sel:DWORD dst_unused:UNUSED_PAD src0_sel:BYTE_3 src1_sel:DWORD
; %bb.7868:                             ;   in Loop: Header=BB6_5404 Depth=2
	s_or_b64 exec, exec, s[20:21]
	v_cmp_ne_u16_sdwa s[20:21], v16, v3 src0_sel:BYTE_0 src1_sel:DWORD
	s_and_b64 vcc, exec, s[18:19]
	s_mov_b64 s[90:91], -1
                                        ; implicit-def: $vgpr10
	s_cbranch_vccnz .LBB6_7882
; %bb.7869:                             ;   in Loop: Header=BB6_5404 Depth=2
	v_mov_b32_e32 v10, 0
	v_mov_b32_e32 v2, 0
	s_and_saveexec_b64 s[90:91], s[20:21]
	s_cbranch_execz .LBB6_7875
; %bb.7870:                             ;   in Loop: Header=BB6_5404 Depth=2
	v_cmp_ne_u16_sdwa s[94:95], v16, s49 src0_sel:BYTE_0 src1_sel:DWORD
	v_bfrev_b32_e32 v2, 1
	s_and_saveexec_b64 s[92:93], s[94:95]
	s_cbranch_execz .LBB6_7874
; %bb.7871:                             ;   in Loop: Header=BB6_5404 Depth=2
	v_and_b32_e32 v11, 0x7f, v16
	v_cmp_ne_u32_e32 vcc, s51, v11
	v_mov_b32_e32 v2, 0x7f800001
	s_and_saveexec_b64 s[94:95], vcc
	s_cbranch_execz .LBB6_7873
; %bb.7872:                             ;   in Loop: Header=BB6_5404 Depth=2
	v_and_b32_e32 v2, 7, v16
	v_ffbh_u32_e32 v2, v2
	v_min_u32_e32 v2, 32, v2
	v_lshrrev_b32_e32 v14, 3, v11
	v_cmp_gt_u32_e32 vcc, 8, v11
	v_subrev_u32_e32 v11, 28, v2
	v_sub_u32_e32 v2, 29, v2
	v_cndmask_b32_e32 v11, 0, v11, vcc
	v_cndmask_b32_e32 v2, v14, v2, vcc
	v_lshlrev_b64 v[14:15], v11, v[16:17]
	v_lshl_add_u32 v2, v2, 23, v5
	v_lshlrev_b32_e32 v11, 20, v14
	v_lshlrev_b32_e32 v14, 24, v16
	v_and_b32_e32 v11, 0x700000, v11
	v_and_b32_e32 v14, 0x80000000, v14
	v_or3_b32 v2, v14, v2, v11
.LBB6_7873:                             ;   in Loop: Header=BB6_5404 Depth=2
	s_or_b64 exec, exec, s[94:95]
.LBB6_7874:                             ;   in Loop: Header=BB6_5404 Depth=2
	s_or_b64 exec, exec, s[92:93]
.LBB6_7875:                             ;   in Loop: Header=BB6_5404 Depth=2
	s_or_b64 exec, exec, s[90:91]
	v_cmp_ne_u16_sdwa s[92:93], v12, v3 src0_sel:BYTE_0 src1_sel:DWORD
	s_and_saveexec_b64 s[90:91], s[92:93]
	s_cbranch_execz .LBB6_7881
; %bb.7876:                             ;   in Loop: Header=BB6_5404 Depth=2
	v_cmp_ne_u16_sdwa s[94:95], v12, s49 src0_sel:BYTE_0 src1_sel:DWORD
	v_bfrev_b32_e32 v10, 1
	s_and_saveexec_b64 s[92:93], s[94:95]
	s_cbranch_execz .LBB6_7880
; %bb.7877:                             ;   in Loop: Header=BB6_5404 Depth=2
	v_and_b32_e32 v11, 0x7f, v12
	v_cmp_ne_u32_e32 vcc, s51, v11
	v_mov_b32_e32 v10, 0x7f800001
	s_and_saveexec_b64 s[94:95], vcc
	s_cbranch_execz .LBB6_7879
; %bb.7878:                             ;   in Loop: Header=BB6_5404 Depth=2
	v_and_b32_e32 v10, 7, v12
	v_ffbh_u32_e32 v10, v10
	v_min_u32_e32 v10, 32, v10
	v_lshrrev_b32_e32 v14, 3, v11
	v_cmp_gt_u32_e32 vcc, 8, v11
	v_subrev_u32_e32 v11, 28, v10
	v_sub_u32_e32 v10, 29, v10
	v_cndmask_b32_e32 v14, v14, v10, vcc
	v_cndmask_b32_e32 v10, 0, v11, vcc
	v_lshlrev_b64 v[10:11], v10, v[12:13]
	v_lshlrev_b32_e32 v11, 24, v12
	v_lshlrev_b32_e32 v10, 20, v10
	v_and_b32_e32 v10, 0x700000, v10
	v_and_b32_e32 v11, 0x80000000, v11
	v_lshl_add_u32 v14, v14, 23, v5
	v_or3_b32 v10, v11, v14, v10
.LBB6_7879:                             ;   in Loop: Header=BB6_5404 Depth=2
	s_or_b64 exec, exec, s[94:95]
.LBB6_7880:                             ;   in Loop: Header=BB6_5404 Depth=2
	s_or_b64 exec, exec, s[92:93]
.LBB6_7881:                             ;   in Loop: Header=BB6_5404 Depth=2
	s_or_b64 exec, exec, s[90:91]
	v_max_f32_e32 v10, v10, v10
	v_max_f32_e32 v2, v2, v2
	;; [unrolled: 1-line block ×3, first 2 shown]
	s_mov_b64 s[90:91], 0
.LBB6_7882:                             ;   in Loop: Header=BB6_5404 Depth=2
	s_and_b64 vcc, exec, s[90:91]
	s_cbranch_vccz .LBB6_7896
; %bb.7883:                             ;   in Loop: Header=BB6_5404 Depth=2
	v_mov_b32_e32 v10, 0
	v_mov_b32_e32 v2, 0
	s_and_saveexec_b64 s[90:91], s[20:21]
	s_cbranch_execz .LBB6_7889
; %bb.7884:                             ;   in Loop: Header=BB6_5404 Depth=2
	v_cmp_ne_u16_sdwa s[92:93], v16, s49 src0_sel:BYTE_0 src1_sel:DWORD
	v_bfrev_b32_e32 v2, 1
	s_and_saveexec_b64 s[20:21], s[92:93]
	s_cbranch_execz .LBB6_7888
; %bb.7885:                             ;   in Loop: Header=BB6_5404 Depth=2
	v_and_b32_e32 v11, 0x7f, v16
	v_cmp_ne_u32_e32 vcc, s51, v11
	v_mov_b32_e32 v2, 0x7f800001
	s_and_saveexec_b64 s[92:93], vcc
	s_cbranch_execz .LBB6_7887
; %bb.7886:                             ;   in Loop: Header=BB6_5404 Depth=2
	v_and_b32_e32 v2, 7, v16
	v_ffbh_u32_e32 v2, v2
	v_min_u32_e32 v2, 32, v2
	v_lshrrev_b32_e32 v14, 3, v11
	v_cmp_gt_u32_e32 vcc, 8, v11
	v_subrev_u32_e32 v11, 28, v2
	v_sub_u32_e32 v2, 29, v2
	v_cndmask_b32_e32 v11, 0, v11, vcc
	v_cndmask_b32_e32 v2, v14, v2, vcc
	v_lshlrev_b64 v[14:15], v11, v[16:17]
	v_lshl_add_u32 v2, v2, 23, v5
	v_lshlrev_b32_e32 v11, 20, v14
	v_lshlrev_b32_e32 v14, 24, v16
	v_and_b32_e32 v11, 0x700000, v11
	v_and_b32_e32 v14, 0x80000000, v14
	v_or3_b32 v2, v14, v2, v11
.LBB6_7887:                             ;   in Loop: Header=BB6_5404 Depth=2
	s_or_b64 exec, exec, s[92:93]
.LBB6_7888:                             ;   in Loop: Header=BB6_5404 Depth=2
	s_or_b64 exec, exec, s[20:21]
.LBB6_7889:                             ;   in Loop: Header=BB6_5404 Depth=2
	s_or_b64 exec, exec, s[90:91]
	v_cmp_ne_u16_sdwa s[90:91], v12, v3 src0_sel:BYTE_0 src1_sel:DWORD
	s_and_saveexec_b64 s[20:21], s[90:91]
	s_cbranch_execz .LBB6_7895
; %bb.7890:                             ;   in Loop: Header=BB6_5404 Depth=2
	v_cmp_ne_u16_sdwa s[92:93], v12, s49 src0_sel:BYTE_0 src1_sel:DWORD
	v_bfrev_b32_e32 v10, 1
	s_and_saveexec_b64 s[90:91], s[92:93]
	s_cbranch_execz .LBB6_7894
; %bb.7891:                             ;   in Loop: Header=BB6_5404 Depth=2
	v_and_b32_e32 v11, 0x7f, v12
	v_cmp_ne_u32_e32 vcc, s51, v11
	v_mov_b32_e32 v10, 0x7f800001
	s_and_saveexec_b64 s[92:93], vcc
	s_cbranch_execz .LBB6_7893
; %bb.7892:                             ;   in Loop: Header=BB6_5404 Depth=2
	v_and_b32_e32 v10, 7, v12
	v_ffbh_u32_e32 v10, v10
	v_min_u32_e32 v10, 32, v10
	v_lshrrev_b32_e32 v14, 3, v11
	v_cmp_gt_u32_e32 vcc, 8, v11
	v_subrev_u32_e32 v11, 28, v10
	v_sub_u32_e32 v10, 29, v10
	v_cndmask_b32_e32 v14, v14, v10, vcc
	v_cndmask_b32_e32 v10, 0, v11, vcc
	v_lshlrev_b64 v[10:11], v10, v[12:13]
	v_lshlrev_b32_e32 v11, 24, v12
	v_lshlrev_b32_e32 v10, 20, v10
	v_and_b32_e32 v10, 0x700000, v10
	v_and_b32_e32 v11, 0x80000000, v11
	v_lshl_add_u32 v14, v14, 23, v5
	v_or3_b32 v10, v11, v14, v10
.LBB6_7893:                             ;   in Loop: Header=BB6_5404 Depth=2
	s_or_b64 exec, exec, s[92:93]
.LBB6_7894:                             ;   in Loop: Header=BB6_5404 Depth=2
	s_or_b64 exec, exec, s[90:91]
.LBB6_7895:                             ;   in Loop: Header=BB6_5404 Depth=2
	s_or_b64 exec, exec, s[20:21]
	v_max_f32_e32 v10, v10, v10
	v_max_f32_e32 v2, v2, v2
	v_min_f32_e32 v10, v2, v10
.LBB6_7896:                             ;   in Loop: Header=BB6_5404 Depth=2
	v_and_b32_e32 v2, 0x7f800000, v10
	v_cmp_ne_u64_e32 vcc, s[62:63], v[2:3]
                                        ; implicit-def: $vgpr56
	s_and_saveexec_b64 s[20:21], vcc
	s_xor_b64 s[90:91], exec, s[20:21]
	s_cbranch_execz .LBB6_7910
; %bb.7897:                             ;   in Loop: Header=BB6_5404 Depth=2
	v_and_b32_e32 v2, 0x7fffffff, v10
	v_cmp_gt_u64_e32 vcc, s[72:73], v[2:3]
	v_and_b32_sdwa v18, v10, s49 dst_sel:DWORD dst_unused:UNUSED_PAD src0_sel:BYTE_3 src1_sel:DWORD
                                        ; implicit-def: $vgpr56
	s_and_saveexec_b64 s[20:21], vcc
	s_xor_b64 s[92:93], exec, s[20:21]
	s_cbranch_execz .LBB6_7907
; %bb.7898:                             ;   in Loop: Header=BB6_5404 Depth=2
	v_mov_b32_e32 v56, 0
	v_cmp_ne_u32_e32 vcc, 0, v10
	s_and_saveexec_b64 s[94:95], vcc
	s_cbranch_execz .LBB6_7906
; %bb.7899:                             ;   in Loop: Header=BB6_5404 Depth=2
	v_bfe_u32 v19, v10, 23, 8
	v_and_b32_e32 v2, 0x7fffff, v10
	v_cmp_gt_u32_e64 s[20:21], s53, v19
	v_sub_u32_e32 v10, 0x79, v19
	v_cmp_eq_u32_e32 vcc, 0, v19
	v_cndmask_b32_e64 v10, 0, v10, s[20:21]
	v_mov_b32_e32 v14, 0x78
	v_cndmask_b32_e32 v55, v10, v14, vcc
	v_or_b32_e32 v11, 0x800000, v2
	v_add_u32_e32 v10, 20, v55
	v_cndmask_b32_e32 v2, v11, v2, vcc
	v_lshlrev_b64 v[10:11], v10, -1
	v_add_u32_e32 v14, 19, v55
	v_lshlrev_b64 v[14:15], v14, 1
	v_bfi_b32 v11, v11, 0, 0
	v_bfi_b32 v10, v10, 0, v2
	v_cmp_eq_u64_e64 s[20:21], v[10:11], v[14:15]
	v_lshrrev_b64 v[10:11], v55, v[2:3]
	v_mov_b32_e32 v15, v11
	v_mov_b32_e32 v14, v10
	s_and_saveexec_b64 s[30:31], s[20:21]
; %bb.7900:                             ;   in Loop: Header=BB6_5404 Depth=2
	v_bfe_u32 v2, v10, 20, 1
	v_add_co_u32_e64 v2, s[20:21], v10, v2
	v_add_co_u32_e64 v14, s[20:21], -1, v2
; %bb.7901:                             ;   in Loop: Header=BB6_5404 Depth=2
	s_or_b64 exec, exec, s[30:31]
	v_add_u32_e32 v2, 0xffffff81, v19
	v_cndmask_b32_e32 v2, v2, v59, vcc
	v_lshrrev_b32_e32 v11, 23, v10
	v_add3_u32 v19, v55, v2, v11
	v_add_u32_e32 v15, 6, v19
	v_and_b32_e32 v2, 0xfffff, v14
	v_add_u32_e32 v2, v2, v10
	v_cmp_ne_u32_e32 vcc, 0, v15
                                        ; implicit-def: $vgpr10_vgpr11
                                        ; implicit-def: $vgpr14
	s_and_saveexec_b64 s[20:21], vcc
	s_xor_b64 s[20:21], exec, s[20:21]
; %bb.7902:                             ;   in Loop: Header=BB6_5404 Depth=2
	v_cmp_lt_u64_e32 vcc, s[74:75], v[2:3]
	v_add_u32_e32 v10, 7, v19
	v_cndmask_b32_e32 v14, v15, v10, vcc
	v_cndmask_b32_e64 v10, 0, 1, vcc
	v_lshrrev_b64 v[10:11], v10, v[2:3]
; %bb.7903:                             ;   in Loop: Header=BB6_5404 Depth=2
	s_andn2_saveexec_b64 s[20:21], s[20:21]
; %bb.7904:                             ;   in Loop: Header=BB6_5404 Depth=2
	v_mov_b32_e32 v11, v3
	v_bfe_u32 v14, v2, 23, 1
	v_mov_b32_e32 v10, v2
; %bb.7905:                             ;   in Loop: Header=BB6_5404 Depth=2
	s_or_b64 exec, exec, s[20:21]
	v_lshrrev_b64 v[10:11], 20, v[10:11]
	v_cmp_gt_i32_e32 vcc, 16, v14
	v_cndmask_b32_e32 v11, 0, v11, vcc
	v_cndmask_b32_e32 v10, 7, v10, vcc
	v_min_i32_e32 v2, 15, v14
	v_cmp_eq_u64_e64 s[20:21], 0, v[10:11]
	v_lshlrev_b32_e32 v2, 3, v2
	v_cmp_eq_u32_e32 vcc, 0, v14
	v_and_b32_e32 v2, 0xf8, v2
	v_and_or_b32 v2, v10, 7, v2
	s_and_b64 s[20:21], vcc, s[20:21]
	v_cndmask_b32_e64 v2, v2, 0, s[20:21]
	v_or_b32_e32 v56, v2, v18
.LBB6_7906:                             ;   in Loop: Header=BB6_5404 Depth=2
	s_or_b64 exec, exec, s[94:95]
                                        ; implicit-def: $vgpr18
.LBB6_7907:                             ;   in Loop: Header=BB6_5404 Depth=2
	s_andn2_saveexec_b64 s[20:21], s[92:93]
; %bb.7908:                             ;   in Loop: Header=BB6_5404 Depth=2
	v_or_b32_e32 v56, 0x7e, v18
; %bb.7909:                             ;   in Loop: Header=BB6_5404 Depth=2
	s_or_b64 exec, exec, s[20:21]
                                        ; implicit-def: $vgpr10
.LBB6_7910:                             ;   in Loop: Header=BB6_5404 Depth=2
	s_andn2_saveexec_b64 s[20:21], s[90:91]
; %bb.7911:                             ;   in Loop: Header=BB6_5404 Depth=2
	v_or_b32_sdwa v56, v10, s51 dst_sel:DWORD dst_unused:UNUSED_PAD src0_sel:BYTE_3 src1_sel:DWORD
; %bb.7912:                             ;   in Loop: Header=BB6_5404 Depth=2
	s_or_b64 exec, exec, s[20:21]
	v_lshrrev_b16_e32 v10, 8, v16
	v_lshrrev_b16_e32 v2, 8, v12
	v_cmp_ne_u16_e64 s[20:21], 0, v10
	s_and_b64 vcc, exec, s[18:19]
	s_mov_b64 s[90:91], -1
                                        ; implicit-def: $vgpr11
	s_cbranch_vccnz .LBB6_7926
; %bb.7913:                             ;   in Loop: Header=BB6_5404 Depth=2
	v_mov_b32_e32 v14, 0
	v_mov_b32_e32 v11, 0
	s_and_saveexec_b64 s[90:91], s[20:21]
	s_cbranch_execz .LBB6_7919
; %bb.7914:                             ;   in Loop: Header=BB6_5404 Depth=2
	v_cmp_ne_u16_e32 vcc, s49, v10
	v_bfrev_b32_e32 v11, 1
	s_and_saveexec_b64 s[92:93], vcc
	s_cbranch_execz .LBB6_7918
; %bb.7915:                             ;   in Loop: Header=BB6_5404 Depth=2
	v_and_b32_e32 v15, 0x7f, v10
	v_cmp_ne_u32_e32 vcc, s51, v15
	v_mov_b32_e32 v11, 0x7f800001
	s_and_saveexec_b64 s[94:95], vcc
	s_cbranch_execz .LBB6_7917
; %bb.7916:                             ;   in Loop: Header=BB6_5404 Depth=2
	v_and_b32_e32 v11, 7, v10
	v_lshrrev_b32_e32 v36, 3, v15
	v_cmp_gt_u32_e32 vcc, 8, v15
	v_ffbh_u32_e32 v15, v11
	v_min_u32_e32 v15, 32, v15
	v_subrev_u32_e32 v18, 28, v15
	v_lshlrev_b64 v[18:19], v18, v[10:11]
	v_sub_u32_e32 v15, 29, v15
	v_and_b32_e32 v18, 7, v18
	v_cndmask_b32_e32 v15, v36, v15, vcc
	v_cndmask_b32_e32 v11, v11, v18, vcc
	v_lshlrev_b32_e32 v18, 16, v16
	v_lshlrev_b32_e32 v11, 20, v11
	v_and_b32_e32 v18, 0x80000000, v18
	v_lshl_add_u32 v15, v15, 23, v5
	v_or3_b32 v11, v18, v15, v11
.LBB6_7917:                             ;   in Loop: Header=BB6_5404 Depth=2
	s_or_b64 exec, exec, s[94:95]
.LBB6_7918:                             ;   in Loop: Header=BB6_5404 Depth=2
	s_or_b64 exec, exec, s[92:93]
.LBB6_7919:                             ;   in Loop: Header=BB6_5404 Depth=2
	s_or_b64 exec, exec, s[90:91]
	v_cmp_ne_u16_e32 vcc, 0, v2
	s_and_saveexec_b64 s[90:91], vcc
	s_cbranch_execz .LBB6_7925
; %bb.7920:                             ;   in Loop: Header=BB6_5404 Depth=2
	v_cmp_ne_u16_e32 vcc, s49, v2
	v_bfrev_b32_e32 v14, 1
	s_and_saveexec_b64 s[92:93], vcc
	s_cbranch_execz .LBB6_7924
; %bb.7921:                             ;   in Loop: Header=BB6_5404 Depth=2
	v_and_b32_e32 v15, 0x7f, v2
	v_cmp_ne_u32_e32 vcc, s51, v15
	v_mov_b32_e32 v14, 0x7f800001
	s_and_saveexec_b64 s[94:95], vcc
	s_cbranch_execz .LBB6_7923
; %bb.7922:                             ;   in Loop: Header=BB6_5404 Depth=2
	v_and_b32_e32 v18, 7, v2
	v_ffbh_u32_e32 v14, v18
	v_min_u32_e32 v36, 32, v14
	v_subrev_u32_e32 v14, 28, v36
	v_lshrrev_b32_e32 v19, 3, v15
	v_cmp_gt_u32_e32 vcc, 8, v15
	v_lshlrev_b64 v[14:15], v14, v[2:3]
	v_sub_u32_e32 v15, 29, v36
	v_and_b32_e32 v14, 7, v14
	v_cndmask_b32_e32 v15, v19, v15, vcc
	v_cndmask_b32_e32 v14, v18, v14, vcc
	v_lshlrev_b32_e32 v18, 16, v12
	v_lshlrev_b32_e32 v14, 20, v14
	v_and_b32_e32 v18, 0x80000000, v18
	v_lshl_add_u32 v15, v15, 23, v5
	v_or3_b32 v14, v18, v15, v14
.LBB6_7923:                             ;   in Loop: Header=BB6_5404 Depth=2
	s_or_b64 exec, exec, s[94:95]
.LBB6_7924:                             ;   in Loop: Header=BB6_5404 Depth=2
	s_or_b64 exec, exec, s[92:93]
.LBB6_7925:                             ;   in Loop: Header=BB6_5404 Depth=2
	s_or_b64 exec, exec, s[90:91]
	v_max_f32_e32 v14, v14, v14
	v_max_f32_e32 v11, v11, v11
	;; [unrolled: 1-line block ×3, first 2 shown]
	s_mov_b64 s[90:91], 0
.LBB6_7926:                             ;   in Loop: Header=BB6_5404 Depth=2
	s_and_b64 vcc, exec, s[90:91]
	s_cbranch_vccz .LBB6_7940
; %bb.7927:                             ;   in Loop: Header=BB6_5404 Depth=2
	v_mov_b32_e32 v14, 0
	v_mov_b32_e32 v11, 0
	s_and_saveexec_b64 s[90:91], s[20:21]
	s_cbranch_execz .LBB6_7933
; %bb.7928:                             ;   in Loop: Header=BB6_5404 Depth=2
	v_cmp_ne_u16_e32 vcc, s49, v10
	v_bfrev_b32_e32 v11, 1
	s_and_saveexec_b64 s[20:21], vcc
	s_cbranch_execz .LBB6_7932
; %bb.7929:                             ;   in Loop: Header=BB6_5404 Depth=2
	v_and_b32_e32 v15, 0x7f, v10
	v_cmp_ne_u32_e32 vcc, s51, v15
	v_mov_b32_e32 v11, 0x7f800001
	s_and_saveexec_b64 s[92:93], vcc
	s_cbranch_execz .LBB6_7931
; %bb.7930:                             ;   in Loop: Header=BB6_5404 Depth=2
	v_and_b32_e32 v18, 7, v10
	v_ffbh_u32_e32 v11, v18
	v_lshrrev_b32_e32 v19, 3, v15
	v_cmp_gt_u32_e32 vcc, 8, v15
	v_min_u32_e32 v15, 32, v11
	v_subrev_u32_e32 v11, 28, v15
	v_lshlrev_b64 v[10:11], v11, v[10:11]
	v_sub_u32_e32 v11, 29, v15
	v_and_b32_e32 v10, 7, v10
	v_cndmask_b32_e32 v11, v19, v11, vcc
	v_cndmask_b32_e32 v10, v18, v10, vcc
	v_lshlrev_b32_e32 v15, 16, v16
	v_lshlrev_b32_e32 v10, 20, v10
	v_and_b32_e32 v15, 0x80000000, v15
	v_lshl_add_u32 v11, v11, 23, v5
	v_or3_b32 v11, v15, v11, v10
.LBB6_7931:                             ;   in Loop: Header=BB6_5404 Depth=2
	s_or_b64 exec, exec, s[92:93]
.LBB6_7932:                             ;   in Loop: Header=BB6_5404 Depth=2
	s_or_b64 exec, exec, s[20:21]
.LBB6_7933:                             ;   in Loop: Header=BB6_5404 Depth=2
	s_or_b64 exec, exec, s[90:91]
	v_cmp_ne_u16_e32 vcc, 0, v2
	s_and_saveexec_b64 s[20:21], vcc
	s_cbranch_execz .LBB6_7939
; %bb.7934:                             ;   in Loop: Header=BB6_5404 Depth=2
	v_cmp_ne_u16_e32 vcc, s49, v2
	v_bfrev_b32_e32 v14, 1
	s_and_saveexec_b64 s[90:91], vcc
	s_cbranch_execz .LBB6_7938
; %bb.7935:                             ;   in Loop: Header=BB6_5404 Depth=2
	v_and_b32_e32 v10, 0x7f, v2
	v_cmp_ne_u32_e32 vcc, s51, v10
	v_mov_b32_e32 v14, 0x7f800001
	s_and_saveexec_b64 s[92:93], vcc
	s_cbranch_execz .LBB6_7937
; %bb.7936:                             ;   in Loop: Header=BB6_5404 Depth=2
	v_and_b32_e32 v18, 7, v2
	v_lshrrev_b32_e32 v19, 3, v10
	v_cmp_gt_u32_e32 vcc, 8, v10
	v_ffbh_u32_e32 v10, v18
	v_min_u32_e32 v10, 32, v10
	v_subrev_u32_e32 v14, 28, v10
	v_lshlrev_b64 v[14:15], v14, v[2:3]
	v_sub_u32_e32 v2, 29, v10
	v_and_b32_e32 v10, 7, v14
	v_cndmask_b32_e32 v2, v19, v2, vcc
	v_cndmask_b32_e32 v10, v18, v10, vcc
	v_lshlrev_b32_e32 v14, 16, v12
	v_lshlrev_b32_e32 v10, 20, v10
	v_and_b32_e32 v14, 0x80000000, v14
	v_lshl_add_u32 v2, v2, 23, v5
	v_or3_b32 v14, v14, v2, v10
.LBB6_7937:                             ;   in Loop: Header=BB6_5404 Depth=2
	s_or_b64 exec, exec, s[92:93]
.LBB6_7938:                             ;   in Loop: Header=BB6_5404 Depth=2
	s_or_b64 exec, exec, s[90:91]
.LBB6_7939:                             ;   in Loop: Header=BB6_5404 Depth=2
	s_or_b64 exec, exec, s[20:21]
	v_max_f32_e32 v2, v14, v14
	v_max_f32_e32 v10, v11, v11
	v_min_f32_e32 v11, v10, v2
.LBB6_7940:                             ;   in Loop: Header=BB6_5404 Depth=2
	v_and_b32_e32 v2, 0x7f800000, v11
	v_cmp_ne_u64_e32 vcc, s[62:63], v[2:3]
                                        ; implicit-def: $vgpr57
	s_and_saveexec_b64 s[20:21], vcc
	s_xor_b64 s[90:91], exec, s[20:21]
	s_cbranch_execz .LBB6_7954
; %bb.7941:                             ;   in Loop: Header=BB6_5404 Depth=2
	v_and_b32_e32 v2, 0x7fffffff, v11
	v_cmp_gt_u64_e32 vcc, s[72:73], v[2:3]
	v_and_b32_sdwa v18, v11, s49 dst_sel:DWORD dst_unused:UNUSED_PAD src0_sel:BYTE_3 src1_sel:DWORD
                                        ; implicit-def: $vgpr57
	s_and_saveexec_b64 s[20:21], vcc
	s_xor_b64 s[92:93], exec, s[20:21]
	s_cbranch_execz .LBB6_7951
; %bb.7942:                             ;   in Loop: Header=BB6_5404 Depth=2
	v_mov_b32_e32 v57, 0
	v_cmp_ne_u32_e32 vcc, 0, v11
	s_and_saveexec_b64 s[94:95], vcc
	s_cbranch_execz .LBB6_7950
; %bb.7943:                             ;   in Loop: Header=BB6_5404 Depth=2
	v_bfe_u32 v19, v11, 23, 8
	v_cmp_gt_u32_e64 s[20:21], s53, v19
	v_sub_u32_e32 v10, 0x79, v19
	v_cmp_eq_u32_e32 vcc, 0, v19
	v_cndmask_b32_e64 v10, 0, v10, s[20:21]
	v_mov_b32_e32 v14, 0x78
	v_and_b32_e32 v2, 0x7fffff, v11
	v_cndmask_b32_e32 v55, v10, v14, vcc
	v_or_b32_e32 v11, 0x800000, v2
	v_add_u32_e32 v10, 20, v55
	v_cndmask_b32_e32 v2, v11, v2, vcc
	v_lshlrev_b64 v[10:11], v10, -1
	v_add_u32_e32 v14, 19, v55
	v_lshlrev_b64 v[14:15], v14, 1
	v_bfi_b32 v11, v11, 0, 0
	v_bfi_b32 v10, v10, 0, v2
	v_cmp_eq_u64_e64 s[20:21], v[10:11], v[14:15]
	v_lshrrev_b64 v[10:11], v55, v[2:3]
	v_mov_b32_e32 v15, v11
	v_mov_b32_e32 v14, v10
	s_and_saveexec_b64 s[30:31], s[20:21]
; %bb.7944:                             ;   in Loop: Header=BB6_5404 Depth=2
	v_bfe_u32 v2, v10, 20, 1
	v_add_co_u32_e64 v2, s[20:21], v10, v2
	v_add_co_u32_e64 v14, s[20:21], -1, v2
; %bb.7945:                             ;   in Loop: Header=BB6_5404 Depth=2
	s_or_b64 exec, exec, s[30:31]
	v_add_u32_e32 v2, 0xffffff81, v19
	v_cndmask_b32_e32 v2, v2, v59, vcc
	v_lshrrev_b32_e32 v11, 23, v10
	v_add3_u32 v19, v55, v2, v11
	v_add_u32_e32 v15, 6, v19
	v_and_b32_e32 v2, 0xfffff, v14
	v_add_u32_e32 v2, v2, v10
	v_cmp_ne_u32_e32 vcc, 0, v15
                                        ; implicit-def: $vgpr10_vgpr11
                                        ; implicit-def: $vgpr14
	s_and_saveexec_b64 s[20:21], vcc
	s_xor_b64 s[20:21], exec, s[20:21]
; %bb.7946:                             ;   in Loop: Header=BB6_5404 Depth=2
	v_cmp_lt_u64_e32 vcc, s[74:75], v[2:3]
	v_add_u32_e32 v10, 7, v19
	v_cndmask_b32_e32 v14, v15, v10, vcc
	v_cndmask_b32_e64 v10, 0, 1, vcc
	v_lshrrev_b64 v[10:11], v10, v[2:3]
; %bb.7947:                             ;   in Loop: Header=BB6_5404 Depth=2
	s_andn2_saveexec_b64 s[20:21], s[20:21]
; %bb.7948:                             ;   in Loop: Header=BB6_5404 Depth=2
	v_mov_b32_e32 v11, v3
	v_bfe_u32 v14, v2, 23, 1
	v_mov_b32_e32 v10, v2
; %bb.7949:                             ;   in Loop: Header=BB6_5404 Depth=2
	s_or_b64 exec, exec, s[20:21]
	v_lshrrev_b64 v[10:11], 20, v[10:11]
	v_cmp_gt_i32_e32 vcc, 16, v14
	v_cndmask_b32_e32 v11, 0, v11, vcc
	v_cndmask_b32_e32 v10, 7, v10, vcc
	v_min_i32_e32 v2, 15, v14
	v_cmp_eq_u64_e64 s[20:21], 0, v[10:11]
	v_lshlrev_b32_e32 v2, 3, v2
	v_cmp_eq_u32_e32 vcc, 0, v14
	v_and_b32_e32 v2, 0xf8, v2
	v_and_or_b32 v2, v10, 7, v2
	s_and_b64 s[20:21], vcc, s[20:21]
	v_cndmask_b32_e64 v2, v2, 0, s[20:21]
	v_or_b32_e32 v57, v2, v18
.LBB6_7950:                             ;   in Loop: Header=BB6_5404 Depth=2
	s_or_b64 exec, exec, s[94:95]
                                        ; implicit-def: $vgpr18
.LBB6_7951:                             ;   in Loop: Header=BB6_5404 Depth=2
	s_andn2_saveexec_b64 s[20:21], s[92:93]
; %bb.7952:                             ;   in Loop: Header=BB6_5404 Depth=2
	v_or_b32_e32 v57, 0x7e, v18
; %bb.7953:                             ;   in Loop: Header=BB6_5404 Depth=2
	s_or_b64 exec, exec, s[20:21]
                                        ; implicit-def: $vgpr11
.LBB6_7954:                             ;   in Loop: Header=BB6_5404 Depth=2
	s_andn2_saveexec_b64 s[20:21], s[90:91]
; %bb.7955:                             ;   in Loop: Header=BB6_5404 Depth=2
	v_or_b32_sdwa v57, v11, s51 dst_sel:DWORD dst_unused:UNUSED_PAD src0_sel:BYTE_3 src1_sel:DWORD
; %bb.7956:                             ;   in Loop: Header=BB6_5404 Depth=2
	s_or_b64 exec, exec, s[20:21]
	v_lshrrev_b32_e32 v10, 16, v16
	v_lshrrev_b32_e32 v2, 16, v12
	v_cmp_ne_u16_sdwa s[20:21], v10, v3 src0_sel:BYTE_0 src1_sel:DWORD
	s_and_b64 vcc, exec, s[18:19]
	s_mov_b64 s[90:91], -1
                                        ; implicit-def: $vgpr11
	s_cbranch_vccnz .LBB6_7970
; %bb.7957:                             ;   in Loop: Header=BB6_5404 Depth=2
	v_mov_b32_e32 v14, 0
	v_mov_b32_e32 v11, 0
	s_and_saveexec_b64 s[90:91], s[20:21]
	s_cbranch_execz .LBB6_7963
; %bb.7958:                             ;   in Loop: Header=BB6_5404 Depth=2
	v_cmp_ne_u16_sdwa s[94:95], v10, s49 src0_sel:BYTE_0 src1_sel:DWORD
	v_bfrev_b32_e32 v11, 1
	s_and_saveexec_b64 s[92:93], s[94:95]
	s_cbranch_execz .LBB6_7962
; %bb.7959:                             ;   in Loop: Header=BB6_5404 Depth=2
	v_bfe_u32 v15, v16, 16, 7
	v_cmp_ne_u32_e32 vcc, s51, v15
	v_mov_b32_e32 v11, 0x7f800001
	s_and_saveexec_b64 s[94:95], vcc
	s_cbranch_execz .LBB6_7961
; %bb.7960:                             ;   in Loop: Header=BB6_5404 Depth=2
	v_and_b32_e32 v11, 7, v10
	v_lshrrev_b32_e32 v36, 3, v15
	v_cmp_gt_u32_e32 vcc, 8, v15
	v_ffbh_u32_e32 v15, v11
	v_min_u32_e32 v15, 32, v15
	v_subrev_u32_e32 v18, 28, v15
	v_lshlrev_b64 v[18:19], v18, v[10:11]
	v_sub_u32_e32 v15, 29, v15
	v_and_b32_e32 v18, 7, v18
	v_cndmask_b32_e32 v15, v36, v15, vcc
	v_cndmask_b32_e32 v11, v11, v18, vcc
	v_lshlrev_b32_e32 v18, 24, v10
	v_lshlrev_b32_e32 v11, 20, v11
	v_and_b32_e32 v18, 0x80000000, v18
	v_lshl_add_u32 v15, v15, 23, v5
	v_or3_b32 v11, v18, v15, v11
.LBB6_7961:                             ;   in Loop: Header=BB6_5404 Depth=2
	s_or_b64 exec, exec, s[94:95]
.LBB6_7962:                             ;   in Loop: Header=BB6_5404 Depth=2
	s_or_b64 exec, exec, s[92:93]
.LBB6_7963:                             ;   in Loop: Header=BB6_5404 Depth=2
	s_or_b64 exec, exec, s[90:91]
	v_cmp_ne_u16_sdwa s[92:93], v2, v3 src0_sel:BYTE_0 src1_sel:DWORD
	s_and_saveexec_b64 s[90:91], s[92:93]
	s_cbranch_execz .LBB6_7969
; %bb.7964:                             ;   in Loop: Header=BB6_5404 Depth=2
	v_cmp_ne_u16_sdwa s[94:95], v2, s49 src0_sel:BYTE_0 src1_sel:DWORD
	v_bfrev_b32_e32 v14, 1
	s_and_saveexec_b64 s[92:93], s[94:95]
	s_cbranch_execz .LBB6_7968
; %bb.7965:                             ;   in Loop: Header=BB6_5404 Depth=2
	v_bfe_u32 v15, v12, 16, 7
	v_cmp_ne_u32_e32 vcc, s51, v15
	v_mov_b32_e32 v14, 0x7f800001
	s_and_saveexec_b64 s[94:95], vcc
	s_cbranch_execz .LBB6_7967
; %bb.7966:                             ;   in Loop: Header=BB6_5404 Depth=2
	v_and_b32_e32 v18, 7, v2
	v_ffbh_u32_e32 v14, v18
	v_min_u32_e32 v36, 32, v14
	v_subrev_u32_e32 v14, 28, v36
	v_lshrrev_b32_e32 v19, 3, v15
	v_cmp_gt_u32_e32 vcc, 8, v15
	v_lshlrev_b64 v[14:15], v14, v[2:3]
	v_sub_u32_e32 v15, 29, v36
	v_and_b32_e32 v14, 7, v14
	v_cndmask_b32_e32 v15, v19, v15, vcc
	v_cndmask_b32_e32 v14, v18, v14, vcc
	v_lshlrev_b32_e32 v18, 24, v2
	v_lshlrev_b32_e32 v14, 20, v14
	v_and_b32_e32 v18, 0x80000000, v18
	v_lshl_add_u32 v15, v15, 23, v5
	v_or3_b32 v14, v18, v15, v14
.LBB6_7967:                             ;   in Loop: Header=BB6_5404 Depth=2
	s_or_b64 exec, exec, s[94:95]
.LBB6_7968:                             ;   in Loop: Header=BB6_5404 Depth=2
	s_or_b64 exec, exec, s[92:93]
.LBB6_7969:                             ;   in Loop: Header=BB6_5404 Depth=2
	s_or_b64 exec, exec, s[90:91]
	v_max_f32_e32 v14, v14, v14
	v_max_f32_e32 v11, v11, v11
	;; [unrolled: 1-line block ×3, first 2 shown]
	s_mov_b64 s[90:91], 0
.LBB6_7970:                             ;   in Loop: Header=BB6_5404 Depth=2
	s_and_b64 vcc, exec, s[90:91]
	s_cbranch_vccz .LBB6_7984
; %bb.7971:                             ;   in Loop: Header=BB6_5404 Depth=2
	v_mov_b32_e32 v14, 0
	v_mov_b32_e32 v11, 0
	s_and_saveexec_b64 s[90:91], s[20:21]
	s_cbranch_execz .LBB6_7977
; %bb.7972:                             ;   in Loop: Header=BB6_5404 Depth=2
	v_cmp_ne_u16_sdwa s[92:93], v10, s49 src0_sel:BYTE_0 src1_sel:DWORD
	v_bfrev_b32_e32 v11, 1
	s_and_saveexec_b64 s[20:21], s[92:93]
	s_cbranch_execz .LBB6_7976
; %bb.7973:                             ;   in Loop: Header=BB6_5404 Depth=2
	v_bfe_u32 v15, v16, 16, 7
	v_cmp_ne_u32_e32 vcc, s51, v15
	v_mov_b32_e32 v11, 0x7f800001
	s_and_saveexec_b64 s[92:93], vcc
	s_cbranch_execz .LBB6_7975
; %bb.7974:                             ;   in Loop: Header=BB6_5404 Depth=2
	v_and_b32_e32 v11, 7, v10
	v_lshrrev_b32_e32 v36, 3, v15
	v_cmp_gt_u32_e32 vcc, 8, v15
	v_ffbh_u32_e32 v15, v11
	v_min_u32_e32 v15, 32, v15
	v_subrev_u32_e32 v18, 28, v15
	v_lshlrev_b64 v[18:19], v18, v[10:11]
	v_sub_u32_e32 v15, 29, v15
	v_and_b32_e32 v18, 7, v18
	v_cndmask_b32_e32 v15, v36, v15, vcc
	v_cndmask_b32_e32 v11, v11, v18, vcc
	v_lshlrev_b32_e32 v10, 24, v10
	v_lshlrev_b32_e32 v11, 20, v11
	v_and_b32_e32 v10, 0x80000000, v10
	v_lshl_add_u32 v15, v15, 23, v5
	v_or3_b32 v11, v10, v15, v11
.LBB6_7975:                             ;   in Loop: Header=BB6_5404 Depth=2
	s_or_b64 exec, exec, s[92:93]
.LBB6_7976:                             ;   in Loop: Header=BB6_5404 Depth=2
	s_or_b64 exec, exec, s[20:21]
.LBB6_7977:                             ;   in Loop: Header=BB6_5404 Depth=2
	s_or_b64 exec, exec, s[90:91]
	v_cmp_ne_u16_sdwa s[90:91], v2, v3 src0_sel:BYTE_0 src1_sel:DWORD
	s_and_saveexec_b64 s[20:21], s[90:91]
	s_cbranch_execz .LBB6_7983
; %bb.7978:                             ;   in Loop: Header=BB6_5404 Depth=2
	v_cmp_ne_u16_sdwa s[92:93], v2, s49 src0_sel:BYTE_0 src1_sel:DWORD
	v_bfrev_b32_e32 v14, 1
	s_and_saveexec_b64 s[90:91], s[92:93]
	s_cbranch_execz .LBB6_7982
; %bb.7979:                             ;   in Loop: Header=BB6_5404 Depth=2
	v_bfe_u32 v10, v12, 16, 7
	v_cmp_ne_u32_e32 vcc, s51, v10
	v_mov_b32_e32 v14, 0x7f800001
	s_and_saveexec_b64 s[92:93], vcc
	s_cbranch_execz .LBB6_7981
; %bb.7980:                             ;   in Loop: Header=BB6_5404 Depth=2
	v_and_b32_e32 v18, 7, v2
	v_lshrrev_b32_e32 v19, 3, v10
	v_cmp_gt_u32_e32 vcc, 8, v10
	v_ffbh_u32_e32 v10, v18
	v_min_u32_e32 v10, 32, v10
	v_subrev_u32_e32 v14, 28, v10
	v_lshlrev_b64 v[14:15], v14, v[2:3]
	v_sub_u32_e32 v10, 29, v10
	v_and_b32_e32 v14, 7, v14
	v_cndmask_b32_e32 v10, v19, v10, vcc
	v_cndmask_b32_e32 v14, v18, v14, vcc
	v_lshlrev_b32_e32 v2, 24, v2
	v_lshlrev_b32_e32 v14, 20, v14
	v_and_b32_e32 v2, 0x80000000, v2
	v_lshl_add_u32 v10, v10, 23, v5
	v_or3_b32 v14, v2, v10, v14
.LBB6_7981:                             ;   in Loop: Header=BB6_5404 Depth=2
	s_or_b64 exec, exec, s[92:93]
.LBB6_7982:                             ;   in Loop: Header=BB6_5404 Depth=2
	s_or_b64 exec, exec, s[90:91]
.LBB6_7983:                             ;   in Loop: Header=BB6_5404 Depth=2
	s_or_b64 exec, exec, s[20:21]
	v_max_f32_e32 v2, v14, v14
	v_max_f32_e32 v10, v11, v11
	v_min_f32_e32 v11, v10, v2
.LBB6_7984:                             ;   in Loop: Header=BB6_5404 Depth=2
	v_and_b32_e32 v2, 0x7f800000, v11
	v_cmp_ne_u64_e32 vcc, s[62:63], v[2:3]
                                        ; implicit-def: $vgpr55
	s_and_saveexec_b64 s[20:21], vcc
	s_xor_b64 s[90:91], exec, s[20:21]
	s_cbranch_execz .LBB6_7998
; %bb.7985:                             ;   in Loop: Header=BB6_5404 Depth=2
	v_and_b32_e32 v2, 0x7fffffff, v11
	v_cmp_gt_u64_e32 vcc, s[72:73], v[2:3]
	v_and_b32_sdwa v18, v11, s49 dst_sel:DWORD dst_unused:UNUSED_PAD src0_sel:BYTE_3 src1_sel:DWORD
                                        ; implicit-def: $vgpr55
	s_and_saveexec_b64 s[20:21], vcc
	s_xor_b64 s[92:93], exec, s[20:21]
	s_cbranch_execz .LBB6_7995
; %bb.7986:                             ;   in Loop: Header=BB6_5404 Depth=2
	v_mov_b32_e32 v55, 0
	v_cmp_ne_u32_e32 vcc, 0, v11
	s_and_saveexec_b64 s[94:95], vcc
	s_cbranch_execz .LBB6_7994
; %bb.7987:                             ;   in Loop: Header=BB6_5404 Depth=2
	v_bfe_u32 v19, v11, 23, 8
	v_cmp_gt_u32_e64 s[20:21], s53, v19
	v_sub_u32_e32 v10, 0x79, v19
	v_cmp_eq_u32_e32 vcc, 0, v19
	v_cndmask_b32_e64 v10, 0, v10, s[20:21]
	v_mov_b32_e32 v14, 0x78
	v_and_b32_e32 v2, 0x7fffff, v11
	v_cndmask_b32_e32 v55, v10, v14, vcc
	v_or_b32_e32 v11, 0x800000, v2
	v_add_u32_e32 v10, 20, v55
	v_cndmask_b32_e32 v2, v11, v2, vcc
	v_lshlrev_b64 v[10:11], v10, -1
	v_add_u32_e32 v14, 19, v55
	v_lshlrev_b64 v[14:15], v14, 1
	v_bfi_b32 v11, v11, 0, 0
	v_bfi_b32 v10, v10, 0, v2
	v_cmp_eq_u64_e64 s[20:21], v[10:11], v[14:15]
	v_lshrrev_b64 v[10:11], v55, v[2:3]
	v_mov_b32_e32 v15, v11
	v_mov_b32_e32 v14, v10
	s_and_saveexec_b64 s[30:31], s[20:21]
; %bb.7988:                             ;   in Loop: Header=BB6_5404 Depth=2
	v_bfe_u32 v2, v10, 20, 1
	v_add_co_u32_e64 v2, s[20:21], v10, v2
	v_add_co_u32_e64 v14, s[20:21], -1, v2
; %bb.7989:                             ;   in Loop: Header=BB6_5404 Depth=2
	s_or_b64 exec, exec, s[30:31]
	v_add_u32_e32 v2, 0xffffff81, v19
	v_cndmask_b32_e32 v2, v2, v59, vcc
	v_lshrrev_b32_e32 v11, 23, v10
	v_add3_u32 v19, v55, v2, v11
	v_add_u32_e32 v15, 6, v19
	v_and_b32_e32 v2, 0xfffff, v14
	v_add_u32_e32 v2, v2, v10
	v_cmp_ne_u32_e32 vcc, 0, v15
                                        ; implicit-def: $vgpr10_vgpr11
                                        ; implicit-def: $vgpr14
	s_and_saveexec_b64 s[20:21], vcc
	s_xor_b64 s[20:21], exec, s[20:21]
; %bb.7990:                             ;   in Loop: Header=BB6_5404 Depth=2
	v_cmp_lt_u64_e32 vcc, s[74:75], v[2:3]
	v_add_u32_e32 v10, 7, v19
	v_cndmask_b32_e32 v14, v15, v10, vcc
	v_cndmask_b32_e64 v10, 0, 1, vcc
	v_lshrrev_b64 v[10:11], v10, v[2:3]
; %bb.7991:                             ;   in Loop: Header=BB6_5404 Depth=2
	s_andn2_saveexec_b64 s[20:21], s[20:21]
; %bb.7992:                             ;   in Loop: Header=BB6_5404 Depth=2
	v_mov_b32_e32 v11, v3
	v_bfe_u32 v14, v2, 23, 1
	v_mov_b32_e32 v10, v2
; %bb.7993:                             ;   in Loop: Header=BB6_5404 Depth=2
	s_or_b64 exec, exec, s[20:21]
	v_lshrrev_b64 v[10:11], 20, v[10:11]
	v_cmp_gt_i32_e32 vcc, 16, v14
	v_cndmask_b32_e32 v11, 0, v11, vcc
	v_cndmask_b32_e32 v10, 7, v10, vcc
	v_min_i32_e32 v2, 15, v14
	v_cmp_eq_u64_e64 s[20:21], 0, v[10:11]
	v_lshlrev_b32_e32 v2, 3, v2
	v_cmp_eq_u32_e32 vcc, 0, v14
	v_and_b32_e32 v2, 0xf8, v2
	v_and_or_b32 v2, v10, 7, v2
	s_and_b64 s[20:21], vcc, s[20:21]
	v_cndmask_b32_e64 v2, v2, 0, s[20:21]
	v_or_b32_e32 v55, v2, v18
.LBB6_7994:                             ;   in Loop: Header=BB6_5404 Depth=2
	s_or_b64 exec, exec, s[94:95]
                                        ; implicit-def: $vgpr18
.LBB6_7995:                             ;   in Loop: Header=BB6_5404 Depth=2
	s_andn2_saveexec_b64 s[20:21], s[92:93]
; %bb.7996:                             ;   in Loop: Header=BB6_5404 Depth=2
	v_or_b32_e32 v55, 0x7e, v18
; %bb.7997:                             ;   in Loop: Header=BB6_5404 Depth=2
	s_or_b64 exec, exec, s[20:21]
                                        ; implicit-def: $vgpr11
.LBB6_7998:                             ;   in Loop: Header=BB6_5404 Depth=2
	s_andn2_saveexec_b64 s[20:21], s[90:91]
; %bb.7999:                             ;   in Loop: Header=BB6_5404 Depth=2
	v_or_b32_sdwa v55, v11, s51 dst_sel:DWORD dst_unused:UNUSED_PAD src0_sel:BYTE_3 src1_sel:DWORD
; %bb.8000:                             ;   in Loop: Header=BB6_5404 Depth=2
	s_or_b64 exec, exec, s[20:21]
	v_lshrrev_b32_e32 v10, 24, v16
	v_lshrrev_b32_e32 v2, 24, v12
	v_cmp_lt_u32_e64 s[20:21], s77, v16
	s_and_b64 vcc, exec, s[18:19]
	s_mov_b64 s[90:91], -1
                                        ; implicit-def: $vgpr11
	s_cbranch_vccnz .LBB6_8014
; %bb.8001:                             ;   in Loop: Header=BB6_5404 Depth=2
	v_mov_b32_e32 v14, 0
	v_mov_b32_e32 v11, 0
	s_and_saveexec_b64 s[90:91], s[20:21]
	s_cbranch_execz .LBB6_8007
; %bb.8002:                             ;   in Loop: Header=BB6_5404 Depth=2
	v_cmp_ne_u32_e32 vcc, s49, v10
	v_bfrev_b32_e32 v11, 1
	s_and_saveexec_b64 s[92:93], vcc
	s_cbranch_execz .LBB6_8006
; %bb.8003:                             ;   in Loop: Header=BB6_5404 Depth=2
	v_bfe_u32 v15, v16, 24, 7
	v_cmp_ne_u32_e32 vcc, s51, v15
	v_mov_b32_e32 v11, 0x7f800001
	s_and_saveexec_b64 s[94:95], vcc
	s_cbranch_execz .LBB6_8005
; %bb.8004:                             ;   in Loop: Header=BB6_5404 Depth=2
	v_and_b32_e32 v11, 7, v10
	v_lshrrev_b32_e32 v36, 3, v15
	v_cmp_gt_u32_e32 vcc, 8, v15
	v_ffbh_u32_e32 v15, v11
	v_min_u32_e32 v15, 32, v15
	v_subrev_u32_e32 v18, 28, v15
	v_lshlrev_b64 v[18:19], v18, v[10:11]
	v_sub_u32_e32 v15, 29, v15
	v_and_b32_e32 v18, 7, v18
	v_cndmask_b32_e32 v15, v36, v15, vcc
	v_cndmask_b32_e32 v11, v11, v18, vcc
	v_lshlrev_b32_e32 v18, 24, v10
	v_lshlrev_b32_e32 v11, 20, v11
	v_and_b32_e32 v18, 0x80000000, v18
	v_lshl_add_u32 v15, v15, 23, v5
	v_or3_b32 v11, v18, v15, v11
.LBB6_8005:                             ;   in Loop: Header=BB6_5404 Depth=2
	s_or_b64 exec, exec, s[94:95]
.LBB6_8006:                             ;   in Loop: Header=BB6_5404 Depth=2
	s_or_b64 exec, exec, s[92:93]
.LBB6_8007:                             ;   in Loop: Header=BB6_5404 Depth=2
	s_or_b64 exec, exec, s[90:91]
	v_cmp_lt_u32_e32 vcc, s77, v12
	s_and_saveexec_b64 s[90:91], vcc
	s_cbranch_execz .LBB6_8013
; %bb.8008:                             ;   in Loop: Header=BB6_5404 Depth=2
	v_cmp_ne_u32_e32 vcc, s49, v2
	v_bfrev_b32_e32 v14, 1
	s_and_saveexec_b64 s[92:93], vcc
	s_cbranch_execz .LBB6_8012
; %bb.8009:                             ;   in Loop: Header=BB6_5404 Depth=2
	v_bfe_u32 v15, v12, 24, 7
	v_cmp_ne_u32_e32 vcc, s51, v15
	v_mov_b32_e32 v14, 0x7f800001
	s_and_saveexec_b64 s[94:95], vcc
	s_cbranch_execz .LBB6_8011
; %bb.8010:                             ;   in Loop: Header=BB6_5404 Depth=2
	v_and_b32_e32 v18, 7, v2
	v_ffbh_u32_e32 v14, v18
	v_min_u32_e32 v36, 32, v14
	v_subrev_u32_e32 v14, 28, v36
	v_lshrrev_b32_e32 v19, 3, v15
	v_cmp_gt_u32_e32 vcc, 8, v15
	v_lshlrev_b64 v[14:15], v14, v[2:3]
	v_sub_u32_e32 v15, 29, v36
	v_and_b32_e32 v14, 7, v14
	v_cndmask_b32_e32 v15, v19, v15, vcc
	v_cndmask_b32_e32 v14, v18, v14, vcc
	v_lshlrev_b32_e32 v18, 24, v2
	v_lshlrev_b32_e32 v14, 20, v14
	v_and_b32_e32 v18, 0x80000000, v18
	v_lshl_add_u32 v15, v15, 23, v5
	v_or3_b32 v14, v18, v15, v14
.LBB6_8011:                             ;   in Loop: Header=BB6_5404 Depth=2
	s_or_b64 exec, exec, s[94:95]
.LBB6_8012:                             ;   in Loop: Header=BB6_5404 Depth=2
	s_or_b64 exec, exec, s[92:93]
.LBB6_8013:                             ;   in Loop: Header=BB6_5404 Depth=2
	s_or_b64 exec, exec, s[90:91]
	v_max_f32_e32 v14, v14, v14
	v_max_f32_e32 v11, v11, v11
	;; [unrolled: 1-line block ×3, first 2 shown]
	s_mov_b64 s[90:91], 0
.LBB6_8014:                             ;   in Loop: Header=BB6_5404 Depth=2
	s_and_b64 vcc, exec, s[90:91]
	s_cbranch_vccz .LBB6_8028
; %bb.8015:                             ;   in Loop: Header=BB6_5404 Depth=2
	v_mov_b32_e32 v14, 0
	v_mov_b32_e32 v11, 0
	s_and_saveexec_b64 s[90:91], s[20:21]
	s_cbranch_execz .LBB6_8021
; %bb.8016:                             ;   in Loop: Header=BB6_5404 Depth=2
	v_cmp_ne_u32_e32 vcc, s49, v10
	v_bfrev_b32_e32 v11, 1
	s_and_saveexec_b64 s[20:21], vcc
	s_cbranch_execz .LBB6_8020
; %bb.8017:                             ;   in Loop: Header=BB6_5404 Depth=2
	v_bfe_u32 v15, v16, 24, 7
	v_cmp_ne_u32_e32 vcc, s51, v15
	v_mov_b32_e32 v11, 0x7f800001
	s_and_saveexec_b64 s[92:93], vcc
	s_cbranch_execz .LBB6_8019
; %bb.8018:                             ;   in Loop: Header=BB6_5404 Depth=2
	v_and_b32_e32 v11, 7, v10
	v_lshrrev_b32_e32 v36, 3, v15
	v_cmp_gt_u32_e32 vcc, 8, v15
	v_ffbh_u32_e32 v15, v11
	v_min_u32_e32 v15, 32, v15
	v_subrev_u32_e32 v18, 28, v15
	v_lshlrev_b64 v[18:19], v18, v[10:11]
	v_sub_u32_e32 v15, 29, v15
	v_and_b32_e32 v18, 7, v18
	v_cndmask_b32_e32 v15, v36, v15, vcc
	v_cndmask_b32_e32 v11, v11, v18, vcc
	v_lshlrev_b32_e32 v10, 24, v10
	v_lshlrev_b32_e32 v11, 20, v11
	v_and_b32_e32 v10, 0x80000000, v10
	v_lshl_add_u32 v15, v15, 23, v5
	v_or3_b32 v11, v10, v15, v11
.LBB6_8019:                             ;   in Loop: Header=BB6_5404 Depth=2
	s_or_b64 exec, exec, s[92:93]
.LBB6_8020:                             ;   in Loop: Header=BB6_5404 Depth=2
	s_or_b64 exec, exec, s[20:21]
.LBB6_8021:                             ;   in Loop: Header=BB6_5404 Depth=2
	s_or_b64 exec, exec, s[90:91]
	v_cmp_lt_u32_e32 vcc, s77, v12
	s_and_saveexec_b64 s[20:21], vcc
	s_cbranch_execz .LBB6_8027
; %bb.8022:                             ;   in Loop: Header=BB6_5404 Depth=2
	v_cmp_ne_u32_e32 vcc, s49, v2
	v_bfrev_b32_e32 v14, 1
	s_and_saveexec_b64 s[90:91], vcc
	s_cbranch_execz .LBB6_8026
; %bb.8023:                             ;   in Loop: Header=BB6_5404 Depth=2
	v_bfe_u32 v10, v12, 24, 7
	v_cmp_ne_u32_e32 vcc, s51, v10
	v_mov_b32_e32 v14, 0x7f800001
	s_and_saveexec_b64 s[92:93], vcc
	s_cbranch_execz .LBB6_8025
; %bb.8024:                             ;   in Loop: Header=BB6_5404 Depth=2
	v_and_b32_e32 v18, 7, v2
	v_lshrrev_b32_e32 v19, 3, v10
	v_cmp_gt_u32_e32 vcc, 8, v10
	v_ffbh_u32_e32 v10, v18
	v_min_u32_e32 v10, 32, v10
	v_subrev_u32_e32 v14, 28, v10
	v_lshlrev_b64 v[14:15], v14, v[2:3]
	v_sub_u32_e32 v10, 29, v10
	v_and_b32_e32 v14, 7, v14
	v_cndmask_b32_e32 v10, v19, v10, vcc
	v_cndmask_b32_e32 v14, v18, v14, vcc
	v_lshlrev_b32_e32 v2, 24, v2
	v_lshlrev_b32_e32 v14, 20, v14
	v_and_b32_e32 v2, 0x80000000, v2
	v_lshl_add_u32 v10, v10, 23, v5
	v_or3_b32 v14, v2, v10, v14
.LBB6_8025:                             ;   in Loop: Header=BB6_5404 Depth=2
	s_or_b64 exec, exec, s[92:93]
.LBB6_8026:                             ;   in Loop: Header=BB6_5404 Depth=2
	s_or_b64 exec, exec, s[90:91]
.LBB6_8027:                             ;   in Loop: Header=BB6_5404 Depth=2
	s_or_b64 exec, exec, s[20:21]
	v_max_f32_e32 v2, v14, v14
	v_max_f32_e32 v10, v11, v11
	v_min_f32_e32 v11, v10, v2
.LBB6_8028:                             ;   in Loop: Header=BB6_5404 Depth=2
	v_and_b32_e32 v2, 0x7f800000, v11
	v_cmp_ne_u64_e32 vcc, s[62:63], v[2:3]
	v_mov_b32_e32 v39, v47
	v_mov_b32_e32 v47, v58
                                        ; implicit-def: $vgpr58
	s_and_saveexec_b64 s[20:21], vcc
	s_xor_b64 s[90:91], exec, s[20:21]
	s_cbranch_execz .LBB6_8042
; %bb.8029:                             ;   in Loop: Header=BB6_5404 Depth=2
	v_and_b32_e32 v2, 0x7fffffff, v11
	v_cmp_gt_u64_e32 vcc, s[72:73], v[2:3]
	v_and_b32_sdwa v18, v11, s49 dst_sel:DWORD dst_unused:UNUSED_PAD src0_sel:BYTE_3 src1_sel:DWORD
                                        ; implicit-def: $vgpr58
	s_and_saveexec_b64 s[20:21], vcc
	s_xor_b64 s[92:93], exec, s[20:21]
	s_cbranch_execz .LBB6_8039
; %bb.8030:                             ;   in Loop: Header=BB6_5404 Depth=2
	v_mov_b32_e32 v58, 0
	v_cmp_ne_u32_e32 vcc, 0, v11
	s_and_saveexec_b64 s[94:95], vcc
	s_cbranch_execz .LBB6_8038
; %bb.8031:                             ;   in Loop: Header=BB6_5404 Depth=2
	v_bfe_u32 v19, v11, 23, 8
	v_cmp_gt_u32_e64 s[20:21], s53, v19
	v_sub_u32_e32 v10, 0x79, v19
	v_cmp_eq_u32_e32 vcc, 0, v19
	v_cndmask_b32_e64 v10, 0, v10, s[20:21]
	v_mov_b32_e32 v14, 0x78
	v_and_b32_e32 v2, 0x7fffff, v11
	v_cndmask_b32_e32 v40, v10, v14, vcc
	v_or_b32_e32 v11, 0x800000, v2
	v_add_u32_e32 v10, 20, v40
	v_cndmask_b32_e32 v2, v11, v2, vcc
	v_lshlrev_b64 v[10:11], v10, -1
	v_add_u32_e32 v14, 19, v40
	v_lshlrev_b64 v[14:15], v14, 1
	v_bfi_b32 v11, v11, 0, 0
	v_bfi_b32 v10, v10, 0, v2
	v_cmp_eq_u64_e64 s[20:21], v[10:11], v[14:15]
	v_lshrrev_b64 v[10:11], v40, v[2:3]
	v_mov_b32_e32 v15, v11
	v_mov_b32_e32 v14, v10
	s_and_saveexec_b64 s[30:31], s[20:21]
; %bb.8032:                             ;   in Loop: Header=BB6_5404 Depth=2
	v_bfe_u32 v2, v10, 20, 1
	v_add_co_u32_e64 v2, s[20:21], v10, v2
	v_add_co_u32_e64 v14, s[20:21], -1, v2
; %bb.8033:                             ;   in Loop: Header=BB6_5404 Depth=2
	s_or_b64 exec, exec, s[30:31]
	v_add_u32_e32 v2, 0xffffff81, v19
	v_cndmask_b32_e32 v2, v2, v59, vcc
	v_lshrrev_b32_e32 v11, 23, v10
	v_add3_u32 v19, v40, v2, v11
	v_add_u32_e32 v15, 6, v19
	v_and_b32_e32 v2, 0xfffff, v14
	v_add_u32_e32 v2, v2, v10
	v_cmp_ne_u32_e32 vcc, 0, v15
                                        ; implicit-def: $vgpr10_vgpr11
                                        ; implicit-def: $vgpr14
	s_and_saveexec_b64 s[20:21], vcc
	s_xor_b64 s[20:21], exec, s[20:21]
; %bb.8034:                             ;   in Loop: Header=BB6_5404 Depth=2
	v_cmp_lt_u64_e32 vcc, s[74:75], v[2:3]
	v_add_u32_e32 v10, 7, v19
	v_cndmask_b32_e32 v14, v15, v10, vcc
	v_cndmask_b32_e64 v10, 0, 1, vcc
	v_lshrrev_b64 v[10:11], v10, v[2:3]
; %bb.8035:                             ;   in Loop: Header=BB6_5404 Depth=2
	s_andn2_saveexec_b64 s[20:21], s[20:21]
; %bb.8036:                             ;   in Loop: Header=BB6_5404 Depth=2
	v_mov_b32_e32 v11, v3
	v_bfe_u32 v14, v2, 23, 1
	v_mov_b32_e32 v10, v2
; %bb.8037:                             ;   in Loop: Header=BB6_5404 Depth=2
	s_or_b64 exec, exec, s[20:21]
	v_lshrrev_b64 v[10:11], 20, v[10:11]
	v_cmp_gt_i32_e32 vcc, 16, v14
	v_cndmask_b32_e32 v11, 0, v11, vcc
	v_cndmask_b32_e32 v10, 7, v10, vcc
	v_min_i32_e32 v2, 15, v14
	v_cmp_eq_u64_e64 s[20:21], 0, v[10:11]
	v_lshlrev_b32_e32 v2, 3, v2
	v_cmp_eq_u32_e32 vcc, 0, v14
	v_and_b32_e32 v2, 0xf8, v2
	v_and_or_b32 v2, v10, 7, v2
	s_and_b64 s[20:21], vcc, s[20:21]
	v_cndmask_b32_e64 v2, v2, 0, s[20:21]
	v_or_b32_e32 v58, v2, v18
.LBB6_8038:                             ;   in Loop: Header=BB6_5404 Depth=2
	s_or_b64 exec, exec, s[94:95]
                                        ; implicit-def: $vgpr18
.LBB6_8039:                             ;   in Loop: Header=BB6_5404 Depth=2
	s_andn2_saveexec_b64 s[20:21], s[92:93]
; %bb.8040:                             ;   in Loop: Header=BB6_5404 Depth=2
	v_or_b32_e32 v58, 0x7e, v18
; %bb.8041:                             ;   in Loop: Header=BB6_5404 Depth=2
	s_or_b64 exec, exec, s[20:21]
                                        ; implicit-def: $vgpr11
.LBB6_8042:                             ;   in Loop: Header=BB6_5404 Depth=2
	s_andn2_saveexec_b64 s[20:21], s[90:91]
; %bb.8043:                             ;   in Loop: Header=BB6_5404 Depth=2
	v_or_b32_sdwa v58, v11, s51 dst_sel:DWORD dst_unused:UNUSED_PAD src0_sel:BYTE_3 src1_sel:DWORD
; %bb.8044:                             ;   in Loop: Header=BB6_5404 Depth=2
	s_or_b64 exec, exec, s[20:21]
	v_mov_b32_e32 v2, v17
	v_mov_b32_e32 v10, v13
	;; [unrolled: 1-line block ×3, first 2 shown]
	v_cmp_ne_u16_sdwa s[20:21], v17, v3 src0_sel:BYTE_0 src1_sel:DWORD
	s_and_b64 vcc, exec, s[18:19]
	s_mov_b64 s[90:91], -1
                                        ; implicit-def: $vgpr14
	s_cbranch_vccnz .LBB6_8058
; %bb.8045:                             ;   in Loop: Header=BB6_5404 Depth=2
	v_mov_b32_e32 v15, 0
	v_mov_b32_e32 v14, 0
	s_and_saveexec_b64 s[90:91], s[20:21]
	s_cbranch_execz .LBB6_8051
; %bb.8046:                             ;   in Loop: Header=BB6_5404 Depth=2
	v_cmp_ne_u16_sdwa s[94:95], v17, s49 src0_sel:BYTE_0 src1_sel:DWORD
	v_bfrev_b32_e32 v14, 1
	s_and_saveexec_b64 s[92:93], s[94:95]
	s_cbranch_execz .LBB6_8050
; %bb.8047:                             ;   in Loop: Header=BB6_5404 Depth=2
	v_and_b32_e32 v18, 0x7f, v17
	v_cmp_ne_u32_e32 vcc, s51, v18
	v_mov_b32_e32 v14, 0x7f800001
	s_and_saveexec_b64 s[94:95], vcc
	s_cbranch_execz .LBB6_8049
; %bb.8048:                             ;   in Loop: Header=BB6_5404 Depth=2
	v_and_b32_e32 v14, 7, v17
	v_ffbh_u32_e32 v14, v14
	v_min_u32_e32 v14, 32, v14
	v_lshrrev_b32_e32 v19, 3, v18
	v_cmp_gt_u32_e32 vcc, 8, v18
	v_subrev_u32_e32 v18, 28, v14
	v_sub_u32_e32 v14, 29, v14
	v_cndmask_b32_e32 v18, 0, v18, vcc
	v_cndmask_b32_e32 v14, v19, v14, vcc
	v_lshlrev_b64 v[18:19], v18, v[2:3]
	v_lshlrev_b32_e32 v19, 24, v2
	v_lshlrev_b32_e32 v18, 20, v18
	v_and_b32_e32 v18, 0x700000, v18
	v_and_b32_e32 v19, 0x80000000, v19
	v_lshl_add_u32 v14, v14, 23, v5
	v_or3_b32 v14, v19, v14, v18
.LBB6_8049:                             ;   in Loop: Header=BB6_5404 Depth=2
	s_or_b64 exec, exec, s[94:95]
.LBB6_8050:                             ;   in Loop: Header=BB6_5404 Depth=2
	s_or_b64 exec, exec, s[92:93]
.LBB6_8051:                             ;   in Loop: Header=BB6_5404 Depth=2
	s_or_b64 exec, exec, s[90:91]
	v_cmp_ne_u16_sdwa s[92:93], v13, v3 src0_sel:BYTE_0 src1_sel:DWORD
	s_and_saveexec_b64 s[90:91], s[92:93]
	s_cbranch_execz .LBB6_8057
; %bb.8052:                             ;   in Loop: Header=BB6_5404 Depth=2
	v_cmp_ne_u16_sdwa s[94:95], v13, s49 src0_sel:BYTE_0 src1_sel:DWORD
	v_bfrev_b32_e32 v15, 1
	s_and_saveexec_b64 s[92:93], s[94:95]
	s_cbranch_execz .LBB6_8056
; %bb.8053:                             ;   in Loop: Header=BB6_5404 Depth=2
	v_and_b32_e32 v18, 0x7f, v13
	v_cmp_ne_u32_e32 vcc, s51, v18
	v_mov_b32_e32 v15, 0x7f800001
	s_and_saveexec_b64 s[94:95], vcc
	s_cbranch_execz .LBB6_8055
; %bb.8054:                             ;   in Loop: Header=BB6_5404 Depth=2
	v_and_b32_e32 v15, 7, v13
	v_ffbh_u32_e32 v15, v15
	v_min_u32_e32 v15, 32, v15
	v_lshrrev_b32_e32 v19, 3, v18
	v_cmp_gt_u32_e32 vcc, 8, v18
	v_subrev_u32_e32 v18, 28, v15
	v_sub_u32_e32 v15, 29, v15
	v_cndmask_b32_e32 v18, 0, v18, vcc
	v_cndmask_b32_e32 v15, v19, v15, vcc
	v_lshlrev_b64 v[18:19], v18, v[10:11]
	v_lshlrev_b32_e32 v19, 24, v10
	v_lshlrev_b32_e32 v18, 20, v18
	v_and_b32_e32 v18, 0x700000, v18
	v_and_b32_e32 v19, 0x80000000, v19
	v_lshl_add_u32 v15, v15, 23, v5
	v_or3_b32 v15, v19, v15, v18
.LBB6_8055:                             ;   in Loop: Header=BB6_5404 Depth=2
	s_or_b64 exec, exec, s[94:95]
.LBB6_8056:                             ;   in Loop: Header=BB6_5404 Depth=2
	s_or_b64 exec, exec, s[92:93]
.LBB6_8057:                             ;   in Loop: Header=BB6_5404 Depth=2
	s_or_b64 exec, exec, s[90:91]
	v_max_f32_e32 v15, v15, v15
	v_max_f32_e32 v14, v14, v14
	v_max_f32_e32 v14, v14, v15
	s_mov_b64 s[90:91], 0
.LBB6_8058:                             ;   in Loop: Header=BB6_5404 Depth=2
	s_and_b64 vcc, exec, s[90:91]
	s_cbranch_vccz .LBB6_8072
; %bb.8059:                             ;   in Loop: Header=BB6_5404 Depth=2
	v_mov_b32_e32 v15, 0
	v_mov_b32_e32 v14, 0
	s_and_saveexec_b64 s[90:91], s[20:21]
	s_cbranch_execz .LBB6_8065
; %bb.8060:                             ;   in Loop: Header=BB6_5404 Depth=2
	v_cmp_ne_u16_sdwa s[92:93], v17, s49 src0_sel:BYTE_0 src1_sel:DWORD
	v_bfrev_b32_e32 v14, 1
	s_and_saveexec_b64 s[20:21], s[92:93]
	s_cbranch_execz .LBB6_8064
; %bb.8061:                             ;   in Loop: Header=BB6_5404 Depth=2
	v_and_b32_e32 v18, 0x7f, v17
	v_cmp_ne_u32_e32 vcc, s51, v18
	v_mov_b32_e32 v14, 0x7f800001
	s_and_saveexec_b64 s[92:93], vcc
	s_cbranch_execz .LBB6_8063
; %bb.8062:                             ;   in Loop: Header=BB6_5404 Depth=2
	v_and_b32_e32 v14, 7, v17
	v_ffbh_u32_e32 v14, v14
	v_min_u32_e32 v14, 32, v14
	v_lshrrev_b32_e32 v19, 3, v18
	v_cmp_gt_u32_e32 vcc, 8, v18
	v_subrev_u32_e32 v18, 28, v14
	v_sub_u32_e32 v14, 29, v14
	v_cndmask_b32_e32 v18, 0, v18, vcc
	v_cndmask_b32_e32 v14, v19, v14, vcc
	v_lshlrev_b64 v[18:19], v18, v[2:3]
	v_lshlrev_b32_e32 v19, 24, v2
	v_lshlrev_b32_e32 v18, 20, v18
	v_and_b32_e32 v18, 0x700000, v18
	v_and_b32_e32 v19, 0x80000000, v19
	v_lshl_add_u32 v14, v14, 23, v5
	v_or3_b32 v14, v19, v14, v18
.LBB6_8063:                             ;   in Loop: Header=BB6_5404 Depth=2
	s_or_b64 exec, exec, s[92:93]
.LBB6_8064:                             ;   in Loop: Header=BB6_5404 Depth=2
	s_or_b64 exec, exec, s[20:21]
.LBB6_8065:                             ;   in Loop: Header=BB6_5404 Depth=2
	s_or_b64 exec, exec, s[90:91]
	v_cmp_ne_u16_sdwa s[90:91], v13, v3 src0_sel:BYTE_0 src1_sel:DWORD
	s_and_saveexec_b64 s[20:21], s[90:91]
	s_cbranch_execz .LBB6_8071
; %bb.8066:                             ;   in Loop: Header=BB6_5404 Depth=2
	v_cmp_ne_u16_sdwa s[92:93], v13, s49 src0_sel:BYTE_0 src1_sel:DWORD
	v_bfrev_b32_e32 v15, 1
	s_and_saveexec_b64 s[90:91], s[92:93]
	s_cbranch_execz .LBB6_8070
; %bb.8067:                             ;   in Loop: Header=BB6_5404 Depth=2
	v_and_b32_e32 v18, 0x7f, v13
	v_cmp_ne_u32_e32 vcc, s51, v18
	v_mov_b32_e32 v15, 0x7f800001
	s_and_saveexec_b64 s[92:93], vcc
	s_cbranch_execz .LBB6_8069
; %bb.8068:                             ;   in Loop: Header=BB6_5404 Depth=2
	v_and_b32_e32 v15, 7, v13
	v_ffbh_u32_e32 v15, v15
	v_min_u32_e32 v15, 32, v15
	v_lshrrev_b32_e32 v19, 3, v18
	v_cmp_gt_u32_e32 vcc, 8, v18
	v_subrev_u32_e32 v18, 28, v15
	v_sub_u32_e32 v15, 29, v15
	v_cndmask_b32_e32 v18, 0, v18, vcc
	v_cndmask_b32_e32 v15, v19, v15, vcc
	v_lshlrev_b64 v[18:19], v18, v[10:11]
	v_lshl_add_u32 v15, v15, 23, v5
	v_lshlrev_b32_e32 v11, 20, v18
	v_lshlrev_b32_e32 v18, 24, v10
	v_and_b32_e32 v11, 0x700000, v11
	v_and_b32_e32 v18, 0x80000000, v18
	v_or3_b32 v15, v18, v15, v11
.LBB6_8069:                             ;   in Loop: Header=BB6_5404 Depth=2
	s_or_b64 exec, exec, s[92:93]
.LBB6_8070:                             ;   in Loop: Header=BB6_5404 Depth=2
	s_or_b64 exec, exec, s[90:91]
.LBB6_8071:                             ;   in Loop: Header=BB6_5404 Depth=2
	s_or_b64 exec, exec, s[20:21]
	v_max_f32_e32 v11, v15, v15
	v_max_f32_e32 v14, v14, v14
	v_min_f32_e32 v14, v14, v11
.LBB6_8072:                             ;   in Loop: Header=BB6_5404 Depth=2
	v_and_b32_e32 v18, 0x7f800000, v14
	v_mov_b32_e32 v19, v3
	v_cmp_ne_u64_e32 vcc, s[62:63], v[18:19]
                                        ; implicit-def: $vgpr18
	s_and_saveexec_b64 s[20:21], vcc
	s_xor_b64 s[90:91], exec, s[20:21]
	s_cbranch_execz .LBB6_8086
; %bb.8073:                             ;   in Loop: Header=BB6_5404 Depth=2
	v_and_b32_e32 v18, 0x7fffffff, v14
	v_mov_b32_e32 v19, v3
	v_cmp_gt_u64_e32 vcc, s[72:73], v[18:19]
	v_and_b32_sdwa v11, v14, s49 dst_sel:DWORD dst_unused:UNUSED_PAD src0_sel:BYTE_3 src1_sel:DWORD
                                        ; implicit-def: $vgpr18
	s_and_saveexec_b64 s[20:21], vcc
	s_xor_b64 s[92:93], exec, s[20:21]
	s_cbranch_execz .LBB6_8083
; %bb.8074:                             ;   in Loop: Header=BB6_5404 Depth=2
	v_mov_b32_e32 v18, 0
	v_cmp_ne_u32_e32 vcc, 0, v14
	s_and_saveexec_b64 s[94:95], vcc
	s_cbranch_execz .LBB6_8082
; %bb.8075:                             ;   in Loop: Header=BB6_5404 Depth=2
	v_bfe_u32 v40, v14, 23, 8
	v_and_b32_e32 v15, 0x7fffff, v14
	v_cmp_gt_u32_e64 s[20:21], s53, v40
	v_sub_u32_e32 v14, 0x79, v40
	v_cmp_eq_u32_e32 vcc, 0, v40
	v_cndmask_b32_e64 v14, 0, v14, s[20:21]
	v_mov_b32_e32 v19, 0x78
	v_or_b32_e32 v18, 0x800000, v15
	v_cndmask_b32_e32 v41, v14, v19, vcc
	v_cndmask_b32_e32 v14, v18, v15, vcc
	v_add_u32_e32 v18, 20, v41
	v_lshlrev_b64 v[18:19], v18, -1
	v_mov_b32_e32 v15, v3
	v_add_u32_e32 v36, 19, v41
	v_bfi_b32 v18, v18, 0, v14
	v_lshlrev_b64 v[36:37], v36, 1
	v_lshrrev_b64 v[14:15], v41, v[14:15]
	v_bfi_b32 v19, v19, 0, 0
	v_cmp_eq_u64_e64 s[20:21], v[18:19], v[36:37]
	v_mov_b32_e32 v19, v15
	v_mov_b32_e32 v18, v14
	s_and_saveexec_b64 s[30:31], s[20:21]
; %bb.8076:                             ;   in Loop: Header=BB6_5404 Depth=2
	v_bfe_u32 v15, v14, 20, 1
	v_add_co_u32_e64 v15, s[20:21], v14, v15
	v_add_co_u32_e64 v18, s[20:21], -1, v15
; %bb.8077:                             ;   in Loop: Header=BB6_5404 Depth=2
	s_or_b64 exec, exec, s[30:31]
	v_add_u32_e32 v15, 0xffffff81, v40
	v_cndmask_b32_e32 v15, v15, v59, vcc
	v_lshrrev_b32_e32 v19, 23, v14
	v_add3_u32 v40, v41, v15, v19
	v_add_u32_e32 v19, 6, v40
	v_and_b32_e32 v15, 0xfffff, v18
	v_add_u32_e32 v14, v15, v14
	v_mov_b32_e32 v15, v3
	v_cmp_ne_u32_e32 vcc, 0, v19
                                        ; implicit-def: $vgpr18
	s_and_saveexec_b64 s[20:21], vcc
	s_xor_b64 s[20:21], exec, s[20:21]
; %bb.8078:                             ;   in Loop: Header=BB6_5404 Depth=2
	v_cmp_lt_u64_e32 vcc, s[74:75], v[14:15]
	v_add_u32_e32 v18, 7, v40
	v_cndmask_b32_e32 v18, v19, v18, vcc
	v_cndmask_b32_e64 v19, 0, 1, vcc
	v_lshrrev_b64 v[14:15], v19, v[14:15]
; %bb.8079:                             ;   in Loop: Header=BB6_5404 Depth=2
	s_andn2_saveexec_b64 s[20:21], s[20:21]
; %bb.8080:                             ;   in Loop: Header=BB6_5404 Depth=2
	v_bfe_u32 v18, v14, 23, 1
; %bb.8081:                             ;   in Loop: Header=BB6_5404 Depth=2
	s_or_b64 exec, exec, s[20:21]
	v_lshrrev_b64 v[14:15], 20, v[14:15]
	v_cmp_gt_i32_e32 vcc, 16, v18
	v_cndmask_b32_e32 v15, 0, v15, vcc
	v_cndmask_b32_e32 v14, 7, v14, vcc
	v_cmp_eq_u64_e64 s[20:21], 0, v[14:15]
	v_min_i32_e32 v15, 15, v18
	v_lshlrev_b32_e32 v15, 3, v15
	v_cmp_eq_u32_e32 vcc, 0, v18
	v_and_b32_e32 v15, 0xf8, v15
	v_and_or_b32 v14, v14, 7, v15
	s_and_b64 s[20:21], vcc, s[20:21]
	v_cndmask_b32_e64 v14, v14, 0, s[20:21]
	v_or_b32_e32 v18, v14, v11
.LBB6_8082:                             ;   in Loop: Header=BB6_5404 Depth=2
	s_or_b64 exec, exec, s[94:95]
                                        ; implicit-def: $vgpr11
.LBB6_8083:                             ;   in Loop: Header=BB6_5404 Depth=2
	s_andn2_saveexec_b64 s[20:21], s[92:93]
; %bb.8084:                             ;   in Loop: Header=BB6_5404 Depth=2
	v_or_b32_e32 v18, 0x7e, v11
; %bb.8085:                             ;   in Loop: Header=BB6_5404 Depth=2
	s_or_b64 exec, exec, s[20:21]
                                        ; implicit-def: $vgpr14
.LBB6_8086:                             ;   in Loop: Header=BB6_5404 Depth=2
	s_andn2_saveexec_b64 s[20:21], s[90:91]
; %bb.8087:                             ;   in Loop: Header=BB6_5404 Depth=2
	v_or_b32_sdwa v18, v14, s51 dst_sel:DWORD dst_unused:UNUSED_PAD src0_sel:BYTE_3 src1_sel:DWORD
; %bb.8088:                             ;   in Loop: Header=BB6_5404 Depth=2
	s_or_b64 exec, exec, s[20:21]
	v_lshrrev_b16_e32 v14, 8, v2
	v_lshrrev_b16_e32 v11, 8, v10
	v_cmp_ne_u16_e64 s[20:21], 0, v14
	s_and_b64 vcc, exec, s[18:19]
	s_mov_b64 s[90:91], -1
                                        ; implicit-def: $vgpr15
	s_cbranch_vccnz .LBB6_8102
; %bb.8089:                             ;   in Loop: Header=BB6_5404 Depth=2
	v_mov_b32_e32 v19, 0
	v_mov_b32_e32 v15, 0
	s_and_saveexec_b64 s[90:91], s[20:21]
	s_cbranch_execz .LBB6_8095
; %bb.8090:                             ;   in Loop: Header=BB6_5404 Depth=2
	v_cmp_ne_u16_e32 vcc, s49, v14
	v_bfrev_b32_e32 v15, 1
	s_and_saveexec_b64 s[92:93], vcc
	s_cbranch_execz .LBB6_8094
; %bb.8091:                             ;   in Loop: Header=BB6_5404 Depth=2
	v_and_b32_e32 v40, 0x7f, v14
	v_cmp_ne_u32_e32 vcc, s51, v40
	v_mov_b32_e32 v15, 0x7f800001
	s_and_saveexec_b64 s[94:95], vcc
	s_cbranch_execz .LBB6_8093
; %bb.8092:                             ;   in Loop: Header=BB6_5404 Depth=2
	v_and_b32_e32 v15, 7, v14
	v_ffbh_u32_e32 v36, v15
	v_lshrrev_b32_e32 v41, 3, v40
	v_cmp_gt_u32_e32 vcc, 8, v40
	v_min_u32_e32 v40, 32, v36
	v_subrev_u32_e32 v36, 28, v40
	v_lshlrev_b64 v[36:37], v36, v[14:15]
	v_sub_u32_e32 v37, 29, v40
	v_and_b32_e32 v36, 7, v36
	v_cndmask_b32_e32 v37, v41, v37, vcc
	v_cndmask_b32_e32 v15, v15, v36, vcc
	v_lshlrev_b32_e32 v36, 16, v2
	v_lshlrev_b32_e32 v15, 20, v15
	v_and_b32_e32 v36, 0x80000000, v36
	v_lshl_add_u32 v37, v37, 23, v5
	v_or3_b32 v15, v36, v37, v15
.LBB6_8093:                             ;   in Loop: Header=BB6_5404 Depth=2
	s_or_b64 exec, exec, s[94:95]
.LBB6_8094:                             ;   in Loop: Header=BB6_5404 Depth=2
	s_or_b64 exec, exec, s[92:93]
.LBB6_8095:                             ;   in Loop: Header=BB6_5404 Depth=2
	s_or_b64 exec, exec, s[90:91]
	v_cmp_ne_u16_e32 vcc, 0, v11
	s_and_saveexec_b64 s[90:91], vcc
	s_cbranch_execz .LBB6_8101
; %bb.8096:                             ;   in Loop: Header=BB6_5404 Depth=2
	v_cmp_ne_u16_e32 vcc, s49, v11
	v_bfrev_b32_e32 v19, 1
	s_and_saveexec_b64 s[92:93], vcc
	s_cbranch_execz .LBB6_8100
; %bb.8097:                             ;   in Loop: Header=BB6_5404 Depth=2
	v_and_b32_e32 v40, 0x7f, v11
	v_cmp_ne_u32_e32 vcc, s51, v40
	v_mov_b32_e32 v19, 0x7f800001
	s_and_saveexec_b64 s[94:95], vcc
	s_cbranch_execz .LBB6_8099
; %bb.8098:                             ;   in Loop: Header=BB6_5404 Depth=2
	v_and_b32_e32 v19, 7, v11
	v_ffbh_u32_e32 v36, v19
	v_lshrrev_b32_e32 v41, 3, v40
	v_cmp_gt_u32_e32 vcc, 8, v40
	v_min_u32_e32 v40, 32, v36
	v_subrev_u32_e32 v36, 28, v40
	v_lshlrev_b64 v[36:37], v36, v[11:12]
	v_sub_u32_e32 v37, 29, v40
	v_and_b32_e32 v36, 7, v36
	v_cndmask_b32_e32 v37, v41, v37, vcc
	v_cndmask_b32_e32 v19, v19, v36, vcc
	v_lshlrev_b32_e32 v36, 16, v10
	v_lshlrev_b32_e32 v19, 20, v19
	v_and_b32_e32 v36, 0x80000000, v36
	v_lshl_add_u32 v37, v37, 23, v5
	v_or3_b32 v19, v36, v37, v19
.LBB6_8099:                             ;   in Loop: Header=BB6_5404 Depth=2
	s_or_b64 exec, exec, s[94:95]
.LBB6_8100:                             ;   in Loop: Header=BB6_5404 Depth=2
	s_or_b64 exec, exec, s[92:93]
.LBB6_8101:                             ;   in Loop: Header=BB6_5404 Depth=2
	s_or_b64 exec, exec, s[90:91]
	v_max_f32_e32 v19, v19, v19
	v_max_f32_e32 v15, v15, v15
	;; [unrolled: 1-line block ×3, first 2 shown]
	s_mov_b64 s[90:91], 0
.LBB6_8102:                             ;   in Loop: Header=BB6_5404 Depth=2
	s_and_b64 vcc, exec, s[90:91]
	s_cbranch_vccz .LBB6_8116
; %bb.8103:                             ;   in Loop: Header=BB6_5404 Depth=2
	v_mov_b32_e32 v19, 0
	v_mov_b32_e32 v15, 0
	s_and_saveexec_b64 s[90:91], s[20:21]
	s_cbranch_execz .LBB6_8109
; %bb.8104:                             ;   in Loop: Header=BB6_5404 Depth=2
	v_cmp_ne_u16_e32 vcc, s49, v14
	v_bfrev_b32_e32 v15, 1
	s_and_saveexec_b64 s[20:21], vcc
	s_cbranch_execz .LBB6_8108
; %bb.8105:                             ;   in Loop: Header=BB6_5404 Depth=2
	v_and_b32_e32 v40, 0x7f, v14
	v_cmp_ne_u32_e32 vcc, s51, v40
	v_mov_b32_e32 v15, 0x7f800001
	s_and_saveexec_b64 s[92:93], vcc
	s_cbranch_execz .LBB6_8107
; %bb.8106:                             ;   in Loop: Header=BB6_5404 Depth=2
	v_and_b32_e32 v36, 7, v14
	v_ffbh_u32_e32 v15, v36
	v_lshrrev_b32_e32 v37, 3, v40
	v_cmp_gt_u32_e32 vcc, 8, v40
	v_min_u32_e32 v40, 32, v15
	v_subrev_u32_e32 v15, 28, v40
	v_lshlrev_b64 v[14:15], v15, v[14:15]
	v_sub_u32_e32 v15, 29, v40
	v_and_b32_e32 v14, 7, v14
	v_cndmask_b32_e32 v15, v37, v15, vcc
	v_cndmask_b32_e32 v14, v36, v14, vcc
	v_lshlrev_b32_e32 v2, 16, v2
	v_lshlrev_b32_e32 v14, 20, v14
	v_and_b32_e32 v2, 0x80000000, v2
	v_lshl_add_u32 v15, v15, 23, v5
	v_or3_b32 v15, v2, v15, v14
.LBB6_8107:                             ;   in Loop: Header=BB6_5404 Depth=2
	s_or_b64 exec, exec, s[92:93]
.LBB6_8108:                             ;   in Loop: Header=BB6_5404 Depth=2
	s_or_b64 exec, exec, s[20:21]
.LBB6_8109:                             ;   in Loop: Header=BB6_5404 Depth=2
	s_or_b64 exec, exec, s[90:91]
	v_cmp_ne_u16_e32 vcc, 0, v11
	s_and_saveexec_b64 s[20:21], vcc
	s_cbranch_execz .LBB6_8115
; %bb.8110:                             ;   in Loop: Header=BB6_5404 Depth=2
	v_cmp_ne_u16_e32 vcc, s49, v11
	v_bfrev_b32_e32 v19, 1
	s_and_saveexec_b64 s[90:91], vcc
	s_cbranch_execz .LBB6_8114
; %bb.8111:                             ;   in Loop: Header=BB6_5404 Depth=2
	v_and_b32_e32 v2, 0x7f, v11
	v_cmp_ne_u32_e32 vcc, s51, v2
	v_mov_b32_e32 v19, 0x7f800001
	s_and_saveexec_b64 s[92:93], vcc
	s_cbranch_execz .LBB6_8113
; %bb.8112:                             ;   in Loop: Header=BB6_5404 Depth=2
	v_and_b32_e32 v14, 7, v11
	v_lshrrev_b32_e32 v19, 3, v2
	v_cmp_gt_u32_e32 vcc, 8, v2
	v_ffbh_u32_e32 v2, v14
	v_min_u32_e32 v2, 32, v2
	v_subrev_u32_e32 v36, 28, v2
	v_lshlrev_b64 v[36:37], v36, v[11:12]
	v_sub_u32_e32 v2, 29, v2
	v_and_b32_e32 v11, 7, v36
	v_cndmask_b32_e32 v2, v19, v2, vcc
	v_cndmask_b32_e32 v11, v14, v11, vcc
	v_lshlrev_b32_e32 v10, 16, v10
	v_lshlrev_b32_e32 v11, 20, v11
	v_and_b32_e32 v10, 0x80000000, v10
	v_lshl_add_u32 v2, v2, 23, v5
	v_or3_b32 v19, v10, v2, v11
.LBB6_8113:                             ;   in Loop: Header=BB6_5404 Depth=2
	s_or_b64 exec, exec, s[92:93]
.LBB6_8114:                             ;   in Loop: Header=BB6_5404 Depth=2
	s_or_b64 exec, exec, s[90:91]
.LBB6_8115:                             ;   in Loop: Header=BB6_5404 Depth=2
	s_or_b64 exec, exec, s[20:21]
	v_max_f32_e32 v2, v19, v19
	v_max_f32_e32 v10, v15, v15
	v_min_f32_e32 v15, v10, v2
.LBB6_8116:                             ;   in Loop: Header=BB6_5404 Depth=2
	v_and_b32_e32 v2, 0x7f800000, v15
	v_cmp_ne_u64_e32 vcc, s[62:63], v[2:3]
                                        ; implicit-def: $vgpr19
	s_and_saveexec_b64 s[20:21], vcc
	s_xor_b64 s[90:91], exec, s[20:21]
	s_cbranch_execz .LBB6_8130
; %bb.8117:                             ;   in Loop: Header=BB6_5404 Depth=2
	v_and_b32_e32 v2, 0x7fffffff, v15
	v_cmp_gt_u64_e32 vcc, s[72:73], v[2:3]
	v_and_b32_sdwa v40, v15, s49 dst_sel:DWORD dst_unused:UNUSED_PAD src0_sel:BYTE_3 src1_sel:DWORD
                                        ; implicit-def: $vgpr19
	s_and_saveexec_b64 s[20:21], vcc
	s_xor_b64 s[92:93], exec, s[20:21]
	s_cbranch_execz .LBB6_8127
; %bb.8118:                             ;   in Loop: Header=BB6_5404 Depth=2
	v_mov_b32_e32 v19, 0
	v_cmp_ne_u32_e32 vcc, 0, v15
	s_and_saveexec_b64 s[94:95], vcc
	s_cbranch_execz .LBB6_8126
; %bb.8119:                             ;   in Loop: Header=BB6_5404 Depth=2
	v_bfe_u32 v19, v15, 23, 8
	v_cmp_gt_u32_e64 s[20:21], s53, v19
	v_sub_u32_e32 v10, 0x79, v19
	v_cmp_eq_u32_e32 vcc, 0, v19
	v_cndmask_b32_e64 v10, 0, v10, s[20:21]
	v_mov_b32_e32 v14, 0x78
	v_and_b32_e32 v2, 0x7fffff, v15
	v_cndmask_b32_e32 v41, v10, v14, vcc
	v_or_b32_e32 v11, 0x800000, v2
	v_add_u32_e32 v10, 20, v41
	v_cndmask_b32_e32 v2, v11, v2, vcc
	v_lshlrev_b64 v[10:11], v10, -1
	v_add_u32_e32 v14, 19, v41
	v_lshlrev_b64 v[14:15], v14, 1
	v_bfi_b32 v11, v11, 0, 0
	v_bfi_b32 v10, v10, 0, v2
	v_cmp_eq_u64_e64 s[20:21], v[10:11], v[14:15]
	v_lshrrev_b64 v[10:11], v41, v[2:3]
	v_mov_b32_e32 v15, v11
	v_mov_b32_e32 v14, v10
	s_and_saveexec_b64 s[30:31], s[20:21]
; %bb.8120:                             ;   in Loop: Header=BB6_5404 Depth=2
	v_bfe_u32 v2, v10, 20, 1
	v_add_co_u32_e64 v2, s[20:21], v10, v2
	v_add_co_u32_e64 v14, s[20:21], -1, v2
; %bb.8121:                             ;   in Loop: Header=BB6_5404 Depth=2
	s_or_b64 exec, exec, s[30:31]
	v_add_u32_e32 v2, 0xffffff81, v19
	v_cndmask_b32_e32 v2, v2, v59, vcc
	v_lshrrev_b32_e32 v11, 23, v10
	v_add3_u32 v19, v41, v2, v11
	v_add_u32_e32 v15, 6, v19
	v_and_b32_e32 v2, 0xfffff, v14
	v_add_u32_e32 v2, v2, v10
	v_cmp_ne_u32_e32 vcc, 0, v15
                                        ; implicit-def: $vgpr10_vgpr11
                                        ; implicit-def: $vgpr14
	s_and_saveexec_b64 s[20:21], vcc
	s_xor_b64 s[20:21], exec, s[20:21]
; %bb.8122:                             ;   in Loop: Header=BB6_5404 Depth=2
	v_cmp_lt_u64_e32 vcc, s[74:75], v[2:3]
	v_add_u32_e32 v10, 7, v19
	v_cndmask_b32_e32 v14, v15, v10, vcc
	v_cndmask_b32_e64 v10, 0, 1, vcc
	v_lshrrev_b64 v[10:11], v10, v[2:3]
; %bb.8123:                             ;   in Loop: Header=BB6_5404 Depth=2
	s_andn2_saveexec_b64 s[20:21], s[20:21]
; %bb.8124:                             ;   in Loop: Header=BB6_5404 Depth=2
	v_mov_b32_e32 v11, v3
	v_bfe_u32 v14, v2, 23, 1
	v_mov_b32_e32 v10, v2
; %bb.8125:                             ;   in Loop: Header=BB6_5404 Depth=2
	s_or_b64 exec, exec, s[20:21]
	v_lshrrev_b64 v[10:11], 20, v[10:11]
	v_cmp_gt_i32_e32 vcc, 16, v14
	v_cndmask_b32_e32 v11, 0, v11, vcc
	v_cndmask_b32_e32 v10, 7, v10, vcc
	v_min_i32_e32 v2, 15, v14
	v_cmp_eq_u64_e64 s[20:21], 0, v[10:11]
	v_lshlrev_b32_e32 v2, 3, v2
	v_cmp_eq_u32_e32 vcc, 0, v14
	v_and_b32_e32 v2, 0xf8, v2
	v_and_or_b32 v2, v10, 7, v2
	s_and_b64 s[20:21], vcc, s[20:21]
	v_cndmask_b32_e64 v2, v2, 0, s[20:21]
	v_or_b32_e32 v19, v2, v40
.LBB6_8126:                             ;   in Loop: Header=BB6_5404 Depth=2
	s_or_b64 exec, exec, s[94:95]
                                        ; implicit-def: $vgpr40
.LBB6_8127:                             ;   in Loop: Header=BB6_5404 Depth=2
	s_andn2_saveexec_b64 s[20:21], s[92:93]
; %bb.8128:                             ;   in Loop: Header=BB6_5404 Depth=2
	v_or_b32_e32 v19, 0x7e, v40
; %bb.8129:                             ;   in Loop: Header=BB6_5404 Depth=2
	s_or_b64 exec, exec, s[20:21]
                                        ; implicit-def: $vgpr15
.LBB6_8130:                             ;   in Loop: Header=BB6_5404 Depth=2
	s_andn2_saveexec_b64 s[20:21], s[90:91]
; %bb.8131:                             ;   in Loop: Header=BB6_5404 Depth=2
	v_or_b32_sdwa v19, v15, s51 dst_sel:DWORD dst_unused:UNUSED_PAD src0_sel:BYTE_3 src1_sel:DWORD
; %bb.8132:                             ;   in Loop: Header=BB6_5404 Depth=2
	s_or_b64 exec, exec, s[20:21]
	v_lshrrev_b32_e32 v10, 16, v17
	v_lshrrev_b32_e32 v2, 16, v13
	v_cmp_ne_u16_sdwa s[20:21], v10, v3 src0_sel:BYTE_0 src1_sel:DWORD
	s_and_b64 vcc, exec, s[18:19]
	s_mov_b64 s[90:91], -1
                                        ; implicit-def: $vgpr11
	s_cbranch_vccnz .LBB6_8146
; %bb.8133:                             ;   in Loop: Header=BB6_5404 Depth=2
	v_mov_b32_e32 v14, 0
	v_mov_b32_e32 v11, 0
	s_and_saveexec_b64 s[90:91], s[20:21]
	s_cbranch_execz .LBB6_8139
; %bb.8134:                             ;   in Loop: Header=BB6_5404 Depth=2
	v_cmp_ne_u16_sdwa s[94:95], v10, s49 src0_sel:BYTE_0 src1_sel:DWORD
	v_bfrev_b32_e32 v11, 1
	s_and_saveexec_b64 s[92:93], s[94:95]
	s_cbranch_execz .LBB6_8138
; %bb.8135:                             ;   in Loop: Header=BB6_5404 Depth=2
	v_bfe_u32 v15, v17, 16, 7
	v_cmp_ne_u32_e32 vcc, s51, v15
	v_mov_b32_e32 v11, 0x7f800001
	s_and_saveexec_b64 s[94:95], vcc
	s_cbranch_execz .LBB6_8137
; %bb.8136:                             ;   in Loop: Header=BB6_5404 Depth=2
	v_and_b32_e32 v11, 7, v10
	v_lshrrev_b32_e32 v40, 3, v15
	v_cmp_gt_u32_e32 vcc, 8, v15
	v_ffbh_u32_e32 v15, v11
	v_min_u32_e32 v15, 32, v15
	v_subrev_u32_e32 v36, 28, v15
	v_lshlrev_b64 v[36:37], v36, v[10:11]
	v_sub_u32_e32 v15, 29, v15
	v_and_b32_e32 v36, 7, v36
	v_cndmask_b32_e32 v15, v40, v15, vcc
	v_cndmask_b32_e32 v11, v11, v36, vcc
	v_lshlrev_b32_e32 v36, 24, v10
	v_lshlrev_b32_e32 v11, 20, v11
	v_and_b32_e32 v36, 0x80000000, v36
	v_lshl_add_u32 v15, v15, 23, v5
	v_or3_b32 v11, v36, v15, v11
.LBB6_8137:                             ;   in Loop: Header=BB6_5404 Depth=2
	s_or_b64 exec, exec, s[94:95]
.LBB6_8138:                             ;   in Loop: Header=BB6_5404 Depth=2
	s_or_b64 exec, exec, s[92:93]
.LBB6_8139:                             ;   in Loop: Header=BB6_5404 Depth=2
	s_or_b64 exec, exec, s[90:91]
	v_cmp_ne_u16_sdwa s[92:93], v2, v3 src0_sel:BYTE_0 src1_sel:DWORD
	s_and_saveexec_b64 s[90:91], s[92:93]
	s_cbranch_execz .LBB6_8145
; %bb.8140:                             ;   in Loop: Header=BB6_5404 Depth=2
	v_cmp_ne_u16_sdwa s[94:95], v2, s49 src0_sel:BYTE_0 src1_sel:DWORD
	v_bfrev_b32_e32 v14, 1
	s_and_saveexec_b64 s[92:93], s[94:95]
	s_cbranch_execz .LBB6_8144
; %bb.8141:                             ;   in Loop: Header=BB6_5404 Depth=2
	v_bfe_u32 v15, v13, 16, 7
	v_cmp_ne_u32_e32 vcc, s51, v15
	v_mov_b32_e32 v14, 0x7f800001
	s_and_saveexec_b64 s[94:95], vcc
	s_cbranch_execz .LBB6_8143
; %bb.8142:                             ;   in Loop: Header=BB6_5404 Depth=2
	v_and_b32_e32 v36, 7, v2
	v_ffbh_u32_e32 v14, v36
	v_min_u32_e32 v40, 32, v14
	v_subrev_u32_e32 v14, 28, v40
	v_lshrrev_b32_e32 v37, 3, v15
	v_cmp_gt_u32_e32 vcc, 8, v15
	v_lshlrev_b64 v[14:15], v14, v[2:3]
	v_sub_u32_e32 v15, 29, v40
	v_and_b32_e32 v14, 7, v14
	v_cndmask_b32_e32 v15, v37, v15, vcc
	v_cndmask_b32_e32 v14, v36, v14, vcc
	v_lshlrev_b32_e32 v36, 24, v2
	v_lshlrev_b32_e32 v14, 20, v14
	v_and_b32_e32 v36, 0x80000000, v36
	v_lshl_add_u32 v15, v15, 23, v5
	v_or3_b32 v14, v36, v15, v14
.LBB6_8143:                             ;   in Loop: Header=BB6_5404 Depth=2
	s_or_b64 exec, exec, s[94:95]
.LBB6_8144:                             ;   in Loop: Header=BB6_5404 Depth=2
	s_or_b64 exec, exec, s[92:93]
.LBB6_8145:                             ;   in Loop: Header=BB6_5404 Depth=2
	s_or_b64 exec, exec, s[90:91]
	v_max_f32_e32 v14, v14, v14
	v_max_f32_e32 v11, v11, v11
	;; [unrolled: 1-line block ×3, first 2 shown]
	s_mov_b64 s[90:91], 0
.LBB6_8146:                             ;   in Loop: Header=BB6_5404 Depth=2
	s_and_b64 vcc, exec, s[90:91]
	s_cbranch_vccz .LBB6_8160
; %bb.8147:                             ;   in Loop: Header=BB6_5404 Depth=2
	v_mov_b32_e32 v14, 0
	v_mov_b32_e32 v11, 0
	s_and_saveexec_b64 s[90:91], s[20:21]
	s_cbranch_execz .LBB6_8153
; %bb.8148:                             ;   in Loop: Header=BB6_5404 Depth=2
	v_cmp_ne_u16_sdwa s[92:93], v10, s49 src0_sel:BYTE_0 src1_sel:DWORD
	v_bfrev_b32_e32 v11, 1
	s_and_saveexec_b64 s[20:21], s[92:93]
	s_cbranch_execz .LBB6_8152
; %bb.8149:                             ;   in Loop: Header=BB6_5404 Depth=2
	v_bfe_u32 v15, v17, 16, 7
	v_cmp_ne_u32_e32 vcc, s51, v15
	v_mov_b32_e32 v11, 0x7f800001
	s_and_saveexec_b64 s[92:93], vcc
	s_cbranch_execz .LBB6_8151
; %bb.8150:                             ;   in Loop: Header=BB6_5404 Depth=2
	v_and_b32_e32 v11, 7, v10
	v_lshrrev_b32_e32 v40, 3, v15
	v_cmp_gt_u32_e32 vcc, 8, v15
	v_ffbh_u32_e32 v15, v11
	v_min_u32_e32 v15, 32, v15
	v_subrev_u32_e32 v36, 28, v15
	v_lshlrev_b64 v[36:37], v36, v[10:11]
	v_sub_u32_e32 v15, 29, v15
	v_and_b32_e32 v36, 7, v36
	v_cndmask_b32_e32 v15, v40, v15, vcc
	v_cndmask_b32_e32 v11, v11, v36, vcc
	v_lshlrev_b32_e32 v10, 24, v10
	v_lshlrev_b32_e32 v11, 20, v11
	v_and_b32_e32 v10, 0x80000000, v10
	v_lshl_add_u32 v15, v15, 23, v5
	v_or3_b32 v11, v10, v15, v11
.LBB6_8151:                             ;   in Loop: Header=BB6_5404 Depth=2
	s_or_b64 exec, exec, s[92:93]
.LBB6_8152:                             ;   in Loop: Header=BB6_5404 Depth=2
	s_or_b64 exec, exec, s[20:21]
.LBB6_8153:                             ;   in Loop: Header=BB6_5404 Depth=2
	s_or_b64 exec, exec, s[90:91]
	v_cmp_ne_u16_sdwa s[90:91], v2, v3 src0_sel:BYTE_0 src1_sel:DWORD
	s_and_saveexec_b64 s[20:21], s[90:91]
	s_cbranch_execz .LBB6_8159
; %bb.8154:                             ;   in Loop: Header=BB6_5404 Depth=2
	v_cmp_ne_u16_sdwa s[92:93], v2, s49 src0_sel:BYTE_0 src1_sel:DWORD
	v_bfrev_b32_e32 v14, 1
	s_and_saveexec_b64 s[90:91], s[92:93]
	s_cbranch_execz .LBB6_8158
; %bb.8155:                             ;   in Loop: Header=BB6_5404 Depth=2
	v_bfe_u32 v10, v13, 16, 7
	v_cmp_ne_u32_e32 vcc, s51, v10
	v_mov_b32_e32 v14, 0x7f800001
	s_and_saveexec_b64 s[92:93], vcc
	s_cbranch_execz .LBB6_8157
; %bb.8156:                             ;   in Loop: Header=BB6_5404 Depth=2
	v_and_b32_e32 v36, 7, v2
	v_lshrrev_b32_e32 v37, 3, v10
	v_cmp_gt_u32_e32 vcc, 8, v10
	v_ffbh_u32_e32 v10, v36
	v_min_u32_e32 v10, 32, v10
	v_subrev_u32_e32 v14, 28, v10
	v_lshlrev_b64 v[14:15], v14, v[2:3]
	v_sub_u32_e32 v10, 29, v10
	v_and_b32_e32 v14, 7, v14
	v_cndmask_b32_e32 v10, v37, v10, vcc
	v_cndmask_b32_e32 v14, v36, v14, vcc
	v_lshlrev_b32_e32 v2, 24, v2
	v_lshlrev_b32_e32 v14, 20, v14
	v_and_b32_e32 v2, 0x80000000, v2
	v_lshl_add_u32 v10, v10, 23, v5
	v_or3_b32 v14, v2, v10, v14
.LBB6_8157:                             ;   in Loop: Header=BB6_5404 Depth=2
	s_or_b64 exec, exec, s[92:93]
.LBB6_8158:                             ;   in Loop: Header=BB6_5404 Depth=2
	s_or_b64 exec, exec, s[90:91]
.LBB6_8159:                             ;   in Loop: Header=BB6_5404 Depth=2
	s_or_b64 exec, exec, s[20:21]
	v_max_f32_e32 v2, v14, v14
	v_max_f32_e32 v10, v11, v11
	v_min_f32_e32 v11, v10, v2
.LBB6_8160:                             ;   in Loop: Header=BB6_5404 Depth=2
	v_and_b32_e32 v2, 0x7f800000, v11
	v_cmp_ne_u64_e32 vcc, s[62:63], v[2:3]
                                        ; implicit-def: $vgpr14
	s_and_saveexec_b64 s[20:21], vcc
	s_xor_b64 s[90:91], exec, s[20:21]
	s_cbranch_execz .LBB6_8174
; %bb.8161:                             ;   in Loop: Header=BB6_5404 Depth=2
	v_and_b32_e32 v2, 0x7fffffff, v11
	v_cmp_gt_u64_e32 vcc, s[72:73], v[2:3]
	v_and_b32_sdwa v40, v11, s49 dst_sel:DWORD dst_unused:UNUSED_PAD src0_sel:BYTE_3 src1_sel:DWORD
                                        ; implicit-def: $vgpr14
	s_and_saveexec_b64 s[20:21], vcc
	s_xor_b64 s[92:93], exec, s[20:21]
	s_cbranch_execz .LBB6_8171
; %bb.8162:                             ;   in Loop: Header=BB6_5404 Depth=2
	v_mov_b32_e32 v14, 0
	v_cmp_ne_u32_e32 vcc, 0, v11
	s_and_saveexec_b64 s[94:95], vcc
	s_cbranch_execz .LBB6_8170
; %bb.8163:                             ;   in Loop: Header=BB6_5404 Depth=2
	v_bfe_u32 v41, v11, 23, 8
	v_cmp_gt_u32_e64 s[20:21], s53, v41
	v_sub_u32_e32 v10, 0x79, v41
	v_cmp_eq_u32_e32 vcc, 0, v41
	v_cndmask_b32_e64 v10, 0, v10, s[20:21]
	v_mov_b32_e32 v14, 0x78
	v_and_b32_e32 v2, 0x7fffff, v11
	v_cndmask_b32_e32 v59, v10, v14, vcc
	v_or_b32_e32 v11, 0x800000, v2
	v_add_u32_e32 v10, 20, v59
	v_cndmask_b32_e32 v2, v11, v2, vcc
	v_lshlrev_b64 v[10:11], v10, -1
	v_add_u32_e32 v14, 19, v59
	v_lshlrev_b64 v[14:15], v14, 1
	v_bfi_b32 v11, v11, 0, 0
	v_bfi_b32 v10, v10, 0, v2
	v_cmp_eq_u64_e64 s[20:21], v[10:11], v[14:15]
	v_lshrrev_b64 v[10:11], v59, v[2:3]
	v_mov_b32_e32 v36, 0xffffff82
	v_mov_b32_e32 v15, v11
	;; [unrolled: 1-line block ×3, first 2 shown]
	s_and_saveexec_b64 s[30:31], s[20:21]
; %bb.8164:                             ;   in Loop: Header=BB6_5404 Depth=2
	v_bfe_u32 v2, v10, 20, 1
	v_add_co_u32_e64 v2, s[20:21], v10, v2
	v_add_co_u32_e64 v14, s[20:21], -1, v2
; %bb.8165:                             ;   in Loop: Header=BB6_5404 Depth=2
	s_or_b64 exec, exec, s[30:31]
	v_add_u32_e32 v2, 0xffffff81, v41
	v_cndmask_b32_e32 v2, v2, v36, vcc
	v_lshrrev_b32_e32 v11, 23, v10
	v_add3_u32 v41, v59, v2, v11
	v_add_u32_e32 v15, 6, v41
	v_and_b32_e32 v2, 0xfffff, v14
	v_add_u32_e32 v2, v2, v10
	v_cmp_ne_u32_e32 vcc, 0, v15
                                        ; implicit-def: $vgpr10_vgpr11
                                        ; implicit-def: $vgpr14
	s_and_saveexec_b64 s[20:21], vcc
	s_xor_b64 s[20:21], exec, s[20:21]
; %bb.8166:                             ;   in Loop: Header=BB6_5404 Depth=2
	v_cmp_lt_u64_e32 vcc, s[74:75], v[2:3]
	v_add_u32_e32 v10, 7, v41
	v_cndmask_b32_e32 v14, v15, v10, vcc
	v_cndmask_b32_e64 v10, 0, 1, vcc
	v_lshrrev_b64 v[10:11], v10, v[2:3]
; %bb.8167:                             ;   in Loop: Header=BB6_5404 Depth=2
	s_andn2_saveexec_b64 s[20:21], s[20:21]
; %bb.8168:                             ;   in Loop: Header=BB6_5404 Depth=2
	v_mov_b32_e32 v11, v3
	v_bfe_u32 v14, v2, 23, 1
	v_mov_b32_e32 v10, v2
; %bb.8169:                             ;   in Loop: Header=BB6_5404 Depth=2
	s_or_b64 exec, exec, s[20:21]
	v_lshrrev_b64 v[10:11], 20, v[10:11]
	v_cmp_gt_i32_e32 vcc, 16, v14
	v_cndmask_b32_e32 v11, 0, v11, vcc
	v_cndmask_b32_e32 v10, 7, v10, vcc
	v_min_i32_e32 v2, 15, v14
	v_cmp_eq_u64_e64 s[20:21], 0, v[10:11]
	v_lshlrev_b32_e32 v2, 3, v2
	v_cmp_eq_u32_e32 vcc, 0, v14
	v_and_b32_e32 v2, 0xf8, v2
	v_and_or_b32 v2, v10, 7, v2
	s_and_b64 s[20:21], vcc, s[20:21]
	v_cndmask_b32_e64 v2, v2, 0, s[20:21]
	v_or_b32_e32 v14, v2, v40
	v_mov_b32_e32 v59, 0xffffff82
.LBB6_8170:                             ;   in Loop: Header=BB6_5404 Depth=2
	s_or_b64 exec, exec, s[94:95]
                                        ; implicit-def: $vgpr40
.LBB6_8171:                             ;   in Loop: Header=BB6_5404 Depth=2
	s_andn2_saveexec_b64 s[20:21], s[92:93]
; %bb.8172:                             ;   in Loop: Header=BB6_5404 Depth=2
	v_or_b32_e32 v14, 0x7e, v40
; %bb.8173:                             ;   in Loop: Header=BB6_5404 Depth=2
	s_or_b64 exec, exec, s[20:21]
                                        ; implicit-def: $vgpr11
.LBB6_8174:                             ;   in Loop: Header=BB6_5404 Depth=2
	s_andn2_saveexec_b64 s[20:21], s[90:91]
; %bb.8175:                             ;   in Loop: Header=BB6_5404 Depth=2
	v_or_b32_sdwa v14, v11, s51 dst_sel:DWORD dst_unused:UNUSED_PAD src0_sel:BYTE_3 src1_sel:DWORD
; %bb.8176:                             ;   in Loop: Header=BB6_5404 Depth=2
	s_or_b64 exec, exec, s[20:21]
	v_cmp_lt_u64_e64 s[20:21], s[76:77], v[16:17]
	v_lshrrev_b32_e32 v10, 24, v17
	v_lshrrev_b32_e32 v2, 24, v13
	s_and_b64 vcc, exec, s[18:19]
	s_mov_b64 s[18:19], -1
                                        ; implicit-def: $vgpr11
	s_cbranch_vccnz .LBB6_8190
; %bb.8177:                             ;   in Loop: Header=BB6_5404 Depth=2
	v_mov_b32_e32 v15, 0
	v_mov_b32_e32 v11, 0
	s_and_saveexec_b64 s[18:19], s[20:21]
	s_cbranch_execz .LBB6_8183
; %bb.8178:                             ;   in Loop: Header=BB6_5404 Depth=2
	v_cmp_ne_u32_e32 vcc, s49, v10
	v_bfrev_b32_e32 v11, 1
	s_and_saveexec_b64 s[90:91], vcc
	s_cbranch_execz .LBB6_8182
; %bb.8179:                             ;   in Loop: Header=BB6_5404 Depth=2
	v_bfe_u32 v16, v17, 24, 7
	v_cmp_ne_u32_e32 vcc, s51, v16
	v_mov_b32_e32 v11, 0x7f800001
	s_and_saveexec_b64 s[92:93], vcc
	s_cbranch_execz .LBB6_8181
; %bb.8180:                             ;   in Loop: Header=BB6_5404 Depth=2
	v_and_b32_e32 v11, 7, v10
	v_lshrrev_b32_e32 v40, 3, v16
	v_cmp_gt_u32_e32 vcc, 8, v16
	v_ffbh_u32_e32 v16, v11
	v_min_u32_e32 v16, 32, v16
	v_subrev_u32_e32 v36, 28, v16
	v_lshlrev_b64 v[36:37], v36, v[10:11]
	v_sub_u32_e32 v16, 29, v16
	v_and_b32_e32 v36, 7, v36
	v_cndmask_b32_e32 v16, v40, v16, vcc
	v_cndmask_b32_e32 v11, v11, v36, vcc
	v_lshlrev_b32_e32 v36, 24, v10
	v_lshlrev_b32_e32 v11, 20, v11
	v_and_b32_e32 v36, 0x80000000, v36
	v_lshl_add_u32 v16, v16, 23, v5
	v_or3_b32 v11, v36, v16, v11
.LBB6_8181:                             ;   in Loop: Header=BB6_5404 Depth=2
	s_or_b64 exec, exec, s[92:93]
.LBB6_8182:                             ;   in Loop: Header=BB6_5404 Depth=2
	s_or_b64 exec, exec, s[90:91]
.LBB6_8183:                             ;   in Loop: Header=BB6_5404 Depth=2
	s_or_b64 exec, exec, s[18:19]
	v_cmp_lt_u64_e32 vcc, s[76:77], v[12:13]
	s_and_saveexec_b64 s[18:19], vcc
	s_cbranch_execz .LBB6_8189
; %bb.8184:                             ;   in Loop: Header=BB6_5404 Depth=2
	v_cmp_ne_u32_e32 vcc, s49, v2
	v_bfrev_b32_e32 v15, 1
	s_and_saveexec_b64 s[90:91], vcc
	s_cbranch_execz .LBB6_8188
; %bb.8185:                             ;   in Loop: Header=BB6_5404 Depth=2
	v_bfe_u32 v16, v13, 24, 7
	v_cmp_ne_u32_e32 vcc, s51, v16
	v_mov_b32_e32 v15, 0x7f800001
	s_and_saveexec_b64 s[92:93], vcc
	s_cbranch_execz .LBB6_8187
; %bb.8186:                             ;   in Loop: Header=BB6_5404 Depth=2
	v_and_b32_e32 v36, 7, v2
	v_ffbh_u32_e32 v15, v36
	v_min_u32_e32 v40, 32, v15
	v_subrev_u32_e32 v15, 28, v40
	v_lshrrev_b32_e32 v37, 3, v16
	v_cmp_gt_u32_e32 vcc, 8, v16
	v_lshlrev_b64 v[15:16], v15, v[2:3]
	v_sub_u32_e32 v16, 29, v40
	v_and_b32_e32 v15, 7, v15
	v_cndmask_b32_e32 v16, v37, v16, vcc
	v_cndmask_b32_e32 v15, v36, v15, vcc
	v_lshlrev_b32_e32 v36, 24, v2
	v_lshlrev_b32_e32 v15, 20, v15
	v_and_b32_e32 v36, 0x80000000, v36
	v_lshl_add_u32 v16, v16, 23, v5
	v_or3_b32 v15, v36, v16, v15
.LBB6_8187:                             ;   in Loop: Header=BB6_5404 Depth=2
	s_or_b64 exec, exec, s[92:93]
.LBB6_8188:                             ;   in Loop: Header=BB6_5404 Depth=2
	s_or_b64 exec, exec, s[90:91]
.LBB6_8189:                             ;   in Loop: Header=BB6_5404 Depth=2
	s_or_b64 exec, exec, s[18:19]
	v_max_f32_e32 v15, v15, v15
	v_max_f32_e32 v11, v11, v11
	;; [unrolled: 1-line block ×3, first 2 shown]
	s_mov_b64 s[18:19], 0
.LBB6_8190:                             ;   in Loop: Header=BB6_5404 Depth=2
	s_and_b64 vcc, exec, s[18:19]
	s_cbranch_vccz .LBB6_8204
; %bb.8191:                             ;   in Loop: Header=BB6_5404 Depth=2
	v_mov_b32_e32 v15, 0
	v_mov_b32_e32 v11, 0
	s_and_saveexec_b64 s[18:19], s[20:21]
	s_cbranch_execz .LBB6_8197
; %bb.8192:                             ;   in Loop: Header=BB6_5404 Depth=2
	v_cmp_ne_u32_e32 vcc, s49, v10
	v_bfrev_b32_e32 v11, 1
	s_and_saveexec_b64 s[20:21], vcc
	s_cbranch_execz .LBB6_8196
; %bb.8193:                             ;   in Loop: Header=BB6_5404 Depth=2
	v_bfe_u32 v16, v17, 24, 7
	v_cmp_ne_u32_e32 vcc, s51, v16
	v_mov_b32_e32 v11, 0x7f800001
	s_and_saveexec_b64 s[90:91], vcc
	s_cbranch_execz .LBB6_8195
; %bb.8194:                             ;   in Loop: Header=BB6_5404 Depth=2
	v_and_b32_e32 v11, 7, v10
	v_lshrrev_b32_e32 v36, 3, v16
	v_cmp_gt_u32_e32 vcc, 8, v16
	v_ffbh_u32_e32 v16, v11
	v_min_u32_e32 v37, 32, v16
	v_subrev_u32_e32 v16, 28, v37
	v_lshlrev_b64 v[16:17], v16, v[10:11]
	v_sub_u32_e32 v17, 29, v37
	v_and_b32_e32 v16, 7, v16
	v_cndmask_b32_e32 v17, v36, v17, vcc
	v_cndmask_b32_e32 v11, v11, v16, vcc
	v_lshlrev_b32_e32 v10, 24, v10
	v_lshlrev_b32_e32 v11, 20, v11
	v_and_b32_e32 v10, 0x80000000, v10
	v_lshl_add_u32 v16, v17, 23, v5
	v_or3_b32 v11, v10, v16, v11
.LBB6_8195:                             ;   in Loop: Header=BB6_5404 Depth=2
	s_or_b64 exec, exec, s[90:91]
.LBB6_8196:                             ;   in Loop: Header=BB6_5404 Depth=2
	s_or_b64 exec, exec, s[20:21]
.LBB6_8197:                             ;   in Loop: Header=BB6_5404 Depth=2
	s_or_b64 exec, exec, s[18:19]
	v_cmp_lt_u64_e32 vcc, s[76:77], v[12:13]
	s_and_saveexec_b64 s[18:19], vcc
	s_cbranch_execz .LBB6_8203
; %bb.8198:                             ;   in Loop: Header=BB6_5404 Depth=2
	v_cmp_ne_u32_e32 vcc, s49, v2
	v_bfrev_b32_e32 v15, 1
	s_and_saveexec_b64 s[20:21], vcc
	s_cbranch_execz .LBB6_8202
; %bb.8199:                             ;   in Loop: Header=BB6_5404 Depth=2
	v_bfe_u32 v10, v13, 24, 7
	v_cmp_ne_u32_e32 vcc, s51, v10
	v_mov_b32_e32 v15, 0x7f800001
	s_and_saveexec_b64 s[90:91], vcc
	s_cbranch_execz .LBB6_8201
; %bb.8200:                             ;   in Loop: Header=BB6_5404 Depth=2
	v_and_b32_e32 v15, 7, v2
	v_lshrrev_b32_e32 v16, 3, v10
	v_cmp_gt_u32_e32 vcc, 8, v10
	v_ffbh_u32_e32 v10, v15
	v_min_u32_e32 v10, 32, v10
	v_subrev_u32_e32 v12, 28, v10
	v_lshlrev_b64 v[12:13], v12, v[2:3]
	v_sub_u32_e32 v10, 29, v10
	v_and_b32_e32 v12, 7, v12
	v_cndmask_b32_e32 v10, v16, v10, vcc
	v_cndmask_b32_e32 v12, v15, v12, vcc
	v_lshlrev_b32_e32 v2, 24, v2
	v_lshlrev_b32_e32 v12, 20, v12
	v_and_b32_e32 v2, 0x80000000, v2
	v_lshl_add_u32 v10, v10, 23, v5
	v_or3_b32 v15, v2, v10, v12
.LBB6_8201:                             ;   in Loop: Header=BB6_5404 Depth=2
	s_or_b64 exec, exec, s[90:91]
.LBB6_8202:                             ;   in Loop: Header=BB6_5404 Depth=2
	s_or_b64 exec, exec, s[20:21]
.LBB6_8203:                             ;   in Loop: Header=BB6_5404 Depth=2
	s_or_b64 exec, exec, s[18:19]
	v_max_f32_e32 v2, v15, v15
	v_max_f32_e32 v10, v11, v11
	v_min_f32_e32 v11, v10, v2
.LBB6_8204:                             ;   in Loop: Header=BB6_5404 Depth=2
	v_and_b32_e32 v2, 0x7f800000, v11
	v_cmp_ne_u64_e32 vcc, s[62:63], v[2:3]
                                        ; implicit-def: $vgpr2
	s_and_saveexec_b64 s[18:19], vcc
	s_xor_b64 s[20:21], exec, s[18:19]
	s_cbranch_execz .LBB6_8218
; %bb.8205:                             ;   in Loop: Header=BB6_5404 Depth=2
	v_and_b32_e32 v2, 0x7fffffff, v11
	v_cmp_gt_u64_e32 vcc, s[72:73], v[2:3]
	v_and_b32_sdwa v13, v11, s49 dst_sel:DWORD dst_unused:UNUSED_PAD src0_sel:BYTE_3 src1_sel:DWORD
                                        ; implicit-def: $vgpr2
	s_and_saveexec_b64 s[18:19], vcc
	s_xor_b64 s[90:91], exec, s[18:19]
	s_cbranch_execz .LBB6_8215
; %bb.8206:                             ;   in Loop: Header=BB6_5404 Depth=2
	v_mov_b32_e32 v2, 0
	v_cmp_ne_u32_e32 vcc, 0, v11
	s_and_saveexec_b64 s[92:93], vcc
	s_cbranch_execz .LBB6_8214
; %bb.8207:                             ;   in Loop: Header=BB6_5404 Depth=2
	v_bfe_u32 v15, v11, 23, 8
	v_cmp_gt_u32_e64 s[18:19], s53, v15
	v_sub_u32_e32 v10, 0x79, v15
	v_cmp_eq_u32_e32 vcc, 0, v15
	v_cndmask_b32_e64 v10, 0, v10, s[18:19]
	v_mov_b32_e32 v12, 0x78
	v_and_b32_e32 v2, 0x7fffff, v11
	v_cndmask_b32_e32 v16, v10, v12, vcc
	v_or_b32_e32 v11, 0x800000, v2
	v_add_u32_e32 v10, 20, v16
	v_cndmask_b32_e32 v2, v11, v2, vcc
	v_lshlrev_b64 v[10:11], v10, -1
	v_add_u32_e32 v12, 19, v16
	v_lshlrev_b64 v[36:37], v12, 1
	v_bfi_b32 v11, v11, 0, 0
	v_bfi_b32 v10, v10, 0, v2
	v_cmp_eq_u64_e64 s[18:19], v[10:11], v[36:37]
	v_lshrrev_b64 v[10:11], v16, v[2:3]
	v_mov_b32_e32 v12, v11
	v_mov_b32_e32 v11, v10
	s_and_saveexec_b64 s[94:95], s[18:19]
; %bb.8208:                             ;   in Loop: Header=BB6_5404 Depth=2
	v_bfe_u32 v2, v10, 20, 1
	v_add_co_u32_e64 v2, s[18:19], v10, v2
	v_add_co_u32_e64 v11, s[18:19], -1, v2
; %bb.8209:                             ;   in Loop: Header=BB6_5404 Depth=2
	s_or_b64 exec, exec, s[94:95]
	v_add_u32_e32 v2, 0xffffff81, v15
	v_cndmask_b32_e32 v2, v2, v59, vcc
	v_lshrrev_b32_e32 v12, 23, v10
	v_add3_u32 v16, v16, v2, v12
	v_add_u32_e32 v15, 6, v16
	v_and_b32_e32 v2, 0xfffff, v11
	v_add_u32_e32 v2, v2, v10
	v_cmp_ne_u32_e32 vcc, 0, v15
                                        ; implicit-def: $vgpr10_vgpr11
                                        ; implicit-def: $vgpr12
	s_and_saveexec_b64 s[18:19], vcc
	s_xor_b64 s[18:19], exec, s[18:19]
; %bb.8210:                             ;   in Loop: Header=BB6_5404 Depth=2
	v_cmp_lt_u64_e32 vcc, s[74:75], v[2:3]
	v_add_u32_e32 v10, 7, v16
	v_cndmask_b32_e32 v12, v15, v10, vcc
	v_cndmask_b32_e64 v10, 0, 1, vcc
	v_lshrrev_b64 v[10:11], v10, v[2:3]
; %bb.8211:                             ;   in Loop: Header=BB6_5404 Depth=2
	s_andn2_saveexec_b64 s[18:19], s[18:19]
; %bb.8212:                             ;   in Loop: Header=BB6_5404 Depth=2
	v_mov_b32_e32 v11, v3
	v_bfe_u32 v12, v2, 23, 1
	v_mov_b32_e32 v10, v2
; %bb.8213:                             ;   in Loop: Header=BB6_5404 Depth=2
	s_or_b64 exec, exec, s[18:19]
	v_lshrrev_b64 v[10:11], 20, v[10:11]
	v_cmp_gt_i32_e32 vcc, 16, v12
	v_cndmask_b32_e32 v11, 0, v11, vcc
	v_cndmask_b32_e32 v10, 7, v10, vcc
	v_min_i32_e32 v2, 15, v12
	v_cmp_eq_u64_e64 s[18:19], 0, v[10:11]
	v_lshlrev_b32_e32 v2, 3, v2
	v_cmp_eq_u32_e32 vcc, 0, v12
	v_and_b32_e32 v2, 0xf8, v2
	v_and_or_b32 v2, v10, 7, v2
	s_and_b64 s[18:19], vcc, s[18:19]
	v_cndmask_b32_e64 v2, v2, 0, s[18:19]
	v_or_b32_e32 v2, v2, v13
.LBB6_8214:                             ;   in Loop: Header=BB6_5404 Depth=2
	s_or_b64 exec, exec, s[92:93]
                                        ; implicit-def: $vgpr13
.LBB6_8215:                             ;   in Loop: Header=BB6_5404 Depth=2
	s_andn2_saveexec_b64 s[18:19], s[90:91]
; %bb.8216:                             ;   in Loop: Header=BB6_5404 Depth=2
	v_or_b32_e32 v2, 0x7e, v13
; %bb.8217:                             ;   in Loop: Header=BB6_5404 Depth=2
	s_or_b64 exec, exec, s[18:19]
                                        ; implicit-def: $vgpr11
.LBB6_8218:                             ;   in Loop: Header=BB6_5404 Depth=2
	s_andn2_saveexec_b64 s[18:19], s[20:21]
	s_cbranch_execz .LBB6_5403
; %bb.8219:                             ;   in Loop: Header=BB6_5404 Depth=2
	v_or_b32_sdwa v2, v11, s51 dst_sel:DWORD dst_unused:UNUSED_PAD src0_sel:BYTE_3 src1_sel:DWORD
	s_branch .LBB6_5403
.LBB6_8220:                             ;   in Loop: Header=BB6_5329 Depth=1
	s_or_b64 exec, exec, s[24:25]
	buffer_load_dword v61, off, s[0:3], s33 offset:292 ; 4-byte Folded Reload
	buffer_load_dword v50, off, s[0:3], s33 offset:316 ; 4-byte Folded Reload
	buffer_load_dword v51, off, s[0:3], s33 offset:320 ; 4-byte Folded Reload
	buffer_load_dword v52, off, s[0:3], s33 offset:324 ; 4-byte Folded Reload
	buffer_load_dword v53, off, s[0:3], s33 offset:328 ; 4-byte Folded Reload
	v_mov_b32_e32 v54, 0x7f800001
.LBB6_8221:                             ;   in Loop: Header=BB6_5329 Depth=1
	s_or_b64 exec, exec, s[22:23]
	buffer_load_dword v1, off, s[0:3], s33 offset:268 ; 4-byte Folded Reload
	s_mov_b64 s[18:19], 0
	v_mov_b32_e32 v10, 0
                                        ; implicit-def: $vgpr6
                                        ; implicit-def: $vgpr2
	s_waitcnt vmcnt(0)
	v_and_b32_e32 v0, 0x3ffff000, v1
	v_cmp_ne_u32_e32 vcc, v1, v0
	s_and_saveexec_b64 s[90:91], vcc
	s_cbranch_execz .LBB6_8931
; %bb.8222:                             ;   in Loop: Header=BB6_5329 Depth=1
	buffer_load_dword v49, off, s[0:3], s33 offset:268 ; 4-byte Folded Reload
	buffer_load_dword v4, off, s[0:3], s33 offset:332 ; 4-byte Folded Reload
	v_lshlrev_b32_e32 v1, 6, v60
	s_waitcnt vmcnt(1)
	v_and_b32_e32 v2, 0xfff, v49
	s_waitcnt vmcnt(0)
	v_sub_u32_e32 v1, v4, v1
	v_ashrrev_i32_e32 v4, 31, v1
	v_lshrrev_b32_e32 v4, 26, v4
	v_add_u32_e32 v4, v1, v4
	v_ashrrev_i32_e32 v7, 6, v4
	v_and_b32_e32 v4, 0xffffffc0, v4
	v_sub_u32_e32 v4, v1, v4
	v_lshlrev_b32_e32 v1, 4, v4
	v_lshl_add_u32 v1, v7, 10, v1
	v_and_b32_e32 v6, 0x3ff, v49
	v_sub_u32_e32 v8, v2, v1
	v_bfe_u32 v2, v49, 10, 2
	v_cmp_lt_u32_e64 s[18:19], 15, v6
	v_addc_co_u32_e64 v2, vcc, 0, v2, s[18:19]
	v_sub_u32_e32 v7, v2, v7
	v_cmp_lt_i32_e32 vcc, 15, v8
	s_and_saveexec_b64 s[92:93], vcc
	s_cbranch_execz .LBB6_8930
; %bb.8223:                             ;   in Loop: Header=BB6_5329 Depth=1
	s_trap 2
	ds_read_b64 v[9:10], v0
	v_add_u32_e32 v2, v1, v0
	v_ashrrev_i32_e32 v11, 31, v2
	v_add_co_u32_e32 v0, vcc, v2, v52
	v_addc_co_u32_e32 v1, vcc, v11, v53, vcc
	s_waitcnt lgkmcnt(0)
	v_add_co_u32_e32 v18, vcc, v9, v2
	v_addc_co_u32_e32 v19, vcc, v10, v11, vcc
	v_add_co_u32_e32 v20, vcc, v2, v50
	s_bitcmp1_b32 s64, 0
	v_addc_co_u32_e32 v21, vcc, v11, v51, vcc
	s_mov_b64 s[94:95], 0
	s_cselect_b64 s[30:31], -1, 0
	v_lshlrev_b32_e32 v39, 10, v46
	v_bfrev_b32_e32 v48, 1
	s_branch .LBB6_8225
.LBB6_8224:                             ;   in Loop: Header=BB6_8225 Depth=2
	s_or_b64 exec, exec, s[20:21]
	v_lshl_or_b32 v10, v29, 8, v25
	v_lshlrev_b32_e32 v11, 16, v24
	v_lshlrev_b32_e32 v12, 24, v30
	v_or3_b32 v10, v10, v11, v12
	v_lshl_or_b32 v9, v26, 8, v9
	v_lshlrev_b32_e32 v11, 16, v27
	v_lshlrev_b32_e32 v12, 24, v28
	v_add_co_u32_e32 v0, vcc, v0, v39
	v_or3_b32 v9, v9, v11, v12
	v_lshl_or_b32 v11, v32, 8, v31
	v_lshlrev_b32_e32 v12, 16, v33
	v_lshlrev_b32_e32 v13, 24, v34
	v_addc_co_u32_e32 v1, vcc, 0, v1, vcc
	v_or3_b32 v11, v11, v12, v13
	v_lshlrev_b32_e32 v2, 24, v2
	v_lshlrev_b32_e32 v12, 16, v14
	v_lshl_or_b32 v13, v23, 8, v22
	v_add_co_u32_e32 v18, vcc, v18, v39
	v_or3_b32 v12, v13, v12, v2
	v_addc_co_u32_e32 v19, vcc, 0, v19, vcc
	global_store_dwordx4 v[20:21], v[9:12], off glc slc
	v_add_co_u32_e32 v20, vcc, v20, v39
	v_addc_co_u32_e32 v21, vcc, 0, v21, vcc
	v_sub_u32_e32 v8, v8, v39
	v_cmp_gt_i32_e32 vcc, 16, v8
	s_or_b64 s[94:95], vcc, s[94:95]
	v_sub_u32_e32 v7, v7, v46
	s_andn2_b64 exec, exec, s[94:95]
	s_cbranch_execz .LBB6_8929
.LBB6_8225:                             ;   Parent Loop BB6_5329 Depth=1
                                        ; =>  This Inner Loop Header: Depth=2
	global_load_dwordx4 v[10:13], v[0:1], off glc slc
	global_load_dwordx4 v[14:17], v[18:19], off glc slc
	s_mov_b64 s[24:25], -1
	s_waitcnt vmcnt(1)
	v_cmp_ne_u16_sdwa s[22:23], v10, v3 src0_sel:BYTE_0 src1_sel:DWORD
	s_waitcnt vmcnt(0)
	v_and_b32_e32 v2, 7, v14
	v_ffbh_u32_e32 v2, v2
	v_and_b32_e32 v9, 0x7f, v14
	v_min_u32_e32 v2, 32, v2
	v_cmp_eq_u32_e64 s[20:21], s51, v9
	v_cmp_gt_u32_e32 vcc, 8, v9
	v_subrev_u32_e32 v9, 28, v2
	v_bfe_u32 v22, v14, 3, 4
	v_sub_u32_e32 v2, 29, v2
	v_cndmask_b32_e32 v9, 0, v9, vcc
	v_cndmask_b32_e32 v2, v22, v2, vcc
	v_lshlrev_b64 v[22:23], v9, v[14:15]
	v_lshl_add_u32 v2, v2, 23, v5
	v_lshlrev_b32_e32 v9, 20, v22
	v_lshlrev_b32_e32 v22, 24, v14
	v_and_b32_e32 v9, 0x700000, v9
	v_and_b32_e32 v22, 0x80000000, v22
	v_or3_b32 v2, v22, v2, v9
	s_and_b64 vcc, exec, s[30:31]
                                        ; implicit-def: $vgpr22
	s_cbranch_vccz .LBB6_8239
; %bb.8226:                             ;   in Loop: Header=BB6_8225 Depth=2
	v_mov_b32_e32 v9, 0
	s_and_saveexec_b64 s[24:25], s[22:23]
	s_cbranch_execz .LBB6_8232
; %bb.8227:                             ;   in Loop: Header=BB6_8225 Depth=2
	v_cmp_ne_u16_sdwa vcc, v10, s49 src0_sel:BYTE_0 src1_sel:DWORD
	v_bfrev_b32_e32 v9, 1
	s_and_saveexec_b64 s[26:27], vcc
	s_cbranch_execz .LBB6_8231
; %bb.8228:                             ;   in Loop: Header=BB6_8225 Depth=2
	v_and_b32_e32 v22, 0x7f, v10
	v_cmp_ne_u32_e32 vcc, s51, v22
	v_mov_b32_e32 v9, 0x7f800001
	s_and_saveexec_b64 s[34:35], vcc
	s_cbranch_execz .LBB6_8230
; %bb.8229:                             ;   in Loop: Header=BB6_8225 Depth=2
	v_and_b32_e32 v9, 7, v10
	v_ffbh_u32_e32 v9, v9
	v_min_u32_e32 v9, 32, v9
	v_lshrrev_b32_e32 v23, 3, v22
	v_cmp_gt_u32_e32 vcc, 8, v22
	v_subrev_u32_e32 v22, 28, v9
	v_sub_u32_e32 v9, 29, v9
	v_cndmask_b32_e32 v22, 0, v22, vcc
	v_cndmask_b32_e32 v9, v23, v9, vcc
	v_lshlrev_b64 v[22:23], v22, v[10:11]
	v_lshlrev_b32_e32 v23, 24, v10
	v_lshlrev_b32_e32 v22, 20, v22
	v_and_b32_e32 v22, 0x700000, v22
	v_and_b32_e32 v23, 0x80000000, v23
	v_lshl_add_u32 v9, v9, 23, v5
	v_or3_b32 v9, v23, v9, v22
.LBB6_8230:                             ;   in Loop: Header=BB6_8225 Depth=2
	s_or_b64 exec, exec, s[34:35]
.LBB6_8231:                             ;   in Loop: Header=BB6_8225 Depth=2
	s_or_b64 exec, exec, s[26:27]
.LBB6_8232:                             ;   in Loop: Header=BB6_8225 Depth=2
	s_or_b64 exec, exec, s[24:25]
	v_cmp_gt_i16_sdwa s[26:27], v14, s51 src0_sel:BYTE_0 src1_sel:DWORD
	s_mov_b64 s[24:25], 0
	s_and_saveexec_b64 vcc, s[26:27]
	s_xor_b64 s[26:27], exec, vcc
	s_cbranch_execz .LBB6_8881
; %bb.8233:                             ;   in Loop: Header=BB6_8225 Depth=2
	v_cmp_eq_u16_sdwa s[34:35], v14, s49 src0_sel:BYTE_0 src1_sel:DWORD
	s_mov_b64 s[24:25], -1
	s_and_saveexec_b64 vcc, s[34:35]
; %bb.8234:                             ;   in Loop: Header=BB6_8225 Depth=2
	s_xor_b64 s[24:25], exec, -1
; %bb.8235:                             ;   in Loop: Header=BB6_8225 Depth=2
	s_or_b64 exec, exec, vcc
	s_and_b64 s[24:25], s[24:25], exec
	s_or_saveexec_b64 s[26:27], s[26:27]
	v_bfrev_b32_e32 v22, 1
	s_xor_b64 exec, exec, s[26:27]
	s_cbranch_execnz .LBB6_8882
.LBB6_8236:                             ;   in Loop: Header=BB6_8225 Depth=2
	s_or_b64 exec, exec, s[26:27]
	s_and_saveexec_b64 s[26:27], s[24:25]
.LBB6_8237:                             ;   in Loop: Header=BB6_8225 Depth=2
	v_cndmask_b32_e64 v22, v2, v54, s[20:21]
.LBB6_8238:                             ;   in Loop: Header=BB6_8225 Depth=2
	s_or_b64 exec, exec, s[26:27]
	v_max_f32_e32 v22, v22, v22
	v_max_f32_e32 v9, v9, v9
	;; [unrolled: 1-line block ×3, first 2 shown]
	s_mov_b64 s[24:25], 0
.LBB6_8239:                             ;   in Loop: Header=BB6_8225 Depth=2
	s_and_b64 vcc, exec, s[24:25]
	s_cbranch_vccz .LBB6_8253
; %bb.8240:                             ;   in Loop: Header=BB6_8225 Depth=2
	v_mov_b32_e32 v9, 0
	s_and_saveexec_b64 s[24:25], s[22:23]
	s_cbranch_execz .LBB6_8246
; %bb.8241:                             ;   in Loop: Header=BB6_8225 Depth=2
	v_cmp_ne_u16_sdwa s[26:27], v10, s49 src0_sel:BYTE_0 src1_sel:DWORD
	v_bfrev_b32_e32 v9, 1
	s_and_saveexec_b64 s[22:23], s[26:27]
	s_cbranch_execz .LBB6_8245
; %bb.8242:                             ;   in Loop: Header=BB6_8225 Depth=2
	v_and_b32_e32 v22, 0x7f, v10
	v_cmp_ne_u32_e32 vcc, s51, v22
	v_mov_b32_e32 v9, 0x7f800001
	s_and_saveexec_b64 s[26:27], vcc
	s_cbranch_execz .LBB6_8244
; %bb.8243:                             ;   in Loop: Header=BB6_8225 Depth=2
	v_and_b32_e32 v9, 7, v10
	v_ffbh_u32_e32 v9, v9
	v_min_u32_e32 v9, 32, v9
	v_lshrrev_b32_e32 v23, 3, v22
	v_cmp_gt_u32_e32 vcc, 8, v22
	v_subrev_u32_e32 v22, 28, v9
	v_sub_u32_e32 v9, 29, v9
	v_cndmask_b32_e32 v22, 0, v22, vcc
	v_cndmask_b32_e32 v9, v23, v9, vcc
	v_lshlrev_b64 v[22:23], v22, v[10:11]
	v_lshlrev_b32_e32 v23, 24, v10
	v_lshlrev_b32_e32 v22, 20, v22
	v_and_b32_e32 v22, 0x700000, v22
	v_and_b32_e32 v23, 0x80000000, v23
	v_lshl_add_u32 v9, v9, 23, v5
	v_or3_b32 v9, v23, v9, v22
.LBB6_8244:                             ;   in Loop: Header=BB6_8225 Depth=2
	s_or_b64 exec, exec, s[26:27]
.LBB6_8245:                             ;   in Loop: Header=BB6_8225 Depth=2
	s_or_b64 exec, exec, s[22:23]
.LBB6_8246:                             ;   in Loop: Header=BB6_8225 Depth=2
	s_or_b64 exec, exec, s[24:25]
	v_cmp_gt_i16_sdwa s[24:25], v14, s51 src0_sel:BYTE_0 src1_sel:DWORD
	s_mov_b64 s[22:23], 0
	s_and_saveexec_b64 s[26:27], s[24:25]
	s_xor_b64 s[24:25], exec, s[26:27]
	s_cbranch_execz .LBB6_8883
; %bb.8247:                             ;   in Loop: Header=BB6_8225 Depth=2
	v_cmp_eq_u16_sdwa vcc, v14, s49 src0_sel:BYTE_0 src1_sel:DWORD
	s_mov_b64 s[22:23], -1
	s_and_saveexec_b64 s[26:27], vcc
; %bb.8248:                             ;   in Loop: Header=BB6_8225 Depth=2
	s_xor_b64 s[22:23], exec, -1
; %bb.8249:                             ;   in Loop: Header=BB6_8225 Depth=2
	s_or_b64 exec, exec, s[26:27]
	s_and_b64 s[22:23], s[22:23], exec
	s_or_saveexec_b64 s[24:25], s[24:25]
	v_bfrev_b32_e32 v22, 1
	s_xor_b64 exec, exec, s[24:25]
	s_cbranch_execnz .LBB6_8884
.LBB6_8250:                             ;   in Loop: Header=BB6_8225 Depth=2
	s_or_b64 exec, exec, s[24:25]
	s_and_saveexec_b64 s[24:25], s[22:23]
.LBB6_8251:                             ;   in Loop: Header=BB6_8225 Depth=2
	v_cndmask_b32_e64 v22, v2, v54, s[20:21]
.LBB6_8252:                             ;   in Loop: Header=BB6_8225 Depth=2
	s_or_b64 exec, exec, s[24:25]
	v_max_f32_e32 v2, v22, v22
	v_max_f32_e32 v9, v9, v9
	v_min_f32_e32 v22, v9, v2
.LBB6_8253:                             ;   in Loop: Header=BB6_8225 Depth=2
	v_and_b32_e32 v2, 0x7f800000, v22
	v_cmp_ne_u64_e32 vcc, s[62:63], v[2:3]
                                        ; implicit-def: $vgpr9
	s_and_saveexec_b64 s[20:21], vcc
	s_xor_b64 s[22:23], exec, s[20:21]
	s_cbranch_execz .LBB6_8267
; %bb.8254:                             ;   in Loop: Header=BB6_8225 Depth=2
	v_and_b32_e32 v2, 0x7fffffff, v22
	v_cmp_gt_u64_e32 vcc, s[72:73], v[2:3]
	v_and_b32_sdwa v25, v22, s49 dst_sel:DWORD dst_unused:UNUSED_PAD src0_sel:BYTE_3 src1_sel:DWORD
                                        ; implicit-def: $vgpr9
	s_and_saveexec_b64 s[20:21], vcc
	s_xor_b64 s[24:25], exec, s[20:21]
	s_cbranch_execz .LBB6_8264
; %bb.8255:                             ;   in Loop: Header=BB6_8225 Depth=2
	v_mov_b32_e32 v9, 0
	v_cmp_ne_u32_e32 vcc, 0, v22
	s_and_saveexec_b64 s[26:27], vcc
	s_cbranch_execz .LBB6_8263
; %bb.8256:                             ;   in Loop: Header=BB6_8225 Depth=2
	v_bfe_u32 v9, v22, 23, 8
	v_and_b32_e32 v2, 0x7fffff, v22
	v_cmp_gt_u32_e64 s[20:21], s53, v9
	v_sub_u32_e32 v22, 0x79, v9
	v_cmp_eq_u32_e32 vcc, 0, v9
	v_cndmask_b32_e64 v22, 0, v22, s[20:21]
	v_mov_b32_e32 v24, 0x78
	v_cndmask_b32_e32 v26, v22, v24, vcc
	v_or_b32_e32 v23, 0x800000, v2
	v_add_u32_e32 v22, 20, v26
	v_cndmask_b32_e32 v2, v23, v2, vcc
	v_lshlrev_b64 v[22:23], v22, -1
	v_add_u32_e32 v24, 19, v26
	v_lshlrev_b64 v[27:28], v24, 1
	v_bfi_b32 v23, v23, 0, 0
	v_bfi_b32 v22, v22, 0, v2
	v_cmp_eq_u64_e64 s[20:21], v[22:23], v[27:28]
	v_lshrrev_b64 v[22:23], v26, v[2:3]
	v_mov_b32_e32 v24, v23
	v_mov_b32_e32 v23, v22
	s_and_saveexec_b64 s[34:35], s[20:21]
; %bb.8257:                             ;   in Loop: Header=BB6_8225 Depth=2
	v_bfe_u32 v2, v22, 20, 1
	v_add_co_u32_e64 v2, s[20:21], v22, v2
	v_add_co_u32_e64 v23, s[20:21], -1, v2
; %bb.8258:                             ;   in Loop: Header=BB6_8225 Depth=2
	s_or_b64 exec, exec, s[34:35]
	v_add_u32_e32 v2, 0xffffff81, v9
	v_cndmask_b32_e32 v2, v2, v59, vcc
	v_lshrrev_b32_e32 v9, 23, v22
	v_add3_u32 v26, v26, v2, v9
	v_add_u32_e32 v24, 6, v26
	v_and_b32_e32 v2, 0xfffff, v23
	v_add_u32_e32 v2, v2, v22
	v_cmp_ne_u32_e32 vcc, 0, v24
                                        ; implicit-def: $vgpr22_vgpr23
                                        ; implicit-def: $vgpr9
	s_and_saveexec_b64 s[20:21], vcc
	s_xor_b64 s[20:21], exec, s[20:21]
; %bb.8259:                             ;   in Loop: Header=BB6_8225 Depth=2
	v_cmp_lt_u64_e32 vcc, s[74:75], v[2:3]
	v_add_u32_e32 v9, 7, v26
	v_cndmask_b32_e64 v22, 0, 1, vcc
	v_cndmask_b32_e32 v9, v24, v9, vcc
	v_lshrrev_b64 v[22:23], v22, v[2:3]
; %bb.8260:                             ;   in Loop: Header=BB6_8225 Depth=2
	s_andn2_saveexec_b64 s[20:21], s[20:21]
; %bb.8261:                             ;   in Loop: Header=BB6_8225 Depth=2
	v_mov_b32_e32 v23, v3
	v_bfe_u32 v9, v2, 23, 1
	v_mov_b32_e32 v22, v2
; %bb.8262:                             ;   in Loop: Header=BB6_8225 Depth=2
	s_or_b64 exec, exec, s[20:21]
	v_lshrrev_b64 v[22:23], 20, v[22:23]
	v_cmp_gt_i32_e32 vcc, 16, v9
	v_cndmask_b32_e32 v23, 0, v23, vcc
	v_cndmask_b32_e32 v22, 7, v22, vcc
	v_min_i32_e32 v2, 15, v9
	v_cmp_eq_u64_e64 s[20:21], 0, v[22:23]
	v_lshlrev_b32_e32 v2, 3, v2
	v_cmp_eq_u32_e32 vcc, 0, v9
	v_and_b32_e32 v2, 0xf8, v2
	v_and_or_b32 v2, v22, 7, v2
	s_and_b64 s[20:21], vcc, s[20:21]
	v_cndmask_b32_e64 v2, v2, 0, s[20:21]
	v_or_b32_e32 v9, v2, v25
.LBB6_8263:                             ;   in Loop: Header=BB6_8225 Depth=2
	s_or_b64 exec, exec, s[26:27]
                                        ; implicit-def: $vgpr25
.LBB6_8264:                             ;   in Loop: Header=BB6_8225 Depth=2
	s_andn2_saveexec_b64 s[20:21], s[24:25]
; %bb.8265:                             ;   in Loop: Header=BB6_8225 Depth=2
	v_or_b32_e32 v9, 0x7e, v25
; %bb.8266:                             ;   in Loop: Header=BB6_8225 Depth=2
	s_or_b64 exec, exec, s[20:21]
                                        ; implicit-def: $vgpr22
.LBB6_8267:                             ;   in Loop: Header=BB6_8225 Depth=2
	s_andn2_saveexec_b64 s[20:21], s[22:23]
; %bb.8268:                             ;   in Loop: Header=BB6_8225 Depth=2
	v_or_b32_sdwa v9, v22, s51 dst_sel:DWORD dst_unused:UNUSED_PAD src0_sel:BYTE_3 src1_sel:DWORD
; %bb.8269:                             ;   in Loop: Header=BB6_8225 Depth=2
	s_or_b64 exec, exec, s[20:21]
	v_lshrrev_b16_e32 v2, 8, v14
	v_and_b32_e32 v24, 7, v2
	v_and_b32_e32 v22, 0x7f, v2
	v_cmp_eq_u32_e64 s[20:21], s51, v22
	v_cmp_gt_u32_e32 vcc, 8, v22
	v_ffbh_u32_e32 v22, v24
	v_min_u32_e32 v26, 32, v22
	v_subrev_u32_e32 v22, 28, v26
	v_lshlrev_b64 v[22:23], v22, v[2:3]
	v_bfe_u32 v25, v2, 3, 4
	v_sub_u32_e32 v23, 29, v26
	v_and_b32_e32 v22, 7, v22
	v_cndmask_b32_e32 v23, v25, v23, vcc
	v_cndmask_b32_e32 v22, v24, v22, vcc
	v_lshlrev_b32_e32 v24, 24, v2
	v_lshlrev_b32_e32 v22, 20, v22
	v_and_b32_e32 v24, 0x80000000, v24
	v_lshl_add_u32 v23, v23, 23, v5
	v_or3_b32 v23, v24, v23, v22
	v_lshrrev_b16_e32 v22, 8, v10
	v_cmp_ne_u16_e64 s[22:23], 0, v22
	s_mov_b64 s[24:25], -1
	s_and_b64 vcc, exec, s[30:31]
                                        ; implicit-def: $vgpr24
	s_cbranch_vccz .LBB6_8283
; %bb.8270:                             ;   in Loop: Header=BB6_8225 Depth=2
	v_mov_b32_e32 v24, 0
	s_and_saveexec_b64 s[24:25], s[22:23]
	s_cbranch_execz .LBB6_8276
; %bb.8271:                             ;   in Loop: Header=BB6_8225 Depth=2
	v_cmp_ne_u16_e32 vcc, s49, v22
	v_bfrev_b32_e32 v24, 1
	s_and_saveexec_b64 s[26:27], vcc
	s_cbranch_execz .LBB6_8275
; %bb.8272:                             ;   in Loop: Header=BB6_8225 Depth=2
	v_and_b32_e32 v25, 0x7f, v22
	v_cmp_ne_u32_e32 vcc, s51, v25
	v_mov_b32_e32 v24, 0x7f800001
	s_and_saveexec_b64 s[34:35], vcc
	s_cbranch_execz .LBB6_8274
; %bb.8273:                             ;   in Loop: Header=BB6_8225 Depth=2
	v_and_b32_e32 v26, 7, v22
	v_ffbh_u32_e32 v24, v26
	v_min_u32_e32 v28, 32, v24
	v_subrev_u32_e32 v24, 28, v28
	v_lshrrev_b32_e32 v27, 3, v25
	v_cmp_gt_u32_e32 vcc, 8, v25
	v_lshlrev_b64 v[24:25], v24, v[22:23]
	v_sub_u32_e32 v25, 29, v28
	v_and_b32_e32 v24, 7, v24
	v_cndmask_b32_e32 v25, v27, v25, vcc
	v_cndmask_b32_e32 v24, v26, v24, vcc
	v_lshlrev_b32_e32 v26, 16, v10
	v_lshlrev_b32_e32 v24, 20, v24
	v_and_b32_e32 v26, 0x80000000, v26
	v_lshl_add_u32 v25, v25, 23, v5
	v_or3_b32 v24, v26, v25, v24
.LBB6_8274:                             ;   in Loop: Header=BB6_8225 Depth=2
	s_or_b64 exec, exec, s[34:35]
.LBB6_8275:                             ;   in Loop: Header=BB6_8225 Depth=2
	s_or_b64 exec, exec, s[26:27]
.LBB6_8276:                             ;   in Loop: Header=BB6_8225 Depth=2
	s_or_b64 exec, exec, s[24:25]
	v_cmp_lt_i16_e32 vcc, s51, v2
	s_mov_b64 s[24:25], 0
	s_and_saveexec_b64 s[26:27], vcc
	s_xor_b64 s[26:27], exec, s[26:27]
	s_cbranch_execz .LBB6_8885
; %bb.8277:                             ;   in Loop: Header=BB6_8225 Depth=2
	v_cmp_eq_u16_e32 vcc, s49, v2
	s_mov_b64 s[24:25], -1
	s_and_saveexec_b64 s[34:35], vcc
; %bb.8278:                             ;   in Loop: Header=BB6_8225 Depth=2
	s_xor_b64 s[24:25], exec, -1
; %bb.8279:                             ;   in Loop: Header=BB6_8225 Depth=2
	s_or_b64 exec, exec, s[34:35]
	s_and_b64 s[24:25], s[24:25], exec
	s_or_saveexec_b64 s[26:27], s[26:27]
	v_bfrev_b32_e32 v25, 1
	s_xor_b64 exec, exec, s[26:27]
	s_cbranch_execnz .LBB6_8886
.LBB6_8280:                             ;   in Loop: Header=BB6_8225 Depth=2
	s_or_b64 exec, exec, s[26:27]
	s_and_saveexec_b64 s[26:27], s[24:25]
.LBB6_8281:                             ;   in Loop: Header=BB6_8225 Depth=2
	v_cndmask_b32_e64 v25, v23, v54, s[20:21]
.LBB6_8282:                             ;   in Loop: Header=BB6_8225 Depth=2
	s_or_b64 exec, exec, s[26:27]
	v_max_f32_e32 v25, v25, v25
	v_max_f32_e32 v24, v24, v24
	;; [unrolled: 1-line block ×3, first 2 shown]
	s_mov_b64 s[24:25], 0
.LBB6_8283:                             ;   in Loop: Header=BB6_8225 Depth=2
	s_and_b64 vcc, exec, s[24:25]
	s_cbranch_vccz .LBB6_8297
; %bb.8284:                             ;   in Loop: Header=BB6_8225 Depth=2
	v_mov_b32_e32 v24, 0
	s_and_saveexec_b64 s[24:25], s[22:23]
	s_cbranch_execz .LBB6_8290
; %bb.8285:                             ;   in Loop: Header=BB6_8225 Depth=2
	v_cmp_ne_u16_e32 vcc, s49, v22
	v_bfrev_b32_e32 v24, 1
	s_and_saveexec_b64 s[22:23], vcc
	s_cbranch_execz .LBB6_8289
; %bb.8286:                             ;   in Loop: Header=BB6_8225 Depth=2
	v_and_b32_e32 v25, 0x7f, v22
	v_cmp_ne_u32_e32 vcc, s51, v25
	v_mov_b32_e32 v24, 0x7f800001
	s_and_saveexec_b64 s[26:27], vcc
	s_cbranch_execz .LBB6_8288
; %bb.8287:                             ;   in Loop: Header=BB6_8225 Depth=2
	v_and_b32_e32 v26, 7, v22
	v_ffbh_u32_e32 v24, v26
	v_min_u32_e32 v28, 32, v24
	v_subrev_u32_e32 v24, 28, v28
	v_lshrrev_b32_e32 v27, 3, v25
	v_cmp_gt_u32_e32 vcc, 8, v25
	v_lshlrev_b64 v[24:25], v24, v[22:23]
	v_sub_u32_e32 v22, 29, v28
	v_and_b32_e32 v24, 7, v24
	v_cndmask_b32_e32 v22, v27, v22, vcc
	v_cndmask_b32_e32 v24, v26, v24, vcc
	v_lshlrev_b32_e32 v25, 16, v10
	v_lshlrev_b32_e32 v24, 20, v24
	v_and_b32_e32 v25, 0x80000000, v25
	v_lshl_add_u32 v22, v22, 23, v5
	v_or3_b32 v24, v25, v22, v24
.LBB6_8288:                             ;   in Loop: Header=BB6_8225 Depth=2
	s_or_b64 exec, exec, s[26:27]
.LBB6_8289:                             ;   in Loop: Header=BB6_8225 Depth=2
	s_or_b64 exec, exec, s[22:23]
.LBB6_8290:                             ;   in Loop: Header=BB6_8225 Depth=2
	s_or_b64 exec, exec, s[24:25]
	v_cmp_lt_i16_e32 vcc, s51, v2
	s_mov_b64 s[22:23], 0
	s_and_saveexec_b64 s[24:25], vcc
	s_xor_b64 s[24:25], exec, s[24:25]
	s_cbranch_execz .LBB6_8887
; %bb.8291:                             ;   in Loop: Header=BB6_8225 Depth=2
	v_cmp_eq_u16_e32 vcc, s49, v2
	s_mov_b64 s[22:23], -1
	s_and_saveexec_b64 s[26:27], vcc
; %bb.8292:                             ;   in Loop: Header=BB6_8225 Depth=2
	s_xor_b64 s[22:23], exec, -1
; %bb.8293:                             ;   in Loop: Header=BB6_8225 Depth=2
	s_or_b64 exec, exec, s[26:27]
	s_and_b64 s[22:23], s[22:23], exec
	s_or_saveexec_b64 s[24:25], s[24:25]
	v_bfrev_b32_e32 v22, 1
	s_xor_b64 exec, exec, s[24:25]
	s_cbranch_execnz .LBB6_8888
.LBB6_8294:                             ;   in Loop: Header=BB6_8225 Depth=2
	s_or_b64 exec, exec, s[24:25]
	s_and_saveexec_b64 s[24:25], s[22:23]
.LBB6_8295:                             ;   in Loop: Header=BB6_8225 Depth=2
	v_cndmask_b32_e64 v22, v23, v54, s[20:21]
.LBB6_8296:                             ;   in Loop: Header=BB6_8225 Depth=2
	s_or_b64 exec, exec, s[24:25]
	v_max_f32_e32 v2, v22, v22
	v_max_f32_e32 v22, v24, v24
	v_min_f32_e32 v24, v22, v2
.LBB6_8297:                             ;   in Loop: Header=BB6_8225 Depth=2
	v_and_b32_e32 v2, 0x7f800000, v24
	v_cmp_ne_u64_e32 vcc, s[62:63], v[2:3]
                                        ; implicit-def: $vgpr26
	s_and_saveexec_b64 s[20:21], vcc
	s_xor_b64 s[22:23], exec, s[20:21]
	s_cbranch_execz .LBB6_8311
; %bb.8298:                             ;   in Loop: Header=BB6_8225 Depth=2
	v_and_b32_e32 v2, 0x7fffffff, v24
	v_cmp_gt_u64_e32 vcc, s[72:73], v[2:3]
	v_and_b32_sdwa v25, v24, s49 dst_sel:DWORD dst_unused:UNUSED_PAD src0_sel:BYTE_3 src1_sel:DWORD
                                        ; implicit-def: $vgpr26
	s_and_saveexec_b64 s[20:21], vcc
	s_xor_b64 s[24:25], exec, s[20:21]
	s_cbranch_execz .LBB6_8308
; %bb.8299:                             ;   in Loop: Header=BB6_8225 Depth=2
	v_mov_b32_e32 v26, 0
	v_cmp_ne_u32_e32 vcc, 0, v24
	s_and_saveexec_b64 s[26:27], vcc
	s_cbranch_execz .LBB6_8307
; %bb.8300:                             ;   in Loop: Header=BB6_8225 Depth=2
	v_bfe_u32 v26, v24, 23, 8
	v_cmp_gt_u32_e64 s[20:21], s53, v26
	v_sub_u32_e32 v22, 0x79, v26
	v_and_b32_e32 v2, 0x7fffff, v24
	v_cmp_eq_u32_e32 vcc, 0, v26
	v_cndmask_b32_e64 v22, 0, v22, s[20:21]
	v_mov_b32_e32 v24, 0x78
	v_cndmask_b32_e32 v27, v22, v24, vcc
	v_or_b32_e32 v23, 0x800000, v2
	v_add_u32_e32 v22, 20, v27
	v_cndmask_b32_e32 v2, v23, v2, vcc
	v_lshlrev_b64 v[22:23], v22, -1
	v_add_u32_e32 v24, 19, v27
	v_lshlrev_b64 v[28:29], v24, 1
	v_bfi_b32 v23, v23, 0, 0
	v_bfi_b32 v22, v22, 0, v2
	v_cmp_eq_u64_e64 s[20:21], v[22:23], v[28:29]
	v_lshrrev_b64 v[22:23], v27, v[2:3]
	v_mov_b32_e32 v24, v23
	v_mov_b32_e32 v23, v22
	s_and_saveexec_b64 s[34:35], s[20:21]
; %bb.8301:                             ;   in Loop: Header=BB6_8225 Depth=2
	v_bfe_u32 v2, v22, 20, 1
	v_add_co_u32_e64 v2, s[20:21], v22, v2
	v_add_co_u32_e64 v23, s[20:21], -1, v2
; %bb.8302:                             ;   in Loop: Header=BB6_8225 Depth=2
	s_or_b64 exec, exec, s[34:35]
	v_add_u32_e32 v2, 0xffffff81, v26
	v_cndmask_b32_e32 v2, v2, v59, vcc
	v_lshrrev_b32_e32 v24, 23, v22
	v_add3_u32 v27, v27, v2, v24
	v_add_u32_e32 v26, 6, v27
	v_and_b32_e32 v2, 0xfffff, v23
	v_add_u32_e32 v2, v2, v22
	v_cmp_ne_u32_e32 vcc, 0, v26
                                        ; implicit-def: $vgpr22_vgpr23
                                        ; implicit-def: $vgpr24
	s_and_saveexec_b64 s[20:21], vcc
	s_xor_b64 s[20:21], exec, s[20:21]
; %bb.8303:                             ;   in Loop: Header=BB6_8225 Depth=2
	v_cmp_lt_u64_e32 vcc, s[74:75], v[2:3]
	v_add_u32_e32 v22, 7, v27
	v_cndmask_b32_e32 v24, v26, v22, vcc
	v_cndmask_b32_e64 v22, 0, 1, vcc
	v_lshrrev_b64 v[22:23], v22, v[2:3]
; %bb.8304:                             ;   in Loop: Header=BB6_8225 Depth=2
	s_andn2_saveexec_b64 s[20:21], s[20:21]
; %bb.8305:                             ;   in Loop: Header=BB6_8225 Depth=2
	v_mov_b32_e32 v23, v3
	v_bfe_u32 v24, v2, 23, 1
	v_mov_b32_e32 v22, v2
; %bb.8306:                             ;   in Loop: Header=BB6_8225 Depth=2
	s_or_b64 exec, exec, s[20:21]
	v_lshrrev_b64 v[22:23], 20, v[22:23]
	v_cmp_gt_i32_e32 vcc, 16, v24
	v_cndmask_b32_e32 v23, 0, v23, vcc
	v_cndmask_b32_e32 v22, 7, v22, vcc
	v_min_i32_e32 v2, 15, v24
	v_cmp_eq_u64_e64 s[20:21], 0, v[22:23]
	v_lshlrev_b32_e32 v2, 3, v2
	v_cmp_eq_u32_e32 vcc, 0, v24
	v_and_b32_e32 v2, 0xf8, v2
	v_and_or_b32 v2, v22, 7, v2
	s_and_b64 s[20:21], vcc, s[20:21]
	v_cndmask_b32_e64 v2, v2, 0, s[20:21]
	v_or_b32_e32 v26, v2, v25
.LBB6_8307:                             ;   in Loop: Header=BB6_8225 Depth=2
	s_or_b64 exec, exec, s[26:27]
                                        ; implicit-def: $vgpr25
.LBB6_8308:                             ;   in Loop: Header=BB6_8225 Depth=2
	s_andn2_saveexec_b64 s[20:21], s[24:25]
; %bb.8309:                             ;   in Loop: Header=BB6_8225 Depth=2
	v_or_b32_e32 v26, 0x7e, v25
; %bb.8310:                             ;   in Loop: Header=BB6_8225 Depth=2
	s_or_b64 exec, exec, s[20:21]
                                        ; implicit-def: $vgpr24
.LBB6_8311:                             ;   in Loop: Header=BB6_8225 Depth=2
	s_andn2_saveexec_b64 s[20:21], s[22:23]
; %bb.8312:                             ;   in Loop: Header=BB6_8225 Depth=2
	v_or_b32_sdwa v26, v24, s51 dst_sel:DWORD dst_unused:UNUSED_PAD src0_sel:BYTE_3 src1_sel:DWORD
; %bb.8313:                             ;   in Loop: Header=BB6_8225 Depth=2
	s_or_b64 exec, exec, s[20:21]
	v_bfe_u32 v24, v14, 16, 3
	v_bfe_u32 v22, v14, 16, 7
	v_cmp_eq_u32_e64 s[20:21], s51, v22
	v_cmp_gt_u32_e32 vcc, 8, v22
	v_ffbh_u32_e32 v22, v24
	v_min_u32_e32 v27, 32, v22
	v_lshrrev_b32_e32 v2, 16, v14
	v_subrev_u32_e32 v22, 28, v27
	v_lshlrev_b64 v[22:23], v22, v[2:3]
	v_bfe_u32 v25, v2, 3, 4
	v_sub_u32_e32 v23, 29, v27
	v_and_b32_e32 v22, 7, v22
	v_cndmask_b32_e32 v23, v25, v23, vcc
	v_cndmask_b32_e32 v22, v24, v22, vcc
	v_lshlrev_b32_e32 v24, 8, v14
	v_lshlrev_b32_e32 v22, 20, v22
	v_and_b32_e32 v24, 0x80000000, v24
	v_lshl_add_u32 v23, v23, 23, v5
	v_or3_b32 v23, v24, v23, v22
	v_lshrrev_b32_e32 v22, 16, v10
	v_cmp_ne_u16_sdwa s[22:23], v22, v3 src0_sel:BYTE_0 src1_sel:DWORD
	s_mov_b64 s[24:25], -1
	s_and_b64 vcc, exec, s[30:31]
                                        ; implicit-def: $vgpr24
	s_cbranch_vccz .LBB6_8327
; %bb.8314:                             ;   in Loop: Header=BB6_8225 Depth=2
	v_mov_b32_e32 v24, 0
	s_and_saveexec_b64 s[24:25], s[22:23]
	s_cbranch_execz .LBB6_8320
; %bb.8315:                             ;   in Loop: Header=BB6_8225 Depth=2
	v_cmp_ne_u16_sdwa vcc, v22, s49 src0_sel:BYTE_0 src1_sel:DWORD
	v_bfrev_b32_e32 v24, 1
	s_and_saveexec_b64 s[26:27], vcc
	s_cbranch_execz .LBB6_8319
; %bb.8316:                             ;   in Loop: Header=BB6_8225 Depth=2
	v_bfe_u32 v25, v10, 16, 7
	v_cmp_ne_u32_e32 vcc, s51, v25
	v_mov_b32_e32 v24, 0x7f800001
	s_and_saveexec_b64 s[34:35], vcc
	s_cbranch_execz .LBB6_8318
; %bb.8317:                             ;   in Loop: Header=BB6_8225 Depth=2
	v_and_b32_e32 v27, 7, v22
	v_ffbh_u32_e32 v24, v27
	v_min_u32_e32 v29, 32, v24
	v_subrev_u32_e32 v24, 28, v29
	v_lshrrev_b32_e32 v28, 3, v25
	v_cmp_gt_u32_e32 vcc, 8, v25
	v_lshlrev_b64 v[24:25], v24, v[22:23]
	v_sub_u32_e32 v25, 29, v29
	v_and_b32_e32 v24, 7, v24
	v_cndmask_b32_e32 v25, v28, v25, vcc
	v_cndmask_b32_e32 v24, v27, v24, vcc
	v_lshlrev_b32_e32 v27, 24, v22
	v_lshlrev_b32_e32 v24, 20, v24
	v_and_b32_e32 v27, 0x80000000, v27
	v_lshl_add_u32 v25, v25, 23, v5
	v_or3_b32 v24, v27, v25, v24
.LBB6_8318:                             ;   in Loop: Header=BB6_8225 Depth=2
	s_or_b64 exec, exec, s[34:35]
.LBB6_8319:                             ;   in Loop: Header=BB6_8225 Depth=2
	s_or_b64 exec, exec, s[26:27]
.LBB6_8320:                             ;   in Loop: Header=BB6_8225 Depth=2
	s_or_b64 exec, exec, s[24:25]
	v_cmp_gt_i16_sdwa s[26:27], v2, s51 src0_sel:BYTE_0 src1_sel:DWORD
	s_mov_b64 s[24:25], 0
	s_and_saveexec_b64 vcc, s[26:27]
	s_xor_b64 s[26:27], exec, vcc
	s_cbranch_execz .LBB6_8889
; %bb.8321:                             ;   in Loop: Header=BB6_8225 Depth=2
	v_cmp_eq_u16_sdwa s[34:35], v2, s49 src0_sel:BYTE_0 src1_sel:DWORD
	s_mov_b64 s[24:25], -1
	s_and_saveexec_b64 vcc, s[34:35]
; %bb.8322:                             ;   in Loop: Header=BB6_8225 Depth=2
	s_xor_b64 s[24:25], exec, -1
; %bb.8323:                             ;   in Loop: Header=BB6_8225 Depth=2
	s_or_b64 exec, exec, vcc
	s_and_b64 s[24:25], s[24:25], exec
	s_or_saveexec_b64 s[26:27], s[26:27]
	v_bfrev_b32_e32 v25, 1
	s_xor_b64 exec, exec, s[26:27]
	s_cbranch_execnz .LBB6_8890
.LBB6_8324:                             ;   in Loop: Header=BB6_8225 Depth=2
	s_or_b64 exec, exec, s[26:27]
	s_and_saveexec_b64 s[26:27], s[24:25]
.LBB6_8325:                             ;   in Loop: Header=BB6_8225 Depth=2
	v_cndmask_b32_e64 v25, v23, v54, s[20:21]
.LBB6_8326:                             ;   in Loop: Header=BB6_8225 Depth=2
	s_or_b64 exec, exec, s[26:27]
	v_max_f32_e32 v25, v25, v25
	v_max_f32_e32 v24, v24, v24
	;; [unrolled: 1-line block ×3, first 2 shown]
	s_mov_b64 s[24:25], 0
.LBB6_8327:                             ;   in Loop: Header=BB6_8225 Depth=2
	s_and_b64 vcc, exec, s[24:25]
	s_cbranch_vccz .LBB6_8341
; %bb.8328:                             ;   in Loop: Header=BB6_8225 Depth=2
	v_mov_b32_e32 v24, 0
	s_and_saveexec_b64 s[24:25], s[22:23]
	s_cbranch_execz .LBB6_8334
; %bb.8329:                             ;   in Loop: Header=BB6_8225 Depth=2
	v_cmp_ne_u16_sdwa s[26:27], v22, s49 src0_sel:BYTE_0 src1_sel:DWORD
	v_bfrev_b32_e32 v24, 1
	s_and_saveexec_b64 s[22:23], s[26:27]
	s_cbranch_execz .LBB6_8333
; %bb.8330:                             ;   in Loop: Header=BB6_8225 Depth=2
	v_bfe_u32 v25, v10, 16, 7
	v_cmp_ne_u32_e32 vcc, s51, v25
	v_mov_b32_e32 v24, 0x7f800001
	s_and_saveexec_b64 s[26:27], vcc
	s_cbranch_execz .LBB6_8332
; %bb.8331:                             ;   in Loop: Header=BB6_8225 Depth=2
	v_and_b32_e32 v27, 7, v22
	v_ffbh_u32_e32 v24, v27
	v_min_u32_e32 v29, 32, v24
	v_subrev_u32_e32 v24, 28, v29
	v_lshrrev_b32_e32 v28, 3, v25
	v_cmp_gt_u32_e32 vcc, 8, v25
	v_lshlrev_b64 v[24:25], v24, v[22:23]
	v_sub_u32_e32 v25, 29, v29
	v_and_b32_e32 v24, 7, v24
	v_cndmask_b32_e32 v25, v28, v25, vcc
	v_cndmask_b32_e32 v24, v27, v24, vcc
	v_lshlrev_b32_e32 v22, 24, v22
	v_lshlrev_b32_e32 v24, 20, v24
	v_and_b32_e32 v22, 0x80000000, v22
	v_lshl_add_u32 v25, v25, 23, v5
	v_or3_b32 v24, v22, v25, v24
.LBB6_8332:                             ;   in Loop: Header=BB6_8225 Depth=2
	s_or_b64 exec, exec, s[26:27]
.LBB6_8333:                             ;   in Loop: Header=BB6_8225 Depth=2
	s_or_b64 exec, exec, s[22:23]
.LBB6_8334:                             ;   in Loop: Header=BB6_8225 Depth=2
	s_or_b64 exec, exec, s[24:25]
	v_cmp_gt_i16_sdwa s[24:25], v2, s51 src0_sel:BYTE_0 src1_sel:DWORD
	s_mov_b64 s[22:23], 0
	s_and_saveexec_b64 s[26:27], s[24:25]
	s_xor_b64 s[24:25], exec, s[26:27]
	s_cbranch_execz .LBB6_8891
; %bb.8335:                             ;   in Loop: Header=BB6_8225 Depth=2
	v_cmp_eq_u16_sdwa vcc, v2, s49 src0_sel:BYTE_0 src1_sel:DWORD
	s_mov_b64 s[22:23], -1
	s_and_saveexec_b64 s[26:27], vcc
; %bb.8336:                             ;   in Loop: Header=BB6_8225 Depth=2
	s_xor_b64 s[22:23], exec, -1
; %bb.8337:                             ;   in Loop: Header=BB6_8225 Depth=2
	s_or_b64 exec, exec, s[26:27]
	s_and_b64 s[22:23], s[22:23], exec
                                        ; implicit-def: $vgpr2
	s_or_saveexec_b64 s[24:25], s[24:25]
	v_bfrev_b32_e32 v22, 1
	s_xor_b64 exec, exec, s[24:25]
	s_cbranch_execnz .LBB6_8892
.LBB6_8338:                             ;   in Loop: Header=BB6_8225 Depth=2
	s_or_b64 exec, exec, s[24:25]
	s_and_saveexec_b64 s[24:25], s[22:23]
.LBB6_8339:                             ;   in Loop: Header=BB6_8225 Depth=2
	v_cndmask_b32_e64 v22, v23, v54, s[20:21]
.LBB6_8340:                             ;   in Loop: Header=BB6_8225 Depth=2
	s_or_b64 exec, exec, s[24:25]
	v_max_f32_e32 v2, v22, v22
	v_max_f32_e32 v22, v24, v24
	v_min_f32_e32 v24, v22, v2
.LBB6_8341:                             ;   in Loop: Header=BB6_8225 Depth=2
	v_and_b32_e32 v2, 0x7f800000, v24
	v_cmp_ne_u64_e32 vcc, s[62:63], v[2:3]
                                        ; implicit-def: $vgpr27
	s_and_saveexec_b64 s[20:21], vcc
	s_xor_b64 s[22:23], exec, s[20:21]
	s_cbranch_execz .LBB6_8355
; %bb.8342:                             ;   in Loop: Header=BB6_8225 Depth=2
	v_and_b32_e32 v2, 0x7fffffff, v24
	v_cmp_gt_u64_e32 vcc, s[72:73], v[2:3]
	v_and_b32_sdwa v25, v24, s49 dst_sel:DWORD dst_unused:UNUSED_PAD src0_sel:BYTE_3 src1_sel:DWORD
                                        ; implicit-def: $vgpr27
	s_and_saveexec_b64 s[20:21], vcc
	s_xor_b64 s[24:25], exec, s[20:21]
	s_cbranch_execz .LBB6_8352
; %bb.8343:                             ;   in Loop: Header=BB6_8225 Depth=2
	v_mov_b32_e32 v27, 0
	v_cmp_ne_u32_e32 vcc, 0, v24
	s_and_saveexec_b64 s[26:27], vcc
	s_cbranch_execz .LBB6_8351
; %bb.8344:                             ;   in Loop: Header=BB6_8225 Depth=2
	v_bfe_u32 v27, v24, 23, 8
	v_cmp_gt_u32_e64 s[20:21], s53, v27
	v_sub_u32_e32 v22, 0x79, v27
	v_and_b32_e32 v2, 0x7fffff, v24
	v_cmp_eq_u32_e32 vcc, 0, v27
	v_cndmask_b32_e64 v22, 0, v22, s[20:21]
	v_mov_b32_e32 v24, 0x78
	v_cndmask_b32_e32 v28, v22, v24, vcc
	v_or_b32_e32 v23, 0x800000, v2
	v_add_u32_e32 v22, 20, v28
	v_cndmask_b32_e32 v2, v23, v2, vcc
	v_lshlrev_b64 v[22:23], v22, -1
	v_add_u32_e32 v24, 19, v28
	v_lshlrev_b64 v[29:30], v24, 1
	v_bfi_b32 v23, v23, 0, 0
	v_bfi_b32 v22, v22, 0, v2
	v_cmp_eq_u64_e64 s[20:21], v[22:23], v[29:30]
	v_lshrrev_b64 v[22:23], v28, v[2:3]
	v_mov_b32_e32 v24, v23
	v_mov_b32_e32 v23, v22
	s_and_saveexec_b64 s[34:35], s[20:21]
; %bb.8345:                             ;   in Loop: Header=BB6_8225 Depth=2
	v_bfe_u32 v2, v22, 20, 1
	v_add_co_u32_e64 v2, s[20:21], v22, v2
	v_add_co_u32_e64 v23, s[20:21], -1, v2
; %bb.8346:                             ;   in Loop: Header=BB6_8225 Depth=2
	s_or_b64 exec, exec, s[34:35]
	v_add_u32_e32 v2, 0xffffff81, v27
	v_cndmask_b32_e32 v2, v2, v59, vcc
	v_lshrrev_b32_e32 v24, 23, v22
	v_add3_u32 v28, v28, v2, v24
	v_add_u32_e32 v27, 6, v28
	v_and_b32_e32 v2, 0xfffff, v23
	v_add_u32_e32 v2, v2, v22
	v_cmp_ne_u32_e32 vcc, 0, v27
                                        ; implicit-def: $vgpr22_vgpr23
                                        ; implicit-def: $vgpr24
	s_and_saveexec_b64 s[20:21], vcc
	s_xor_b64 s[20:21], exec, s[20:21]
; %bb.8347:                             ;   in Loop: Header=BB6_8225 Depth=2
	v_cmp_lt_u64_e32 vcc, s[74:75], v[2:3]
	v_add_u32_e32 v22, 7, v28
	v_cndmask_b32_e32 v24, v27, v22, vcc
	v_cndmask_b32_e64 v22, 0, 1, vcc
	v_lshrrev_b64 v[22:23], v22, v[2:3]
; %bb.8348:                             ;   in Loop: Header=BB6_8225 Depth=2
	s_andn2_saveexec_b64 s[20:21], s[20:21]
; %bb.8349:                             ;   in Loop: Header=BB6_8225 Depth=2
	v_mov_b32_e32 v23, v3
	v_bfe_u32 v24, v2, 23, 1
	v_mov_b32_e32 v22, v2
; %bb.8350:                             ;   in Loop: Header=BB6_8225 Depth=2
	s_or_b64 exec, exec, s[20:21]
	v_lshrrev_b64 v[22:23], 20, v[22:23]
	v_cmp_gt_i32_e32 vcc, 16, v24
	v_cndmask_b32_e32 v23, 0, v23, vcc
	v_cndmask_b32_e32 v22, 7, v22, vcc
	v_min_i32_e32 v2, 15, v24
	v_cmp_eq_u64_e64 s[20:21], 0, v[22:23]
	v_lshlrev_b32_e32 v2, 3, v2
	v_cmp_eq_u32_e32 vcc, 0, v24
	v_and_b32_e32 v2, 0xf8, v2
	v_and_or_b32 v2, v22, 7, v2
	s_and_b64 s[20:21], vcc, s[20:21]
	v_cndmask_b32_e64 v2, v2, 0, s[20:21]
	v_or_b32_e32 v27, v2, v25
.LBB6_8351:                             ;   in Loop: Header=BB6_8225 Depth=2
	s_or_b64 exec, exec, s[26:27]
                                        ; implicit-def: $vgpr25
.LBB6_8352:                             ;   in Loop: Header=BB6_8225 Depth=2
	s_andn2_saveexec_b64 s[20:21], s[24:25]
; %bb.8353:                             ;   in Loop: Header=BB6_8225 Depth=2
	v_or_b32_e32 v27, 0x7e, v25
; %bb.8354:                             ;   in Loop: Header=BB6_8225 Depth=2
	s_or_b64 exec, exec, s[20:21]
                                        ; implicit-def: $vgpr24
.LBB6_8355:                             ;   in Loop: Header=BB6_8225 Depth=2
	s_andn2_saveexec_b64 s[20:21], s[22:23]
; %bb.8356:                             ;   in Loop: Header=BB6_8225 Depth=2
	v_or_b32_sdwa v27, v24, s51 dst_sel:DWORD dst_unused:UNUSED_PAD src0_sel:BYTE_3 src1_sel:DWORD
; %bb.8357:                             ;   in Loop: Header=BB6_8225 Depth=2
	s_or_b64 exec, exec, s[20:21]
	v_bfe_u32 v24, v14, 24, 3
	v_bfe_u32 v23, v14, 24, 7
	v_cmp_eq_u32_e64 s[24:25], s51, v23
	v_cmp_gt_u32_e32 vcc, 8, v23
	v_ffbh_u32_e32 v23, v24
	v_min_u32_e32 v28, 32, v23
	v_lshrrev_b32_e32 v22, 24, v14
	v_subrev_u32_e32 v23, 28, v28
	v_bfe_u32 v25, v22, 3, 4
	v_cmp_eq_u32_e64 s[22:23], s49, v22
	v_lshlrev_b64 v[22:23], v23, v[22:23]
	v_sub_u32_e32 v23, 29, v28
	v_and_b32_e32 v22, 7, v22
	v_cndmask_b32_e32 v23, v25, v23, vcc
	v_cndmask_b32_e32 v22, v24, v22, vcc
	v_lshlrev_b32_e32 v22, 20, v22
	v_and_b32_e32 v24, 0x80000000, v14
	v_lshl_add_u32 v23, v23, 23, v5
	v_lshrrev_b32_e32 v2, 24, v10
	v_cmp_gt_u32_e64 s[20:21], s57, v14
	v_or3_b32 v22, v24, v23, v22
	v_cmp_lt_u32_e64 s[26:27], s77, v10
	s_mov_b64 s[34:35], -1
	s_and_b64 vcc, exec, s[30:31]
                                        ; implicit-def: $vgpr23
	s_cbranch_vccz .LBB6_8365
; %bb.8358:                             ;   in Loop: Header=BB6_8225 Depth=2
	v_mov_b32_e32 v23, 0
	s_and_saveexec_b64 s[34:35], s[26:27]
	s_cbranch_execz .LBB6_8364
; %bb.8359:                             ;   in Loop: Header=BB6_8225 Depth=2
	v_cmp_ne_u32_e32 vcc, s49, v2
	v_bfrev_b32_e32 v23, 1
	s_and_saveexec_b64 s[36:37], vcc
	s_cbranch_execz .LBB6_8363
; %bb.8360:                             ;   in Loop: Header=BB6_8225 Depth=2
	v_bfe_u32 v24, v10, 24, 7
	v_cmp_ne_u32_e32 vcc, s51, v24
	v_mov_b32_e32 v23, 0x7f800001
	s_and_saveexec_b64 s[38:39], vcc
	s_cbranch_execz .LBB6_8362
; %bb.8361:                             ;   in Loop: Header=BB6_8225 Depth=2
	v_and_b32_e32 v25, 7, v2
	v_ffbh_u32_e32 v23, v25
	v_min_u32_e32 v29, 32, v23
	v_subrev_u32_e32 v23, 28, v29
	v_lshrrev_b32_e32 v28, 3, v24
	v_cmp_gt_u32_e32 vcc, 8, v24
	v_lshlrev_b64 v[23:24], v23, v[2:3]
	v_sub_u32_e32 v24, 29, v29
	v_and_b32_e32 v23, 7, v23
	v_cndmask_b32_e32 v24, v28, v24, vcc
	v_cndmask_b32_e32 v23, v25, v23, vcc
	v_lshlrev_b32_e32 v25, 24, v2
	v_lshlrev_b32_e32 v23, 20, v23
	v_and_b32_e32 v25, 0x80000000, v25
	v_lshl_add_u32 v24, v24, 23, v5
	v_or3_b32 v23, v25, v24, v23
.LBB6_8362:                             ;   in Loop: Header=BB6_8225 Depth=2
	s_or_b64 exec, exec, s[38:39]
.LBB6_8363:                             ;   in Loop: Header=BB6_8225 Depth=2
	s_or_b64 exec, exec, s[36:37]
.LBB6_8364:                             ;   in Loop: Header=BB6_8225 Depth=2
	s_or_b64 exec, exec, s[34:35]
	v_cndmask_b32_e64 v24, v22, v54, s[24:25]
	v_cndmask_b32_e64 v24, v24, v48, s[22:23]
	;; [unrolled: 1-line block ×3, first 2 shown]
	v_max_f32_e32 v24, v24, v24
	v_max_f32_e32 v23, v23, v23
	;; [unrolled: 1-line block ×3, first 2 shown]
	s_mov_b64 s[34:35], 0
.LBB6_8365:                             ;   in Loop: Header=BB6_8225 Depth=2
	s_and_b64 vcc, exec, s[34:35]
	s_cbranch_vccz .LBB6_8373
; %bb.8366:                             ;   in Loop: Header=BB6_8225 Depth=2
	v_mov_b32_e32 v23, 0
	s_and_saveexec_b64 s[34:35], s[26:27]
	s_cbranch_execz .LBB6_8372
; %bb.8367:                             ;   in Loop: Header=BB6_8225 Depth=2
	v_cmp_ne_u32_e32 vcc, s49, v2
	v_bfrev_b32_e32 v23, 1
	s_and_saveexec_b64 s[26:27], vcc
	s_cbranch_execz .LBB6_8371
; %bb.8368:                             ;   in Loop: Header=BB6_8225 Depth=2
	v_bfe_u32 v24, v10, 24, 7
	v_cmp_ne_u32_e32 vcc, s51, v24
	v_mov_b32_e32 v23, 0x7f800001
	s_and_saveexec_b64 s[36:37], vcc
	s_cbranch_execz .LBB6_8370
; %bb.8369:                             ;   in Loop: Header=BB6_8225 Depth=2
	v_and_b32_e32 v25, 7, v2
	v_ffbh_u32_e32 v23, v25
	v_min_u32_e32 v29, 32, v23
	v_subrev_u32_e32 v23, 28, v29
	v_lshrrev_b32_e32 v28, 3, v24
	v_cmp_gt_u32_e32 vcc, 8, v24
	v_lshlrev_b64 v[23:24], v23, v[2:3]
	v_sub_u32_e32 v24, 29, v29
	v_and_b32_e32 v23, 7, v23
	v_cndmask_b32_e32 v24, v28, v24, vcc
	v_cndmask_b32_e32 v23, v25, v23, vcc
	v_lshlrev_b32_e32 v2, 24, v2
	v_lshlrev_b32_e32 v23, 20, v23
	v_and_b32_e32 v2, 0x80000000, v2
	v_lshl_add_u32 v24, v24, 23, v5
	v_or3_b32 v23, v2, v24, v23
.LBB6_8370:                             ;   in Loop: Header=BB6_8225 Depth=2
	s_or_b64 exec, exec, s[36:37]
.LBB6_8371:                             ;   in Loop: Header=BB6_8225 Depth=2
	s_or_b64 exec, exec, s[26:27]
.LBB6_8372:                             ;   in Loop: Header=BB6_8225 Depth=2
	s_or_b64 exec, exec, s[34:35]
	v_cndmask_b32_e64 v2, v22, v54, s[24:25]
	v_cndmask_b32_e64 v2, v2, v48, s[22:23]
	;; [unrolled: 1-line block ×3, first 2 shown]
	v_max_f32_e32 v2, v2, v2
	v_max_f32_e32 v22, v23, v23
	v_min_f32_e32 v23, v22, v2
.LBB6_8373:                             ;   in Loop: Header=BB6_8225 Depth=2
	v_and_b32_e32 v2, 0x7f800000, v23
	v_cmp_ne_u64_e32 vcc, s[62:63], v[2:3]
                                        ; implicit-def: $vgpr28
	s_and_saveexec_b64 s[20:21], vcc
	s_xor_b64 s[22:23], exec, s[20:21]
	s_cbranch_execz .LBB6_8387
; %bb.8374:                             ;   in Loop: Header=BB6_8225 Depth=2
	v_and_b32_e32 v2, 0x7fffffff, v23
	v_cmp_gt_u64_e32 vcc, s[72:73], v[2:3]
	v_and_b32_sdwa v25, v23, s49 dst_sel:DWORD dst_unused:UNUSED_PAD src0_sel:BYTE_3 src1_sel:DWORD
                                        ; implicit-def: $vgpr28
	s_and_saveexec_b64 s[20:21], vcc
	s_xor_b64 s[24:25], exec, s[20:21]
	s_cbranch_execz .LBB6_8384
; %bb.8375:                             ;   in Loop: Header=BB6_8225 Depth=2
	v_mov_b32_e32 v28, 0
	v_cmp_ne_u32_e32 vcc, 0, v23
	s_and_saveexec_b64 s[26:27], vcc
	s_cbranch_execz .LBB6_8383
; %bb.8376:                             ;   in Loop: Header=BB6_8225 Depth=2
	v_bfe_u32 v28, v23, 23, 8
	v_cmp_gt_u32_e64 s[20:21], s53, v28
	v_sub_u32_e32 v22, 0x79, v28
	v_cmp_eq_u32_e32 vcc, 0, v28
	v_cndmask_b32_e64 v22, 0, v22, s[20:21]
	v_mov_b32_e32 v24, 0x78
	v_and_b32_e32 v2, 0x7fffff, v23
	v_cndmask_b32_e32 v29, v22, v24, vcc
	v_or_b32_e32 v23, 0x800000, v2
	v_add_u32_e32 v22, 20, v29
	v_cndmask_b32_e32 v2, v23, v2, vcc
	v_lshlrev_b64 v[22:23], v22, -1
	v_add_u32_e32 v24, 19, v29
	v_lshlrev_b64 v[30:31], v24, 1
	v_bfi_b32 v23, v23, 0, 0
	v_bfi_b32 v22, v22, 0, v2
	v_cmp_eq_u64_e64 s[20:21], v[22:23], v[30:31]
	v_lshrrev_b64 v[22:23], v29, v[2:3]
	v_mov_b32_e32 v24, v23
	v_mov_b32_e32 v23, v22
	s_and_saveexec_b64 s[34:35], s[20:21]
; %bb.8377:                             ;   in Loop: Header=BB6_8225 Depth=2
	v_bfe_u32 v2, v22, 20, 1
	v_add_co_u32_e64 v2, s[20:21], v22, v2
	v_add_co_u32_e64 v23, s[20:21], -1, v2
; %bb.8378:                             ;   in Loop: Header=BB6_8225 Depth=2
	s_or_b64 exec, exec, s[34:35]
	v_add_u32_e32 v2, 0xffffff81, v28
	v_cndmask_b32_e32 v2, v2, v59, vcc
	v_lshrrev_b32_e32 v24, 23, v22
	v_add3_u32 v29, v29, v2, v24
	v_add_u32_e32 v28, 6, v29
	v_and_b32_e32 v2, 0xfffff, v23
	v_add_u32_e32 v2, v2, v22
	v_cmp_ne_u32_e32 vcc, 0, v28
                                        ; implicit-def: $vgpr22_vgpr23
                                        ; implicit-def: $vgpr24
	s_and_saveexec_b64 s[20:21], vcc
	s_xor_b64 s[20:21], exec, s[20:21]
; %bb.8379:                             ;   in Loop: Header=BB6_8225 Depth=2
	v_cmp_lt_u64_e32 vcc, s[74:75], v[2:3]
	v_add_u32_e32 v22, 7, v29
	v_cndmask_b32_e32 v24, v28, v22, vcc
	v_cndmask_b32_e64 v22, 0, 1, vcc
	v_lshrrev_b64 v[22:23], v22, v[2:3]
; %bb.8380:                             ;   in Loop: Header=BB6_8225 Depth=2
	s_andn2_saveexec_b64 s[20:21], s[20:21]
; %bb.8381:                             ;   in Loop: Header=BB6_8225 Depth=2
	v_mov_b32_e32 v23, v3
	v_bfe_u32 v24, v2, 23, 1
	v_mov_b32_e32 v22, v2
; %bb.8382:                             ;   in Loop: Header=BB6_8225 Depth=2
	s_or_b64 exec, exec, s[20:21]
	v_lshrrev_b64 v[22:23], 20, v[22:23]
	v_cmp_gt_i32_e32 vcc, 16, v24
	v_cndmask_b32_e32 v23, 0, v23, vcc
	v_cndmask_b32_e32 v22, 7, v22, vcc
	v_min_i32_e32 v2, 15, v24
	v_cmp_eq_u64_e64 s[20:21], 0, v[22:23]
	v_lshlrev_b32_e32 v2, 3, v2
	v_cmp_eq_u32_e32 vcc, 0, v24
	v_and_b32_e32 v2, 0xf8, v2
	v_and_or_b32 v2, v22, 7, v2
	s_and_b64 s[20:21], vcc, s[20:21]
	v_cndmask_b32_e64 v2, v2, 0, s[20:21]
	v_or_b32_e32 v28, v2, v25
.LBB6_8383:                             ;   in Loop: Header=BB6_8225 Depth=2
	s_or_b64 exec, exec, s[26:27]
                                        ; implicit-def: $vgpr25
.LBB6_8384:                             ;   in Loop: Header=BB6_8225 Depth=2
	s_andn2_saveexec_b64 s[20:21], s[24:25]
; %bb.8385:                             ;   in Loop: Header=BB6_8225 Depth=2
	v_or_b32_e32 v28, 0x7e, v25
; %bb.8386:                             ;   in Loop: Header=BB6_8225 Depth=2
	s_or_b64 exec, exec, s[20:21]
                                        ; implicit-def: $vgpr23
.LBB6_8387:                             ;   in Loop: Header=BB6_8225 Depth=2
	s_andn2_saveexec_b64 s[20:21], s[22:23]
; %bb.8388:                             ;   in Loop: Header=BB6_8225 Depth=2
	v_or_b32_sdwa v28, v23, s51 dst_sel:DWORD dst_unused:UNUSED_PAD src0_sel:BYTE_3 src1_sel:DWORD
; %bb.8389:                             ;   in Loop: Header=BB6_8225 Depth=2
	s_or_b64 exec, exec, s[20:21]
	v_and_b32_e32 v22, 7, v15
	v_ffbh_u32_e32 v22, v22
	v_and_b32_e32 v23, 0x7f, v15
	v_min_u32_e32 v22, 32, v22
	v_bfe_u32 v24, v15, 3, 4
	v_cmp_eq_u32_e64 s[20:21], s51, v23
	v_cmp_gt_u32_e32 vcc, 8, v23
	v_subrev_u32_e32 v23, 28, v22
	v_sub_u32_e32 v22, 29, v22
	v_mov_b32_e32 v2, v15
	v_cndmask_b32_e32 v24, v24, v22, vcc
	v_cndmask_b32_e32 v22, 0, v23, vcc
	v_lshlrev_b64 v[22:23], v22, v[2:3]
	v_lshlrev_b32_e32 v23, 24, v15
	v_lshlrev_b32_e32 v22, 20, v22
	v_and_b32_e32 v22, 0x700000, v22
	v_and_b32_e32 v23, 0x80000000, v23
	v_lshl_add_u32 v24, v24, 23, v5
	v_or3_b32 v24, v23, v24, v22
	v_mov_b32_e32 v22, v11
	v_mov_b32_e32 v23, v3
	v_cmp_ne_u16_sdwa s[22:23], v11, v3 src0_sel:BYTE_0 src1_sel:DWORD
	s_mov_b64 s[24:25], -1
	s_and_b64 vcc, exec, s[30:31]
                                        ; implicit-def: $vgpr30
	s_cbranch_vccz .LBB6_8403
; %bb.8390:                             ;   in Loop: Header=BB6_8225 Depth=2
	v_mov_b32_e32 v25, 0
	s_and_saveexec_b64 s[24:25], s[22:23]
	s_cbranch_execz .LBB6_8396
; %bb.8391:                             ;   in Loop: Header=BB6_8225 Depth=2
	v_cmp_ne_u16_sdwa vcc, v11, s49 src0_sel:BYTE_0 src1_sel:DWORD
	v_bfrev_b32_e32 v25, 1
	s_and_saveexec_b64 s[26:27], vcc
	s_cbranch_execz .LBB6_8395
; %bb.8392:                             ;   in Loop: Header=BB6_8225 Depth=2
	v_and_b32_e32 v29, 0x7f, v11
	v_cmp_ne_u32_e32 vcc, s51, v29
	v_mov_b32_e32 v25, 0x7f800001
	s_and_saveexec_b64 s[34:35], vcc
	s_cbranch_execz .LBB6_8394
; %bb.8393:                             ;   in Loop: Header=BB6_8225 Depth=2
	v_and_b32_e32 v25, 7, v11
	v_ffbh_u32_e32 v25, v25
	v_min_u32_e32 v25, 32, v25
	v_lshrrev_b32_e32 v30, 3, v29
	v_cmp_gt_u32_e32 vcc, 8, v29
	v_subrev_u32_e32 v29, 28, v25
	v_sub_u32_e32 v25, 29, v25
	v_cndmask_b32_e32 v29, 0, v29, vcc
	v_cndmask_b32_e32 v25, v30, v25, vcc
	v_lshlrev_b64 v[29:30], v29, v[22:23]
	v_lshlrev_b32_e32 v30, 24, v22
	v_lshlrev_b32_e32 v29, 20, v29
	v_and_b32_e32 v29, 0x700000, v29
	v_and_b32_e32 v30, 0x80000000, v30
	v_lshl_add_u32 v25, v25, 23, v5
	v_or3_b32 v25, v30, v25, v29
.LBB6_8394:                             ;   in Loop: Header=BB6_8225 Depth=2
	s_or_b64 exec, exec, s[34:35]
.LBB6_8395:                             ;   in Loop: Header=BB6_8225 Depth=2
	s_or_b64 exec, exec, s[26:27]
.LBB6_8396:                             ;   in Loop: Header=BB6_8225 Depth=2
	s_or_b64 exec, exec, s[24:25]
	v_cmp_gt_i16_sdwa s[26:27], v15, s51 src0_sel:BYTE_0 src1_sel:DWORD
	s_mov_b64 s[24:25], 0
	s_and_saveexec_b64 vcc, s[26:27]
	s_xor_b64 s[26:27], exec, vcc
	s_cbranch_execz .LBB6_8893
; %bb.8397:                             ;   in Loop: Header=BB6_8225 Depth=2
	v_cmp_eq_u16_sdwa s[34:35], v15, s49 src0_sel:BYTE_0 src1_sel:DWORD
	s_mov_b64 s[24:25], -1
	s_and_saveexec_b64 vcc, s[34:35]
; %bb.8398:                             ;   in Loop: Header=BB6_8225 Depth=2
	s_xor_b64 s[24:25], exec, -1
; %bb.8399:                             ;   in Loop: Header=BB6_8225 Depth=2
	s_or_b64 exec, exec, vcc
	s_and_b64 s[24:25], s[24:25], exec
	s_or_saveexec_b64 s[26:27], s[26:27]
	v_bfrev_b32_e32 v29, 1
	s_xor_b64 exec, exec, s[26:27]
	s_cbranch_execnz .LBB6_8894
.LBB6_8400:                             ;   in Loop: Header=BB6_8225 Depth=2
	s_or_b64 exec, exec, s[26:27]
	s_and_saveexec_b64 s[26:27], s[24:25]
.LBB6_8401:                             ;   in Loop: Header=BB6_8225 Depth=2
	v_cndmask_b32_e64 v29, v24, v54, s[20:21]
.LBB6_8402:                             ;   in Loop: Header=BB6_8225 Depth=2
	s_or_b64 exec, exec, s[26:27]
	v_max_f32_e32 v29, v29, v29
	v_max_f32_e32 v25, v25, v25
	;; [unrolled: 1-line block ×3, first 2 shown]
	s_mov_b64 s[24:25], 0
.LBB6_8403:                             ;   in Loop: Header=BB6_8225 Depth=2
	s_and_b64 vcc, exec, s[24:25]
	s_cbranch_vccz .LBB6_8417
; %bb.8404:                             ;   in Loop: Header=BB6_8225 Depth=2
	v_mov_b32_e32 v25, 0
	s_and_saveexec_b64 s[24:25], s[22:23]
	s_cbranch_execz .LBB6_8410
; %bb.8405:                             ;   in Loop: Header=BB6_8225 Depth=2
	v_cmp_ne_u16_sdwa s[26:27], v11, s49 src0_sel:BYTE_0 src1_sel:DWORD
	v_bfrev_b32_e32 v25, 1
	s_and_saveexec_b64 s[22:23], s[26:27]
	s_cbranch_execz .LBB6_8409
; %bb.8406:                             ;   in Loop: Header=BB6_8225 Depth=2
	v_and_b32_e32 v29, 0x7f, v11
	v_cmp_ne_u32_e32 vcc, s51, v29
	v_mov_b32_e32 v25, 0x7f800001
	s_and_saveexec_b64 s[26:27], vcc
	s_cbranch_execz .LBB6_8408
; %bb.8407:                             ;   in Loop: Header=BB6_8225 Depth=2
	v_and_b32_e32 v25, 7, v11
	v_ffbh_u32_e32 v25, v25
	v_min_u32_e32 v25, 32, v25
	v_lshrrev_b32_e32 v30, 3, v29
	v_cmp_gt_u32_e32 vcc, 8, v29
	v_subrev_u32_e32 v29, 28, v25
	v_sub_u32_e32 v25, 29, v25
	v_cndmask_b32_e32 v29, 0, v29, vcc
	v_cndmask_b32_e32 v25, v30, v25, vcc
	v_lshlrev_b64 v[29:30], v29, v[22:23]
	v_lshl_add_u32 v25, v25, 23, v5
	v_lshlrev_b32_e32 v23, 20, v29
	v_lshlrev_b32_e32 v29, 24, v22
	v_and_b32_e32 v23, 0x700000, v23
	v_and_b32_e32 v29, 0x80000000, v29
	v_or3_b32 v25, v29, v25, v23
.LBB6_8408:                             ;   in Loop: Header=BB6_8225 Depth=2
	s_or_b64 exec, exec, s[26:27]
.LBB6_8409:                             ;   in Loop: Header=BB6_8225 Depth=2
	s_or_b64 exec, exec, s[22:23]
.LBB6_8410:                             ;   in Loop: Header=BB6_8225 Depth=2
	s_or_b64 exec, exec, s[24:25]
	v_cmp_gt_i16_sdwa s[24:25], v15, s51 src0_sel:BYTE_0 src1_sel:DWORD
	s_mov_b64 s[22:23], 0
	s_and_saveexec_b64 s[26:27], s[24:25]
	s_xor_b64 s[24:25], exec, s[26:27]
	s_cbranch_execz .LBB6_8895
; %bb.8411:                             ;   in Loop: Header=BB6_8225 Depth=2
	v_cmp_eq_u16_sdwa vcc, v15, s49 src0_sel:BYTE_0 src1_sel:DWORD
	s_mov_b64 s[22:23], -1
	s_and_saveexec_b64 s[26:27], vcc
; %bb.8412:                             ;   in Loop: Header=BB6_8225 Depth=2
	s_xor_b64 s[22:23], exec, -1
; %bb.8413:                             ;   in Loop: Header=BB6_8225 Depth=2
	s_or_b64 exec, exec, s[26:27]
	s_and_b64 s[22:23], s[22:23], exec
	s_or_saveexec_b64 s[24:25], s[24:25]
	v_bfrev_b32_e32 v23, 1
	s_xor_b64 exec, exec, s[24:25]
	s_cbranch_execnz .LBB6_8896
.LBB6_8414:                             ;   in Loop: Header=BB6_8225 Depth=2
	s_or_b64 exec, exec, s[24:25]
	s_and_saveexec_b64 s[24:25], s[22:23]
.LBB6_8415:                             ;   in Loop: Header=BB6_8225 Depth=2
	v_cndmask_b32_e64 v23, v24, v54, s[20:21]
.LBB6_8416:                             ;   in Loop: Header=BB6_8225 Depth=2
	s_or_b64 exec, exec, s[24:25]
	v_max_f32_e32 v23, v23, v23
	v_max_f32_e32 v24, v25, v25
	v_min_f32_e32 v30, v24, v23
.LBB6_8417:                             ;   in Loop: Header=BB6_8225 Depth=2
	v_and_b32_e32 v23, 0x7f800000, v30
	v_mov_b32_e32 v24, v3
	v_cmp_ne_u64_e32 vcc, s[62:63], v[23:24]
                                        ; implicit-def: $vgpr25
	s_and_saveexec_b64 s[20:21], vcc
	s_xor_b64 s[22:23], exec, s[20:21]
	s_cbranch_execz .LBB6_8431
; %bb.8418:                             ;   in Loop: Header=BB6_8225 Depth=2
	v_and_b32_e32 v23, 0x7fffffff, v30
	v_mov_b32_e32 v24, v3
	v_cmp_gt_u64_e32 vcc, s[72:73], v[23:24]
	v_and_b32_sdwa v29, v30, s49 dst_sel:DWORD dst_unused:UNUSED_PAD src0_sel:BYTE_3 src1_sel:DWORD
                                        ; implicit-def: $vgpr25
	s_and_saveexec_b64 s[20:21], vcc
	s_xor_b64 s[24:25], exec, s[20:21]
	s_cbranch_execz .LBB6_8428
; %bb.8419:                             ;   in Loop: Header=BB6_8225 Depth=2
	v_mov_b32_e32 v25, 0
	v_cmp_ne_u32_e32 vcc, 0, v30
	s_and_saveexec_b64 s[26:27], vcc
	s_cbranch_execz .LBB6_8427
; %bb.8420:                             ;   in Loop: Header=BB6_8225 Depth=2
	v_and_b32_e32 v23, 0x7fffff, v30
	v_bfe_u32 v30, v30, 23, 8
	v_cmp_gt_u32_e64 s[20:21], s53, v30
	v_sub_u32_e32 v24, 0x79, v30
	v_cmp_eq_u32_e32 vcc, 0, v30
	v_cndmask_b32_e64 v24, 0, v24, s[20:21]
	v_mov_b32_e32 v31, 0x78
	v_or_b32_e32 v25, 0x800000, v23
	v_cndmask_b32_e32 v31, v24, v31, vcc
	v_cndmask_b32_e32 v23, v25, v23, vcc
	v_add_u32_e32 v25, 20, v31
	v_lshlrev_b64 v[32:33], v25, -1
	v_mov_b32_e32 v24, v3
	v_add_u32_e32 v25, 19, v31
	v_bfi_b32 v32, v32, 0, v23
	v_lshlrev_b64 v[34:35], v25, 1
	v_lshrrev_b64 v[23:24], v31, v[23:24]
	v_bfi_b32 v33, v33, 0, 0
	v_cmp_eq_u64_e64 s[20:21], v[32:33], v[34:35]
	v_mov_b32_e32 v25, v24
	v_mov_b32_e32 v24, v23
	s_and_saveexec_b64 s[34:35], s[20:21]
; %bb.8421:                             ;   in Loop: Header=BB6_8225 Depth=2
	v_bfe_u32 v24, v23, 20, 1
	v_add_co_u32_e64 v24, s[20:21], v23, v24
	v_add_co_u32_e64 v24, s[20:21], -1, v24
; %bb.8422:                             ;   in Loop: Header=BB6_8225 Depth=2
	s_or_b64 exec, exec, s[34:35]
	v_add_u32_e32 v25, 0xffffff81, v30
	v_cndmask_b32_e32 v25, v25, v59, vcc
	v_lshrrev_b32_e32 v30, 23, v23
	v_add3_u32 v31, v31, v25, v30
	v_add_u32_e32 v30, 6, v31
	v_and_b32_e32 v24, 0xfffff, v24
	v_add_u32_e32 v23, v24, v23
	v_mov_b32_e32 v24, v3
	v_cmp_ne_u32_e32 vcc, 0, v30
                                        ; implicit-def: $vgpr25
	s_and_saveexec_b64 s[20:21], vcc
	s_xor_b64 s[20:21], exec, s[20:21]
; %bb.8423:                             ;   in Loop: Header=BB6_8225 Depth=2
	v_cmp_lt_u64_e32 vcc, s[74:75], v[23:24]
	v_add_u32_e32 v25, 7, v31
	v_cndmask_b32_e32 v25, v30, v25, vcc
	v_cndmask_b32_e64 v30, 0, 1, vcc
	v_lshrrev_b64 v[23:24], v30, v[23:24]
; %bb.8424:                             ;   in Loop: Header=BB6_8225 Depth=2
	s_andn2_saveexec_b64 s[20:21], s[20:21]
; %bb.8425:                             ;   in Loop: Header=BB6_8225 Depth=2
	v_bfe_u32 v25, v23, 23, 1
; %bb.8426:                             ;   in Loop: Header=BB6_8225 Depth=2
	s_or_b64 exec, exec, s[20:21]
	v_lshrrev_b64 v[23:24], 20, v[23:24]
	v_cmp_gt_i32_e32 vcc, 16, v25
	v_cndmask_b32_e32 v24, 0, v24, vcc
	v_cndmask_b32_e32 v23, 7, v23, vcc
	v_cmp_eq_u64_e64 s[20:21], 0, v[23:24]
	v_min_i32_e32 v24, 15, v25
	v_lshlrev_b32_e32 v24, 3, v24
	v_cmp_eq_u32_e32 vcc, 0, v25
	v_and_b32_e32 v24, 0xf8, v24
	v_and_or_b32 v23, v23, 7, v24
	s_and_b64 s[20:21], vcc, s[20:21]
	v_cndmask_b32_e64 v23, v23, 0, s[20:21]
	v_or_b32_e32 v25, v23, v29
.LBB6_8427:                             ;   in Loop: Header=BB6_8225 Depth=2
	s_or_b64 exec, exec, s[26:27]
                                        ; implicit-def: $vgpr29
.LBB6_8428:                             ;   in Loop: Header=BB6_8225 Depth=2
	s_andn2_saveexec_b64 s[20:21], s[24:25]
; %bb.8429:                             ;   in Loop: Header=BB6_8225 Depth=2
	v_or_b32_e32 v25, 0x7e, v29
; %bb.8430:                             ;   in Loop: Header=BB6_8225 Depth=2
	s_or_b64 exec, exec, s[20:21]
                                        ; implicit-def: $vgpr30
.LBB6_8431:                             ;   in Loop: Header=BB6_8225 Depth=2
	s_andn2_saveexec_b64 s[20:21], s[22:23]
; %bb.8432:                             ;   in Loop: Header=BB6_8225 Depth=2
	v_or_b32_sdwa v25, v30, s51 dst_sel:DWORD dst_unused:UNUSED_PAD src0_sel:BYTE_3 src1_sel:DWORD
; %bb.8433:                             ;   in Loop: Header=BB6_8225 Depth=2
	s_or_b64 exec, exec, s[20:21]
	v_lshrrev_b16_e32 v2, 8, v2
	v_and_b32_e32 v24, 7, v2
	v_and_b32_e32 v29, 0x7f, v2
	v_cmp_eq_u32_e64 s[20:21], s51, v29
	v_cmp_gt_u32_e32 vcc, 8, v29
	v_ffbh_u32_e32 v29, v24
	v_min_u32_e32 v32, 32, v29
	v_subrev_u32_e32 v29, 28, v32
	v_lshlrev_b64 v[29:30], v29, v[2:3]
	v_bfe_u32 v31, v2, 3, 4
	v_sub_u32_e32 v30, 29, v32
	v_and_b32_e32 v29, 7, v29
	v_cndmask_b32_e32 v30, v31, v30, vcc
	v_cndmask_b32_e32 v24, v24, v29, vcc
	v_lshlrev_b32_e32 v29, 24, v2
	v_lshrrev_b16_e32 v23, 8, v22
	v_lshlrev_b32_e32 v24, 20, v24
	v_and_b32_e32 v29, 0x80000000, v29
	v_lshl_add_u32 v30, v30, 23, v5
	v_or3_b32 v24, v29, v30, v24
	v_cmp_ne_u16_e64 s[22:23], 0, v23
	s_mov_b64 s[24:25], -1
	s_and_b64 vcc, exec, s[30:31]
                                        ; implicit-def: $vgpr31
	s_cbranch_vccz .LBB6_8447
; %bb.8434:                             ;   in Loop: Header=BB6_8225 Depth=2
	v_mov_b32_e32 v29, 0
	s_and_saveexec_b64 s[24:25], s[22:23]
	s_cbranch_execz .LBB6_8440
; %bb.8435:                             ;   in Loop: Header=BB6_8225 Depth=2
	v_cmp_ne_u16_e32 vcc, s49, v23
	v_bfrev_b32_e32 v29, 1
	s_and_saveexec_b64 s[26:27], vcc
	s_cbranch_execz .LBB6_8439
; %bb.8436:                             ;   in Loop: Header=BB6_8225 Depth=2
	v_and_b32_e32 v30, 0x7f, v23
	v_cmp_ne_u32_e32 vcc, s51, v30
	v_mov_b32_e32 v29, 0x7f800001
	s_and_saveexec_b64 s[34:35], vcc
	s_cbranch_execz .LBB6_8438
; %bb.8437:                             ;   in Loop: Header=BB6_8225 Depth=2
	v_and_b32_e32 v31, 7, v23
	v_ffbh_u32_e32 v29, v31
	v_min_u32_e32 v33, 32, v29
	v_subrev_u32_e32 v29, 28, v33
	v_lshrrev_b32_e32 v32, 3, v30
	v_cmp_gt_u32_e32 vcc, 8, v30
	v_lshlrev_b64 v[29:30], v29, v[23:24]
	v_sub_u32_e32 v30, 29, v33
	v_and_b32_e32 v29, 7, v29
	v_cndmask_b32_e32 v30, v32, v30, vcc
	v_cndmask_b32_e32 v29, v31, v29, vcc
	v_lshlrev_b32_e32 v31, 16, v22
	v_lshlrev_b32_e32 v29, 20, v29
	v_and_b32_e32 v31, 0x80000000, v31
	v_lshl_add_u32 v30, v30, 23, v5
	v_or3_b32 v29, v31, v30, v29
.LBB6_8438:                             ;   in Loop: Header=BB6_8225 Depth=2
	s_or_b64 exec, exec, s[34:35]
.LBB6_8439:                             ;   in Loop: Header=BB6_8225 Depth=2
	s_or_b64 exec, exec, s[26:27]
.LBB6_8440:                             ;   in Loop: Header=BB6_8225 Depth=2
	s_or_b64 exec, exec, s[24:25]
	v_cmp_lt_i16_e32 vcc, s51, v2
	s_mov_b64 s[24:25], 0
	s_and_saveexec_b64 s[26:27], vcc
	s_xor_b64 s[26:27], exec, s[26:27]
	s_cbranch_execz .LBB6_8897
; %bb.8441:                             ;   in Loop: Header=BB6_8225 Depth=2
	v_cmp_eq_u16_e32 vcc, s49, v2
	s_mov_b64 s[24:25], -1
	s_and_saveexec_b64 s[34:35], vcc
; %bb.8442:                             ;   in Loop: Header=BB6_8225 Depth=2
	s_xor_b64 s[24:25], exec, -1
; %bb.8443:                             ;   in Loop: Header=BB6_8225 Depth=2
	s_or_b64 exec, exec, s[34:35]
	s_and_b64 s[24:25], s[24:25], exec
	s_or_saveexec_b64 s[26:27], s[26:27]
	v_bfrev_b32_e32 v30, 1
	s_xor_b64 exec, exec, s[26:27]
	s_cbranch_execnz .LBB6_8898
.LBB6_8444:                             ;   in Loop: Header=BB6_8225 Depth=2
	s_or_b64 exec, exec, s[26:27]
	s_and_saveexec_b64 s[26:27], s[24:25]
.LBB6_8445:                             ;   in Loop: Header=BB6_8225 Depth=2
	v_cndmask_b32_e64 v30, v24, v54, s[20:21]
.LBB6_8446:                             ;   in Loop: Header=BB6_8225 Depth=2
	s_or_b64 exec, exec, s[26:27]
	v_max_f32_e32 v30, v30, v30
	v_max_f32_e32 v29, v29, v29
	;; [unrolled: 1-line block ×3, first 2 shown]
	s_mov_b64 s[24:25], 0
.LBB6_8447:                             ;   in Loop: Header=BB6_8225 Depth=2
	s_and_b64 vcc, exec, s[24:25]
	s_cbranch_vccz .LBB6_8461
; %bb.8448:                             ;   in Loop: Header=BB6_8225 Depth=2
	v_mov_b32_e32 v29, 0
	s_and_saveexec_b64 s[24:25], s[22:23]
	s_cbranch_execz .LBB6_8454
; %bb.8449:                             ;   in Loop: Header=BB6_8225 Depth=2
	v_cmp_ne_u16_e32 vcc, s49, v23
	v_bfrev_b32_e32 v29, 1
	s_and_saveexec_b64 s[22:23], vcc
	s_cbranch_execz .LBB6_8453
; %bb.8450:                             ;   in Loop: Header=BB6_8225 Depth=2
	v_and_b32_e32 v30, 0x7f, v23
	v_cmp_ne_u32_e32 vcc, s51, v30
	v_mov_b32_e32 v29, 0x7f800001
	s_and_saveexec_b64 s[26:27], vcc
	s_cbranch_execz .LBB6_8452
; %bb.8451:                             ;   in Loop: Header=BB6_8225 Depth=2
	v_and_b32_e32 v31, 7, v23
	v_ffbh_u32_e32 v29, v31
	v_min_u32_e32 v33, 32, v29
	v_subrev_u32_e32 v29, 28, v33
	v_lshrrev_b32_e32 v32, 3, v30
	v_cmp_gt_u32_e32 vcc, 8, v30
	v_lshlrev_b64 v[29:30], v29, v[23:24]
	v_sub_u32_e32 v23, 29, v33
	v_and_b32_e32 v29, 7, v29
	v_cndmask_b32_e32 v23, v32, v23, vcc
	v_cndmask_b32_e32 v29, v31, v29, vcc
	v_lshlrev_b32_e32 v22, 16, v22
	v_lshlrev_b32_e32 v29, 20, v29
	v_and_b32_e32 v22, 0x80000000, v22
	v_lshl_add_u32 v23, v23, 23, v5
	v_or3_b32 v29, v22, v23, v29
.LBB6_8452:                             ;   in Loop: Header=BB6_8225 Depth=2
	s_or_b64 exec, exec, s[26:27]
.LBB6_8453:                             ;   in Loop: Header=BB6_8225 Depth=2
	s_or_b64 exec, exec, s[22:23]
.LBB6_8454:                             ;   in Loop: Header=BB6_8225 Depth=2
	s_or_b64 exec, exec, s[24:25]
	v_cmp_lt_i16_e32 vcc, s51, v2
	s_mov_b64 s[22:23], 0
	s_and_saveexec_b64 s[24:25], vcc
	s_xor_b64 s[24:25], exec, s[24:25]
	s_cbranch_execz .LBB6_8899
; %bb.8455:                             ;   in Loop: Header=BB6_8225 Depth=2
	v_cmp_eq_u16_e32 vcc, s49, v2
	s_mov_b64 s[22:23], -1
	s_and_saveexec_b64 s[26:27], vcc
; %bb.8456:                             ;   in Loop: Header=BB6_8225 Depth=2
	s_xor_b64 s[22:23], exec, -1
; %bb.8457:                             ;   in Loop: Header=BB6_8225 Depth=2
	s_or_b64 exec, exec, s[26:27]
	s_and_b64 s[22:23], s[22:23], exec
	s_or_saveexec_b64 s[24:25], s[24:25]
	v_bfrev_b32_e32 v22, 1
	s_xor_b64 exec, exec, s[24:25]
	s_cbranch_execnz .LBB6_8900
.LBB6_8458:                             ;   in Loop: Header=BB6_8225 Depth=2
	s_or_b64 exec, exec, s[24:25]
	s_and_saveexec_b64 s[24:25], s[22:23]
.LBB6_8459:                             ;   in Loop: Header=BB6_8225 Depth=2
	v_cndmask_b32_e64 v22, v24, v54, s[20:21]
.LBB6_8460:                             ;   in Loop: Header=BB6_8225 Depth=2
	s_or_b64 exec, exec, s[24:25]
	v_max_f32_e32 v2, v22, v22
	v_max_f32_e32 v22, v29, v29
	v_min_f32_e32 v31, v22, v2
.LBB6_8461:                             ;   in Loop: Header=BB6_8225 Depth=2
	v_and_b32_e32 v2, 0x7f800000, v31
	v_cmp_ne_u64_e32 vcc, s[62:63], v[2:3]
                                        ; implicit-def: $vgpr29
	s_and_saveexec_b64 s[20:21], vcc
	s_xor_b64 s[22:23], exec, s[20:21]
	s_cbranch_execz .LBB6_8475
; %bb.8462:                             ;   in Loop: Header=BB6_8225 Depth=2
	v_and_b32_e32 v2, 0x7fffffff, v31
	v_cmp_gt_u64_e32 vcc, s[72:73], v[2:3]
	v_and_b32_sdwa v30, v31, s49 dst_sel:DWORD dst_unused:UNUSED_PAD src0_sel:BYTE_3 src1_sel:DWORD
                                        ; implicit-def: $vgpr29
	s_and_saveexec_b64 s[20:21], vcc
	s_xor_b64 s[24:25], exec, s[20:21]
	s_cbranch_execz .LBB6_8472
; %bb.8463:                             ;   in Loop: Header=BB6_8225 Depth=2
	v_mov_b32_e32 v29, 0
	v_cmp_ne_u32_e32 vcc, 0, v31
	s_and_saveexec_b64 s[26:27], vcc
	s_cbranch_execz .LBB6_8471
; %bb.8464:                             ;   in Loop: Header=BB6_8225 Depth=2
	v_bfe_u32 v29, v31, 23, 8
	v_cmp_gt_u32_e64 s[20:21], s53, v29
	v_sub_u32_e32 v22, 0x79, v29
	v_cmp_eq_u32_e32 vcc, 0, v29
	v_cndmask_b32_e64 v22, 0, v22, s[20:21]
	v_mov_b32_e32 v24, 0x78
	v_and_b32_e32 v2, 0x7fffff, v31
	v_cndmask_b32_e32 v31, v22, v24, vcc
	v_or_b32_e32 v23, 0x800000, v2
	v_add_u32_e32 v22, 20, v31
	v_cndmask_b32_e32 v2, v23, v2, vcc
	v_lshlrev_b64 v[22:23], v22, -1
	v_add_u32_e32 v24, 19, v31
	v_lshlrev_b64 v[32:33], v24, 1
	v_bfi_b32 v23, v23, 0, 0
	v_bfi_b32 v22, v22, 0, v2
	v_cmp_eq_u64_e64 s[20:21], v[22:23], v[32:33]
	v_lshrrev_b64 v[22:23], v31, v[2:3]
	v_mov_b32_e32 v24, v23
	v_mov_b32_e32 v23, v22
	s_and_saveexec_b64 s[34:35], s[20:21]
; %bb.8465:                             ;   in Loop: Header=BB6_8225 Depth=2
	v_bfe_u32 v2, v22, 20, 1
	v_add_co_u32_e64 v2, s[20:21], v22, v2
	v_add_co_u32_e64 v23, s[20:21], -1, v2
; %bb.8466:                             ;   in Loop: Header=BB6_8225 Depth=2
	s_or_b64 exec, exec, s[34:35]
	v_add_u32_e32 v2, 0xffffff81, v29
	v_cndmask_b32_e32 v2, v2, v59, vcc
	v_lshrrev_b32_e32 v24, 23, v22
	v_add3_u32 v31, v31, v2, v24
	v_add_u32_e32 v29, 6, v31
	v_and_b32_e32 v2, 0xfffff, v23
	v_add_u32_e32 v2, v2, v22
	v_cmp_ne_u32_e32 vcc, 0, v29
                                        ; implicit-def: $vgpr22_vgpr23
                                        ; implicit-def: $vgpr24
	s_and_saveexec_b64 s[20:21], vcc
	s_xor_b64 s[20:21], exec, s[20:21]
; %bb.8467:                             ;   in Loop: Header=BB6_8225 Depth=2
	v_cmp_lt_u64_e32 vcc, s[74:75], v[2:3]
	v_add_u32_e32 v22, 7, v31
	v_cndmask_b32_e32 v24, v29, v22, vcc
	v_cndmask_b32_e64 v22, 0, 1, vcc
	v_lshrrev_b64 v[22:23], v22, v[2:3]
; %bb.8468:                             ;   in Loop: Header=BB6_8225 Depth=2
	s_andn2_saveexec_b64 s[20:21], s[20:21]
; %bb.8469:                             ;   in Loop: Header=BB6_8225 Depth=2
	v_mov_b32_e32 v23, v3
	v_bfe_u32 v24, v2, 23, 1
	v_mov_b32_e32 v22, v2
; %bb.8470:                             ;   in Loop: Header=BB6_8225 Depth=2
	s_or_b64 exec, exec, s[20:21]
	v_lshrrev_b64 v[22:23], 20, v[22:23]
	v_cmp_gt_i32_e32 vcc, 16, v24
	v_cndmask_b32_e32 v23, 0, v23, vcc
	v_cndmask_b32_e32 v22, 7, v22, vcc
	v_min_i32_e32 v2, 15, v24
	v_cmp_eq_u64_e64 s[20:21], 0, v[22:23]
	v_lshlrev_b32_e32 v2, 3, v2
	v_cmp_eq_u32_e32 vcc, 0, v24
	v_and_b32_e32 v2, 0xf8, v2
	v_and_or_b32 v2, v22, 7, v2
	s_and_b64 s[20:21], vcc, s[20:21]
	v_cndmask_b32_e64 v2, v2, 0, s[20:21]
	v_or_b32_e32 v29, v2, v30
.LBB6_8471:                             ;   in Loop: Header=BB6_8225 Depth=2
	s_or_b64 exec, exec, s[26:27]
                                        ; implicit-def: $vgpr30
.LBB6_8472:                             ;   in Loop: Header=BB6_8225 Depth=2
	s_andn2_saveexec_b64 s[20:21], s[24:25]
; %bb.8473:                             ;   in Loop: Header=BB6_8225 Depth=2
	v_or_b32_e32 v29, 0x7e, v30
; %bb.8474:                             ;   in Loop: Header=BB6_8225 Depth=2
	s_or_b64 exec, exec, s[20:21]
                                        ; implicit-def: $vgpr31
.LBB6_8475:                             ;   in Loop: Header=BB6_8225 Depth=2
	s_andn2_saveexec_b64 s[20:21], s[22:23]
; %bb.8476:                             ;   in Loop: Header=BB6_8225 Depth=2
	v_or_b32_sdwa v29, v31, s51 dst_sel:DWORD dst_unused:UNUSED_PAD src0_sel:BYTE_3 src1_sel:DWORD
; %bb.8477:                             ;   in Loop: Header=BB6_8225 Depth=2
	s_or_b64 exec, exec, s[20:21]
	v_bfe_u32 v24, v15, 16, 3
	v_bfe_u32 v22, v15, 16, 7
	v_cmp_eq_u32_e64 s[20:21], s51, v22
	v_cmp_gt_u32_e32 vcc, 8, v22
	v_ffbh_u32_e32 v22, v24
	v_min_u32_e32 v31, 32, v22
	v_lshrrev_b32_e32 v2, 16, v15
	v_subrev_u32_e32 v22, 28, v31
	v_lshlrev_b64 v[22:23], v22, v[2:3]
	v_bfe_u32 v30, v2, 3, 4
	v_sub_u32_e32 v23, 29, v31
	v_and_b32_e32 v22, 7, v22
	v_cndmask_b32_e32 v23, v30, v23, vcc
	v_cndmask_b32_e32 v22, v24, v22, vcc
	v_lshlrev_b32_e32 v24, 8, v15
	v_lshlrev_b32_e32 v22, 20, v22
	v_and_b32_e32 v24, 0x80000000, v24
	v_lshl_add_u32 v23, v23, 23, v5
	v_or3_b32 v23, v24, v23, v22
	v_lshrrev_b32_e32 v22, 16, v11
	v_cmp_ne_u16_sdwa s[22:23], v22, v3 src0_sel:BYTE_0 src1_sel:DWORD
	s_mov_b64 s[24:25], -1
	s_and_b64 vcc, exec, s[30:31]
                                        ; implicit-def: $vgpr31
	s_cbranch_vccz .LBB6_8491
; %bb.8478:                             ;   in Loop: Header=BB6_8225 Depth=2
	v_mov_b32_e32 v24, 0
	s_and_saveexec_b64 s[24:25], s[22:23]
	s_cbranch_execz .LBB6_8484
; %bb.8479:                             ;   in Loop: Header=BB6_8225 Depth=2
	v_cmp_ne_u16_sdwa vcc, v22, s49 src0_sel:BYTE_0 src1_sel:DWORD
	v_bfrev_b32_e32 v24, 1
	s_and_saveexec_b64 s[26:27], vcc
	s_cbranch_execz .LBB6_8483
; %bb.8480:                             ;   in Loop: Header=BB6_8225 Depth=2
	v_bfe_u32 v30, v11, 16, 7
	v_cmp_ne_u32_e32 vcc, s51, v30
	v_mov_b32_e32 v24, 0x7f800001
	s_and_saveexec_b64 s[34:35], vcc
	s_cbranch_execz .LBB6_8482
; %bb.8481:                             ;   in Loop: Header=BB6_8225 Depth=2
	v_and_b32_e32 v24, 7, v22
	v_lshrrev_b32_e32 v32, 3, v30
	v_cmp_gt_u32_e32 vcc, 8, v30
	v_ffbh_u32_e32 v30, v24
	v_min_u32_e32 v33, 32, v30
	v_subrev_u32_e32 v30, 28, v33
	v_lshlrev_b64 v[30:31], v30, v[22:23]
	v_sub_u32_e32 v31, 29, v33
	v_and_b32_e32 v30, 7, v30
	v_cndmask_b32_e32 v31, v32, v31, vcc
	v_cndmask_b32_e32 v24, v24, v30, vcc
	v_lshlrev_b32_e32 v30, 24, v22
	v_lshlrev_b32_e32 v24, 20, v24
	v_and_b32_e32 v30, 0x80000000, v30
	v_lshl_add_u32 v31, v31, 23, v5
	v_or3_b32 v24, v30, v31, v24
.LBB6_8482:                             ;   in Loop: Header=BB6_8225 Depth=2
	s_or_b64 exec, exec, s[34:35]
.LBB6_8483:                             ;   in Loop: Header=BB6_8225 Depth=2
	s_or_b64 exec, exec, s[26:27]
.LBB6_8484:                             ;   in Loop: Header=BB6_8225 Depth=2
	s_or_b64 exec, exec, s[24:25]
	v_cmp_gt_i16_sdwa s[26:27], v2, s51 src0_sel:BYTE_0 src1_sel:DWORD
	s_mov_b64 s[24:25], 0
	s_and_saveexec_b64 vcc, s[26:27]
	s_xor_b64 s[26:27], exec, vcc
	s_cbranch_execz .LBB6_8901
; %bb.8485:                             ;   in Loop: Header=BB6_8225 Depth=2
	v_cmp_eq_u16_sdwa s[34:35], v2, s49 src0_sel:BYTE_0 src1_sel:DWORD
	s_mov_b64 s[24:25], -1
	s_and_saveexec_b64 vcc, s[34:35]
; %bb.8486:                             ;   in Loop: Header=BB6_8225 Depth=2
	s_xor_b64 s[24:25], exec, -1
; %bb.8487:                             ;   in Loop: Header=BB6_8225 Depth=2
	s_or_b64 exec, exec, vcc
	s_and_b64 s[24:25], s[24:25], exec
	s_or_saveexec_b64 s[26:27], s[26:27]
	v_bfrev_b32_e32 v30, 1
	s_xor_b64 exec, exec, s[26:27]
	s_cbranch_execnz .LBB6_8902
.LBB6_8488:                             ;   in Loop: Header=BB6_8225 Depth=2
	s_or_b64 exec, exec, s[26:27]
	s_and_saveexec_b64 s[26:27], s[24:25]
.LBB6_8489:                             ;   in Loop: Header=BB6_8225 Depth=2
	v_cndmask_b32_e64 v30, v23, v54, s[20:21]
.LBB6_8490:                             ;   in Loop: Header=BB6_8225 Depth=2
	s_or_b64 exec, exec, s[26:27]
	v_max_f32_e32 v30, v30, v30
	v_max_f32_e32 v24, v24, v24
	;; [unrolled: 1-line block ×3, first 2 shown]
	s_mov_b64 s[24:25], 0
.LBB6_8491:                             ;   in Loop: Header=BB6_8225 Depth=2
	s_and_b64 vcc, exec, s[24:25]
	s_cbranch_vccz .LBB6_8505
; %bb.8492:                             ;   in Loop: Header=BB6_8225 Depth=2
	v_mov_b32_e32 v24, 0
	s_and_saveexec_b64 s[24:25], s[22:23]
	s_cbranch_execz .LBB6_8498
; %bb.8493:                             ;   in Loop: Header=BB6_8225 Depth=2
	v_cmp_ne_u16_sdwa s[26:27], v22, s49 src0_sel:BYTE_0 src1_sel:DWORD
	v_bfrev_b32_e32 v24, 1
	s_and_saveexec_b64 s[22:23], s[26:27]
	s_cbranch_execz .LBB6_8497
; %bb.8494:                             ;   in Loop: Header=BB6_8225 Depth=2
	v_bfe_u32 v30, v11, 16, 7
	v_cmp_ne_u32_e32 vcc, s51, v30
	v_mov_b32_e32 v24, 0x7f800001
	s_and_saveexec_b64 s[26:27], vcc
	s_cbranch_execz .LBB6_8496
; %bb.8495:                             ;   in Loop: Header=BB6_8225 Depth=2
	v_and_b32_e32 v24, 7, v22
	v_lshrrev_b32_e32 v32, 3, v30
	v_cmp_gt_u32_e32 vcc, 8, v30
	v_ffbh_u32_e32 v30, v24
	v_min_u32_e32 v33, 32, v30
	v_subrev_u32_e32 v30, 28, v33
	v_lshlrev_b64 v[30:31], v30, v[22:23]
	v_sub_u32_e32 v31, 29, v33
	v_and_b32_e32 v30, 7, v30
	v_cndmask_b32_e32 v31, v32, v31, vcc
	v_cndmask_b32_e32 v24, v24, v30, vcc
	v_lshlrev_b32_e32 v22, 24, v22
	v_lshlrev_b32_e32 v24, 20, v24
	v_and_b32_e32 v22, 0x80000000, v22
	v_lshl_add_u32 v30, v31, 23, v5
	v_or3_b32 v24, v22, v30, v24
.LBB6_8496:                             ;   in Loop: Header=BB6_8225 Depth=2
	s_or_b64 exec, exec, s[26:27]
.LBB6_8497:                             ;   in Loop: Header=BB6_8225 Depth=2
	s_or_b64 exec, exec, s[22:23]
.LBB6_8498:                             ;   in Loop: Header=BB6_8225 Depth=2
	s_or_b64 exec, exec, s[24:25]
	v_cmp_gt_i16_sdwa s[24:25], v2, s51 src0_sel:BYTE_0 src1_sel:DWORD
	s_mov_b64 s[22:23], 0
	s_and_saveexec_b64 s[26:27], s[24:25]
	s_xor_b64 s[24:25], exec, s[26:27]
	s_cbranch_execz .LBB6_8903
; %bb.8499:                             ;   in Loop: Header=BB6_8225 Depth=2
	v_cmp_eq_u16_sdwa vcc, v2, s49 src0_sel:BYTE_0 src1_sel:DWORD
	s_mov_b64 s[22:23], -1
	s_and_saveexec_b64 s[26:27], vcc
; %bb.8500:                             ;   in Loop: Header=BB6_8225 Depth=2
	s_xor_b64 s[22:23], exec, -1
; %bb.8501:                             ;   in Loop: Header=BB6_8225 Depth=2
	s_or_b64 exec, exec, s[26:27]
	s_and_b64 s[22:23], s[22:23], exec
                                        ; implicit-def: $vgpr2
	s_or_saveexec_b64 s[24:25], s[24:25]
	v_bfrev_b32_e32 v22, 1
	s_xor_b64 exec, exec, s[24:25]
	s_cbranch_execnz .LBB6_8904
.LBB6_8502:                             ;   in Loop: Header=BB6_8225 Depth=2
	s_or_b64 exec, exec, s[24:25]
	s_and_saveexec_b64 s[24:25], s[22:23]
.LBB6_8503:                             ;   in Loop: Header=BB6_8225 Depth=2
	v_cndmask_b32_e64 v22, v23, v54, s[20:21]
.LBB6_8504:                             ;   in Loop: Header=BB6_8225 Depth=2
	s_or_b64 exec, exec, s[24:25]
	v_max_f32_e32 v2, v22, v22
	v_max_f32_e32 v22, v24, v24
	v_min_f32_e32 v31, v22, v2
.LBB6_8505:                             ;   in Loop: Header=BB6_8225 Depth=2
	v_and_b32_e32 v2, 0x7f800000, v31
	v_cmp_ne_u64_e32 vcc, s[62:63], v[2:3]
                                        ; implicit-def: $vgpr24
	s_and_saveexec_b64 s[20:21], vcc
	s_xor_b64 s[22:23], exec, s[20:21]
	s_cbranch_execz .LBB6_8519
; %bb.8506:                             ;   in Loop: Header=BB6_8225 Depth=2
	v_and_b32_e32 v2, 0x7fffffff, v31
	v_cmp_gt_u64_e32 vcc, s[72:73], v[2:3]
	v_and_b32_sdwa v30, v31, s49 dst_sel:DWORD dst_unused:UNUSED_PAD src0_sel:BYTE_3 src1_sel:DWORD
                                        ; implicit-def: $vgpr24
	s_and_saveexec_b64 s[20:21], vcc
	s_xor_b64 s[24:25], exec, s[20:21]
	s_cbranch_execz .LBB6_8516
; %bb.8507:                             ;   in Loop: Header=BB6_8225 Depth=2
	v_mov_b32_e32 v24, 0
	v_cmp_ne_u32_e32 vcc, 0, v31
	s_and_saveexec_b64 s[26:27], vcc
	s_cbranch_execz .LBB6_8515
; %bb.8508:                             ;   in Loop: Header=BB6_8225 Depth=2
	v_and_b32_e32 v2, 0x7fffff, v31
	v_bfe_u32 v31, v31, 23, 8
	v_cmp_gt_u32_e64 s[20:21], s53, v31
	v_sub_u32_e32 v22, 0x79, v31
	v_cmp_eq_u32_e32 vcc, 0, v31
	v_cndmask_b32_e64 v22, 0, v22, s[20:21]
	v_mov_b32_e32 v24, 0x78
	v_cndmask_b32_e32 v32, v22, v24, vcc
	v_or_b32_e32 v23, 0x800000, v2
	v_add_u32_e32 v22, 20, v32
	v_cndmask_b32_e32 v2, v23, v2, vcc
	v_lshlrev_b64 v[22:23], v22, -1
	v_add_u32_e32 v24, 19, v32
	v_lshlrev_b64 v[33:34], v24, 1
	v_bfi_b32 v23, v23, 0, 0
	v_bfi_b32 v22, v22, 0, v2
	v_cmp_eq_u64_e64 s[20:21], v[22:23], v[33:34]
	v_lshrrev_b64 v[22:23], v32, v[2:3]
	v_mov_b32_e32 v24, v23
	v_mov_b32_e32 v23, v22
	s_and_saveexec_b64 s[34:35], s[20:21]
; %bb.8509:                             ;   in Loop: Header=BB6_8225 Depth=2
	v_bfe_u32 v2, v22, 20, 1
	v_add_co_u32_e64 v2, s[20:21], v22, v2
	v_add_co_u32_e64 v23, s[20:21], -1, v2
; %bb.8510:                             ;   in Loop: Header=BB6_8225 Depth=2
	s_or_b64 exec, exec, s[34:35]
	v_add_u32_e32 v2, 0xffffff81, v31
	v_cndmask_b32_e32 v2, v2, v59, vcc
	v_lshrrev_b32_e32 v24, 23, v22
	v_add3_u32 v32, v32, v2, v24
	v_add_u32_e32 v31, 6, v32
	v_and_b32_e32 v2, 0xfffff, v23
	v_add_u32_e32 v2, v2, v22
	v_cmp_ne_u32_e32 vcc, 0, v31
                                        ; implicit-def: $vgpr22_vgpr23
                                        ; implicit-def: $vgpr24
	s_and_saveexec_b64 s[20:21], vcc
	s_xor_b64 s[20:21], exec, s[20:21]
; %bb.8511:                             ;   in Loop: Header=BB6_8225 Depth=2
	v_cmp_lt_u64_e32 vcc, s[74:75], v[2:3]
	v_add_u32_e32 v22, 7, v32
	v_cndmask_b32_e32 v24, v31, v22, vcc
	v_cndmask_b32_e64 v22, 0, 1, vcc
	v_lshrrev_b64 v[22:23], v22, v[2:3]
; %bb.8512:                             ;   in Loop: Header=BB6_8225 Depth=2
	s_andn2_saveexec_b64 s[20:21], s[20:21]
; %bb.8513:                             ;   in Loop: Header=BB6_8225 Depth=2
	v_mov_b32_e32 v23, v3
	v_bfe_u32 v24, v2, 23, 1
	v_mov_b32_e32 v22, v2
; %bb.8514:                             ;   in Loop: Header=BB6_8225 Depth=2
	s_or_b64 exec, exec, s[20:21]
	v_lshrrev_b64 v[22:23], 20, v[22:23]
	v_cmp_gt_i32_e32 vcc, 16, v24
	v_cndmask_b32_e32 v23, 0, v23, vcc
	v_cndmask_b32_e32 v22, 7, v22, vcc
	v_min_i32_e32 v2, 15, v24
	v_cmp_eq_u64_e64 s[20:21], 0, v[22:23]
	v_lshlrev_b32_e32 v2, 3, v2
	v_cmp_eq_u32_e32 vcc, 0, v24
	v_and_b32_e32 v2, 0xf8, v2
	v_and_or_b32 v2, v22, 7, v2
	s_and_b64 s[20:21], vcc, s[20:21]
	v_cndmask_b32_e64 v2, v2, 0, s[20:21]
	v_or_b32_e32 v24, v2, v30
.LBB6_8515:                             ;   in Loop: Header=BB6_8225 Depth=2
	s_or_b64 exec, exec, s[26:27]
                                        ; implicit-def: $vgpr30
.LBB6_8516:                             ;   in Loop: Header=BB6_8225 Depth=2
	s_andn2_saveexec_b64 s[20:21], s[24:25]
; %bb.8517:                             ;   in Loop: Header=BB6_8225 Depth=2
	v_or_b32_e32 v24, 0x7e, v30
; %bb.8518:                             ;   in Loop: Header=BB6_8225 Depth=2
	s_or_b64 exec, exec, s[20:21]
                                        ; implicit-def: $vgpr31
.LBB6_8519:                             ;   in Loop: Header=BB6_8225 Depth=2
	s_andn2_saveexec_b64 s[20:21], s[22:23]
; %bb.8520:                             ;   in Loop: Header=BB6_8225 Depth=2
	v_or_b32_sdwa v24, v31, s51 dst_sel:DWORD dst_unused:UNUSED_PAD src0_sel:BYTE_3 src1_sel:DWORD
; %bb.8521:                             ;   in Loop: Header=BB6_8225 Depth=2
	s_or_b64 exec, exec, s[20:21]
	v_cmp_gt_u64_e64 s[20:21], s[56:57], v[14:15]
	v_bfe_u32 v14, v15, 24, 3
	v_bfe_u32 v23, v15, 24, 7
	v_cmp_eq_u32_e64 s[24:25], s51, v23
	v_cmp_gt_u32_e32 vcc, 8, v23
	v_ffbh_u32_e32 v23, v14
	v_min_u32_e32 v31, 32, v23
	v_lshrrev_b32_e32 v22, 24, v15
	v_subrev_u32_e32 v23, 28, v31
	v_bfe_u32 v30, v22, 3, 4
	v_cmp_eq_u32_e64 s[22:23], s49, v22
	v_lshlrev_b64 v[22:23], v23, v[22:23]
	v_sub_u32_e32 v23, 29, v31
	v_and_b32_e32 v22, 7, v22
	v_cndmask_b32_e32 v23, v30, v23, vcc
	v_cndmask_b32_e32 v14, v14, v22, vcc
	v_lshlrev_b32_e32 v14, 20, v14
	v_and_b32_e32 v15, 0x80000000, v15
	v_lshl_add_u32 v22, v23, 23, v5
	v_cmp_lt_u64_e64 s[26:27], s[76:77], v[10:11]
	v_lshrrev_b32_e32 v2, 24, v11
	v_or3_b32 v14, v15, v22, v14
	s_mov_b64 s[34:35], -1
	s_and_b64 vcc, exec, s[30:31]
                                        ; implicit-def: $vgpr10
	s_cbranch_vccz .LBB6_8529
; %bb.8522:                             ;   in Loop: Header=BB6_8225 Depth=2
	v_mov_b32_e32 v10, 0
	s_and_saveexec_b64 s[34:35], s[26:27]
	s_cbranch_execz .LBB6_8528
; %bb.8523:                             ;   in Loop: Header=BB6_8225 Depth=2
	v_cmp_ne_u32_e32 vcc, s49, v2
	v_bfrev_b32_e32 v10, 1
	s_and_saveexec_b64 s[36:37], vcc
	s_cbranch_execz .LBB6_8527
; %bb.8524:                             ;   in Loop: Header=BB6_8225 Depth=2
	v_bfe_u32 v15, v11, 24, 7
	v_cmp_ne_u32_e32 vcc, s51, v15
	v_mov_b32_e32 v10, 0x7f800001
	s_and_saveexec_b64 s[38:39], vcc
	s_cbranch_execz .LBB6_8526
; %bb.8525:                             ;   in Loop: Header=BB6_8225 Depth=2
	v_and_b32_e32 v10, 7, v2
	v_lshrrev_b32_e32 v30, 3, v15
	v_cmp_gt_u32_e32 vcc, 8, v15
	v_ffbh_u32_e32 v15, v10
	v_min_u32_e32 v15, 32, v15
	v_subrev_u32_e32 v22, 28, v15
	v_lshlrev_b64 v[22:23], v22, v[2:3]
	v_sub_u32_e32 v15, 29, v15
	v_and_b32_e32 v22, 7, v22
	v_cndmask_b32_e32 v15, v30, v15, vcc
	v_cndmask_b32_e32 v10, v10, v22, vcc
	v_lshlrev_b32_e32 v22, 24, v2
	v_lshlrev_b32_e32 v10, 20, v10
	v_and_b32_e32 v22, 0x80000000, v22
	v_lshl_add_u32 v15, v15, 23, v5
	v_or3_b32 v10, v22, v15, v10
.LBB6_8526:                             ;   in Loop: Header=BB6_8225 Depth=2
	s_or_b64 exec, exec, s[38:39]
.LBB6_8527:                             ;   in Loop: Header=BB6_8225 Depth=2
	s_or_b64 exec, exec, s[36:37]
.LBB6_8528:                             ;   in Loop: Header=BB6_8225 Depth=2
	s_or_b64 exec, exec, s[34:35]
	v_cndmask_b32_e64 v15, v14, v54, s[24:25]
	v_cndmask_b32_e64 v15, v15, v48, s[22:23]
	;; [unrolled: 1-line block ×3, first 2 shown]
	v_max_f32_e32 v15, v15, v15
	v_max_f32_e32 v10, v10, v10
	;; [unrolled: 1-line block ×3, first 2 shown]
	s_mov_b64 s[34:35], 0
.LBB6_8529:                             ;   in Loop: Header=BB6_8225 Depth=2
	s_and_b64 vcc, exec, s[34:35]
	s_cbranch_vccz .LBB6_8537
; %bb.8530:                             ;   in Loop: Header=BB6_8225 Depth=2
	v_mov_b32_e32 v10, 0
	s_and_saveexec_b64 s[34:35], s[26:27]
	s_cbranch_execz .LBB6_8536
; %bb.8531:                             ;   in Loop: Header=BB6_8225 Depth=2
	v_cmp_ne_u32_e32 vcc, s49, v2
	v_bfrev_b32_e32 v10, 1
	s_and_saveexec_b64 s[26:27], vcc
	s_cbranch_execz .LBB6_8535
; %bb.8532:                             ;   in Loop: Header=BB6_8225 Depth=2
	v_bfe_u32 v11, v11, 24, 7
	v_cmp_ne_u32_e32 vcc, s51, v11
	v_mov_b32_e32 v10, 0x7f800001
	s_and_saveexec_b64 s[36:37], vcc
	s_cbranch_execz .LBB6_8534
; %bb.8533:                             ;   in Loop: Header=BB6_8225 Depth=2
	v_and_b32_e32 v15, 7, v2
	v_ffbh_u32_e32 v10, v15
	v_min_u32_e32 v23, 32, v10
	v_subrev_u32_e32 v10, 28, v23
	v_lshrrev_b32_e32 v22, 3, v11
	v_cmp_gt_u32_e32 vcc, 8, v11
	v_lshlrev_b64 v[10:11], v10, v[2:3]
	v_sub_u32_e32 v11, 29, v23
	v_and_b32_e32 v10, 7, v10
	v_cndmask_b32_e32 v11, v22, v11, vcc
	v_cndmask_b32_e32 v10, v15, v10, vcc
	v_lshlrev_b32_e32 v2, 24, v2
	v_lshlrev_b32_e32 v10, 20, v10
	v_and_b32_e32 v2, 0x80000000, v2
	v_lshl_add_u32 v11, v11, 23, v5
	v_or3_b32 v10, v2, v11, v10
.LBB6_8534:                             ;   in Loop: Header=BB6_8225 Depth=2
	s_or_b64 exec, exec, s[36:37]
.LBB6_8535:                             ;   in Loop: Header=BB6_8225 Depth=2
	s_or_b64 exec, exec, s[26:27]
.LBB6_8536:                             ;   in Loop: Header=BB6_8225 Depth=2
	s_or_b64 exec, exec, s[34:35]
	v_cndmask_b32_e64 v2, v14, v54, s[24:25]
	v_cndmask_b32_e64 v2, v2, v48, s[22:23]
	;; [unrolled: 1-line block ×3, first 2 shown]
	v_max_f32_e32 v2, v2, v2
	v_max_f32_e32 v10, v10, v10
	v_min_f32_e32 v10, v10, v2
.LBB6_8537:                             ;   in Loop: Header=BB6_8225 Depth=2
	v_and_b32_e32 v2, 0x7f800000, v10
	v_cmp_ne_u64_e32 vcc, s[62:63], v[2:3]
                                        ; implicit-def: $vgpr30
	s_and_saveexec_b64 s[20:21], vcc
	s_xor_b64 s[22:23], exec, s[20:21]
	s_cbranch_execz .LBB6_8551
; %bb.8538:                             ;   in Loop: Header=BB6_8225 Depth=2
	v_and_b32_e32 v2, 0x7fffffff, v10
	v_cmp_gt_u64_e32 vcc, s[72:73], v[2:3]
	v_and_b32_sdwa v22, v10, s49 dst_sel:DWORD dst_unused:UNUSED_PAD src0_sel:BYTE_3 src1_sel:DWORD
                                        ; implicit-def: $vgpr30
	s_and_saveexec_b64 s[20:21], vcc
	s_xor_b64 s[24:25], exec, s[20:21]
	s_cbranch_execz .LBB6_8548
; %bb.8539:                             ;   in Loop: Header=BB6_8225 Depth=2
	v_mov_b32_e32 v30, 0
	v_cmp_ne_u32_e32 vcc, 0, v10
	s_and_saveexec_b64 s[26:27], vcc
	s_cbranch_execz .LBB6_8547
; %bb.8540:                             ;   in Loop: Header=BB6_8225 Depth=2
	v_bfe_u32 v23, v10, 23, 8
	v_and_b32_e32 v2, 0x7fffff, v10
	v_cmp_gt_u32_e64 s[20:21], s53, v23
	v_sub_u32_e32 v10, 0x79, v23
	v_cmp_eq_u32_e32 vcc, 0, v23
	v_cndmask_b32_e64 v10, 0, v10, s[20:21]
	v_mov_b32_e32 v14, 0x78
	v_cndmask_b32_e32 v30, v10, v14, vcc
	v_or_b32_e32 v11, 0x800000, v2
	v_add_u32_e32 v10, 20, v30
	v_cndmask_b32_e32 v2, v11, v2, vcc
	v_lshlrev_b64 v[10:11], v10, -1
	v_add_u32_e32 v14, 19, v30
	v_lshlrev_b64 v[14:15], v14, 1
	v_bfi_b32 v11, v11, 0, 0
	v_bfi_b32 v10, v10, 0, v2
	v_cmp_eq_u64_e64 s[20:21], v[10:11], v[14:15]
	v_lshrrev_b64 v[10:11], v30, v[2:3]
	v_mov_b32_e32 v15, v11
	v_mov_b32_e32 v14, v10
	s_and_saveexec_b64 s[34:35], s[20:21]
; %bb.8541:                             ;   in Loop: Header=BB6_8225 Depth=2
	v_bfe_u32 v2, v10, 20, 1
	v_add_co_u32_e64 v2, s[20:21], v10, v2
	v_add_co_u32_e64 v14, s[20:21], -1, v2
; %bb.8542:                             ;   in Loop: Header=BB6_8225 Depth=2
	s_or_b64 exec, exec, s[34:35]
	v_add_u32_e32 v2, 0xffffff81, v23
	v_cndmask_b32_e32 v2, v2, v59, vcc
	v_lshrrev_b32_e32 v11, 23, v10
	v_add3_u32 v23, v30, v2, v11
	v_add_u32_e32 v15, 6, v23
	v_and_b32_e32 v2, 0xfffff, v14
	v_add_u32_e32 v2, v2, v10
	v_cmp_ne_u32_e32 vcc, 0, v15
                                        ; implicit-def: $vgpr10_vgpr11
                                        ; implicit-def: $vgpr14
	s_and_saveexec_b64 s[20:21], vcc
	s_xor_b64 s[20:21], exec, s[20:21]
; %bb.8543:                             ;   in Loop: Header=BB6_8225 Depth=2
	v_cmp_lt_u64_e32 vcc, s[74:75], v[2:3]
	v_add_u32_e32 v10, 7, v23
	v_cndmask_b32_e32 v14, v15, v10, vcc
	v_cndmask_b32_e64 v10, 0, 1, vcc
	v_lshrrev_b64 v[10:11], v10, v[2:3]
; %bb.8544:                             ;   in Loop: Header=BB6_8225 Depth=2
	s_andn2_saveexec_b64 s[20:21], s[20:21]
; %bb.8545:                             ;   in Loop: Header=BB6_8225 Depth=2
	v_mov_b32_e32 v11, v3
	v_bfe_u32 v14, v2, 23, 1
	v_mov_b32_e32 v10, v2
; %bb.8546:                             ;   in Loop: Header=BB6_8225 Depth=2
	s_or_b64 exec, exec, s[20:21]
	v_lshrrev_b64 v[10:11], 20, v[10:11]
	v_cmp_gt_i32_e32 vcc, 16, v14
	v_cndmask_b32_e32 v11, 0, v11, vcc
	v_cndmask_b32_e32 v10, 7, v10, vcc
	v_min_i32_e32 v2, 15, v14
	v_cmp_eq_u64_e64 s[20:21], 0, v[10:11]
	v_lshlrev_b32_e32 v2, 3, v2
	v_cmp_eq_u32_e32 vcc, 0, v14
	v_and_b32_e32 v2, 0xf8, v2
	v_and_or_b32 v2, v10, 7, v2
	s_and_b64 s[20:21], vcc, s[20:21]
	v_cndmask_b32_e64 v2, v2, 0, s[20:21]
	v_or_b32_e32 v30, v2, v22
.LBB6_8547:                             ;   in Loop: Header=BB6_8225 Depth=2
	s_or_b64 exec, exec, s[26:27]
                                        ; implicit-def: $vgpr22
.LBB6_8548:                             ;   in Loop: Header=BB6_8225 Depth=2
	s_andn2_saveexec_b64 s[20:21], s[24:25]
; %bb.8549:                             ;   in Loop: Header=BB6_8225 Depth=2
	v_or_b32_e32 v30, 0x7e, v22
; %bb.8550:                             ;   in Loop: Header=BB6_8225 Depth=2
	s_or_b64 exec, exec, s[20:21]
                                        ; implicit-def: $vgpr10
.LBB6_8551:                             ;   in Loop: Header=BB6_8225 Depth=2
	s_andn2_saveexec_b64 s[20:21], s[22:23]
; %bb.8552:                             ;   in Loop: Header=BB6_8225 Depth=2
	v_or_b32_sdwa v30, v10, s51 dst_sel:DWORD dst_unused:UNUSED_PAD src0_sel:BYTE_3 src1_sel:DWORD
; %bb.8553:                             ;   in Loop: Header=BB6_8225 Depth=2
	s_or_b64 exec, exec, s[20:21]
	v_and_b32_e32 v2, 7, v16
	v_ffbh_u32_e32 v2, v2
	v_and_b32_e32 v10, 0x7f, v16
	v_min_u32_e32 v2, 32, v2
	v_cmp_eq_u32_e64 s[20:21], s51, v10
	v_cmp_gt_u32_e32 vcc, 8, v10
	v_subrev_u32_e32 v10, 28, v2
	v_bfe_u32 v11, v16, 3, 4
	v_sub_u32_e32 v2, 29, v2
	v_cndmask_b32_e32 v10, 0, v10, vcc
	v_cndmask_b32_e32 v2, v11, v2, vcc
	v_lshlrev_b64 v[10:11], v10, v[16:17]
	v_lshlrev_b32_e32 v11, 24, v16
	v_lshlrev_b32_e32 v10, 20, v10
	v_and_b32_e32 v10, 0x700000, v10
	v_and_b32_e32 v11, 0x80000000, v11
	v_lshl_add_u32 v2, v2, 23, v5
	v_or3_b32 v2, v11, v2, v10
	v_cmp_ne_u16_sdwa s[22:23], v12, v3 src0_sel:BYTE_0 src1_sel:DWORD
	s_mov_b64 s[24:25], -1
	s_and_b64 vcc, exec, s[30:31]
                                        ; implicit-def: $vgpr10
	s_cbranch_vccz .LBB6_8567
; %bb.8554:                             ;   in Loop: Header=BB6_8225 Depth=2
	v_mov_b32_e32 v10, 0
	s_and_saveexec_b64 s[24:25], s[22:23]
	s_cbranch_execz .LBB6_8560
; %bb.8555:                             ;   in Loop: Header=BB6_8225 Depth=2
	v_cmp_ne_u16_sdwa vcc, v12, s49 src0_sel:BYTE_0 src1_sel:DWORD
	v_bfrev_b32_e32 v10, 1
	s_and_saveexec_b64 s[26:27], vcc
	s_cbranch_execz .LBB6_8559
; %bb.8556:                             ;   in Loop: Header=BB6_8225 Depth=2
	v_and_b32_e32 v11, 0x7f, v12
	v_cmp_ne_u32_e32 vcc, s51, v11
	v_mov_b32_e32 v10, 0x7f800001
	s_and_saveexec_b64 s[34:35], vcc
	s_cbranch_execz .LBB6_8558
; %bb.8557:                             ;   in Loop: Header=BB6_8225 Depth=2
	v_and_b32_e32 v10, 7, v12
	v_ffbh_u32_e32 v10, v10
	v_min_u32_e32 v10, 32, v10
	v_lshrrev_b32_e32 v14, 3, v11
	v_cmp_gt_u32_e32 vcc, 8, v11
	v_subrev_u32_e32 v11, 28, v10
	v_sub_u32_e32 v10, 29, v10
	v_cndmask_b32_e32 v14, v14, v10, vcc
	v_cndmask_b32_e32 v10, 0, v11, vcc
	v_lshlrev_b64 v[10:11], v10, v[12:13]
	v_lshlrev_b32_e32 v11, 24, v12
	v_lshlrev_b32_e32 v10, 20, v10
	v_and_b32_e32 v10, 0x700000, v10
	v_and_b32_e32 v11, 0x80000000, v11
	v_lshl_add_u32 v14, v14, 23, v5
	v_or3_b32 v10, v11, v14, v10
.LBB6_8558:                             ;   in Loop: Header=BB6_8225 Depth=2
	s_or_b64 exec, exec, s[34:35]
.LBB6_8559:                             ;   in Loop: Header=BB6_8225 Depth=2
	s_or_b64 exec, exec, s[26:27]
.LBB6_8560:                             ;   in Loop: Header=BB6_8225 Depth=2
	s_or_b64 exec, exec, s[24:25]
	v_cmp_gt_i16_sdwa s[26:27], v16, s51 src0_sel:BYTE_0 src1_sel:DWORD
	s_mov_b64 s[24:25], 0
	s_and_saveexec_b64 vcc, s[26:27]
	s_xor_b64 s[26:27], exec, vcc
	s_cbranch_execz .LBB6_8905
; %bb.8561:                             ;   in Loop: Header=BB6_8225 Depth=2
	v_cmp_eq_u16_sdwa s[34:35], v16, s49 src0_sel:BYTE_0 src1_sel:DWORD
	s_mov_b64 s[24:25], -1
	s_and_saveexec_b64 vcc, s[34:35]
; %bb.8562:                             ;   in Loop: Header=BB6_8225 Depth=2
	s_xor_b64 s[24:25], exec, -1
; %bb.8563:                             ;   in Loop: Header=BB6_8225 Depth=2
	s_or_b64 exec, exec, vcc
	s_and_b64 s[24:25], s[24:25], exec
	s_or_saveexec_b64 s[26:27], s[26:27]
	v_bfrev_b32_e32 v11, 1
	s_xor_b64 exec, exec, s[26:27]
	s_cbranch_execnz .LBB6_8906
.LBB6_8564:                             ;   in Loop: Header=BB6_8225 Depth=2
	s_or_b64 exec, exec, s[26:27]
	s_and_saveexec_b64 s[26:27], s[24:25]
.LBB6_8565:                             ;   in Loop: Header=BB6_8225 Depth=2
	v_cndmask_b32_e64 v11, v2, v54, s[20:21]
.LBB6_8566:                             ;   in Loop: Header=BB6_8225 Depth=2
	s_or_b64 exec, exec, s[26:27]
	v_max_f32_e32 v11, v11, v11
	v_max_f32_e32 v10, v10, v10
	;; [unrolled: 1-line block ×3, first 2 shown]
	s_mov_b64 s[24:25], 0
.LBB6_8567:                             ;   in Loop: Header=BB6_8225 Depth=2
	s_and_b64 vcc, exec, s[24:25]
	s_cbranch_vccz .LBB6_8581
; %bb.8568:                             ;   in Loop: Header=BB6_8225 Depth=2
	v_mov_b32_e32 v10, 0
	s_and_saveexec_b64 s[24:25], s[22:23]
	s_cbranch_execz .LBB6_8574
; %bb.8569:                             ;   in Loop: Header=BB6_8225 Depth=2
	v_cmp_ne_u16_sdwa s[26:27], v12, s49 src0_sel:BYTE_0 src1_sel:DWORD
	v_bfrev_b32_e32 v10, 1
	s_and_saveexec_b64 s[22:23], s[26:27]
	s_cbranch_execz .LBB6_8573
; %bb.8570:                             ;   in Loop: Header=BB6_8225 Depth=2
	v_and_b32_e32 v11, 0x7f, v12
	v_cmp_ne_u32_e32 vcc, s51, v11
	v_mov_b32_e32 v10, 0x7f800001
	s_and_saveexec_b64 s[26:27], vcc
	s_cbranch_execz .LBB6_8572
; %bb.8571:                             ;   in Loop: Header=BB6_8225 Depth=2
	v_and_b32_e32 v10, 7, v12
	v_ffbh_u32_e32 v10, v10
	v_min_u32_e32 v10, 32, v10
	v_lshrrev_b32_e32 v14, 3, v11
	v_cmp_gt_u32_e32 vcc, 8, v11
	v_subrev_u32_e32 v11, 28, v10
	v_sub_u32_e32 v10, 29, v10
	v_cndmask_b32_e32 v14, v14, v10, vcc
	v_cndmask_b32_e32 v10, 0, v11, vcc
	v_lshlrev_b64 v[10:11], v10, v[12:13]
	v_lshlrev_b32_e32 v11, 24, v12
	v_lshlrev_b32_e32 v10, 20, v10
	v_and_b32_e32 v10, 0x700000, v10
	v_and_b32_e32 v11, 0x80000000, v11
	v_lshl_add_u32 v14, v14, 23, v5
	v_or3_b32 v10, v11, v14, v10
.LBB6_8572:                             ;   in Loop: Header=BB6_8225 Depth=2
	s_or_b64 exec, exec, s[26:27]
.LBB6_8573:                             ;   in Loop: Header=BB6_8225 Depth=2
	s_or_b64 exec, exec, s[22:23]
.LBB6_8574:                             ;   in Loop: Header=BB6_8225 Depth=2
	s_or_b64 exec, exec, s[24:25]
	v_cmp_gt_i16_sdwa s[24:25], v16, s51 src0_sel:BYTE_0 src1_sel:DWORD
	s_mov_b64 s[22:23], 0
	s_and_saveexec_b64 s[26:27], s[24:25]
	s_xor_b64 s[24:25], exec, s[26:27]
	s_cbranch_execz .LBB6_8907
; %bb.8575:                             ;   in Loop: Header=BB6_8225 Depth=2
	v_cmp_eq_u16_sdwa vcc, v16, s49 src0_sel:BYTE_0 src1_sel:DWORD
	s_mov_b64 s[22:23], -1
	s_and_saveexec_b64 s[26:27], vcc
; %bb.8576:                             ;   in Loop: Header=BB6_8225 Depth=2
	s_xor_b64 s[22:23], exec, -1
; %bb.8577:                             ;   in Loop: Header=BB6_8225 Depth=2
	s_or_b64 exec, exec, s[26:27]
	s_and_b64 s[22:23], s[22:23], exec
	s_or_saveexec_b64 s[24:25], s[24:25]
	v_bfrev_b32_e32 v11, 1
	s_xor_b64 exec, exec, s[24:25]
	s_cbranch_execnz .LBB6_8908
.LBB6_8578:                             ;   in Loop: Header=BB6_8225 Depth=2
	s_or_b64 exec, exec, s[24:25]
	s_and_saveexec_b64 s[24:25], s[22:23]
.LBB6_8579:                             ;   in Loop: Header=BB6_8225 Depth=2
	v_cndmask_b32_e64 v11, v2, v54, s[20:21]
.LBB6_8580:                             ;   in Loop: Header=BB6_8225 Depth=2
	s_or_b64 exec, exec, s[24:25]
	v_max_f32_e32 v2, v11, v11
	v_max_f32_e32 v10, v10, v10
	v_min_f32_e32 v10, v10, v2
.LBB6_8581:                             ;   in Loop: Header=BB6_8225 Depth=2
	v_and_b32_e32 v2, 0x7f800000, v10
	v_cmp_ne_u64_e32 vcc, s[62:63], v[2:3]
                                        ; implicit-def: $vgpr31
	s_and_saveexec_b64 s[20:21], vcc
	s_xor_b64 s[22:23], exec, s[20:21]
	s_cbranch_execz .LBB6_8595
; %bb.8582:                             ;   in Loop: Header=BB6_8225 Depth=2
	v_and_b32_e32 v2, 0x7fffffff, v10
	v_cmp_gt_u64_e32 vcc, s[72:73], v[2:3]
	v_and_b32_sdwa v22, v10, s49 dst_sel:DWORD dst_unused:UNUSED_PAD src0_sel:BYTE_3 src1_sel:DWORD
                                        ; implicit-def: $vgpr31
	s_and_saveexec_b64 s[20:21], vcc
	s_xor_b64 s[24:25], exec, s[20:21]
	s_cbranch_execz .LBB6_8592
; %bb.8583:                             ;   in Loop: Header=BB6_8225 Depth=2
	v_mov_b32_e32 v31, 0
	v_cmp_ne_u32_e32 vcc, 0, v10
	s_and_saveexec_b64 s[26:27], vcc
	s_cbranch_execz .LBB6_8591
; %bb.8584:                             ;   in Loop: Header=BB6_8225 Depth=2
	v_bfe_u32 v23, v10, 23, 8
	v_and_b32_e32 v2, 0x7fffff, v10
	v_cmp_gt_u32_e64 s[20:21], s53, v23
	v_sub_u32_e32 v10, 0x79, v23
	v_cmp_eq_u32_e32 vcc, 0, v23
	v_cndmask_b32_e64 v10, 0, v10, s[20:21]
	v_mov_b32_e32 v14, 0x78
	v_cndmask_b32_e32 v31, v10, v14, vcc
	v_or_b32_e32 v11, 0x800000, v2
	v_add_u32_e32 v10, 20, v31
	v_cndmask_b32_e32 v2, v11, v2, vcc
	v_lshlrev_b64 v[10:11], v10, -1
	v_add_u32_e32 v14, 19, v31
	v_lshlrev_b64 v[14:15], v14, 1
	v_bfi_b32 v11, v11, 0, 0
	v_bfi_b32 v10, v10, 0, v2
	v_cmp_eq_u64_e64 s[20:21], v[10:11], v[14:15]
	v_lshrrev_b64 v[10:11], v31, v[2:3]
	v_mov_b32_e32 v15, v11
	v_mov_b32_e32 v14, v10
	s_and_saveexec_b64 s[34:35], s[20:21]
; %bb.8585:                             ;   in Loop: Header=BB6_8225 Depth=2
	v_bfe_u32 v2, v10, 20, 1
	v_add_co_u32_e64 v2, s[20:21], v10, v2
	v_add_co_u32_e64 v14, s[20:21], -1, v2
; %bb.8586:                             ;   in Loop: Header=BB6_8225 Depth=2
	s_or_b64 exec, exec, s[34:35]
	v_add_u32_e32 v2, 0xffffff81, v23
	v_cndmask_b32_e32 v2, v2, v59, vcc
	v_lshrrev_b32_e32 v11, 23, v10
	v_add3_u32 v23, v31, v2, v11
	v_add_u32_e32 v15, 6, v23
	v_and_b32_e32 v2, 0xfffff, v14
	v_add_u32_e32 v2, v2, v10
	v_cmp_ne_u32_e32 vcc, 0, v15
                                        ; implicit-def: $vgpr10_vgpr11
                                        ; implicit-def: $vgpr14
	s_and_saveexec_b64 s[20:21], vcc
	s_xor_b64 s[20:21], exec, s[20:21]
; %bb.8587:                             ;   in Loop: Header=BB6_8225 Depth=2
	v_cmp_lt_u64_e32 vcc, s[74:75], v[2:3]
	v_add_u32_e32 v10, 7, v23
	v_cndmask_b32_e32 v14, v15, v10, vcc
	v_cndmask_b32_e64 v10, 0, 1, vcc
	v_lshrrev_b64 v[10:11], v10, v[2:3]
; %bb.8588:                             ;   in Loop: Header=BB6_8225 Depth=2
	s_andn2_saveexec_b64 s[20:21], s[20:21]
; %bb.8589:                             ;   in Loop: Header=BB6_8225 Depth=2
	v_mov_b32_e32 v11, v3
	v_bfe_u32 v14, v2, 23, 1
	v_mov_b32_e32 v10, v2
; %bb.8590:                             ;   in Loop: Header=BB6_8225 Depth=2
	s_or_b64 exec, exec, s[20:21]
	v_lshrrev_b64 v[10:11], 20, v[10:11]
	v_cmp_gt_i32_e32 vcc, 16, v14
	v_cndmask_b32_e32 v11, 0, v11, vcc
	v_cndmask_b32_e32 v10, 7, v10, vcc
	v_min_i32_e32 v2, 15, v14
	v_cmp_eq_u64_e64 s[20:21], 0, v[10:11]
	v_lshlrev_b32_e32 v2, 3, v2
	v_cmp_eq_u32_e32 vcc, 0, v14
	v_and_b32_e32 v2, 0xf8, v2
	v_and_or_b32 v2, v10, 7, v2
	s_and_b64 s[20:21], vcc, s[20:21]
	v_cndmask_b32_e64 v2, v2, 0, s[20:21]
	v_or_b32_e32 v31, v2, v22
.LBB6_8591:                             ;   in Loop: Header=BB6_8225 Depth=2
	s_or_b64 exec, exec, s[26:27]
                                        ; implicit-def: $vgpr22
.LBB6_8592:                             ;   in Loop: Header=BB6_8225 Depth=2
	s_andn2_saveexec_b64 s[20:21], s[24:25]
; %bb.8593:                             ;   in Loop: Header=BB6_8225 Depth=2
	v_or_b32_e32 v31, 0x7e, v22
; %bb.8594:                             ;   in Loop: Header=BB6_8225 Depth=2
	s_or_b64 exec, exec, s[20:21]
                                        ; implicit-def: $vgpr10
.LBB6_8595:                             ;   in Loop: Header=BB6_8225 Depth=2
	s_andn2_saveexec_b64 s[20:21], s[22:23]
; %bb.8596:                             ;   in Loop: Header=BB6_8225 Depth=2
	v_or_b32_sdwa v31, v10, s51 dst_sel:DWORD dst_unused:UNUSED_PAD src0_sel:BYTE_3 src1_sel:DWORD
; %bb.8597:                             ;   in Loop: Header=BB6_8225 Depth=2
	s_or_b64 exec, exec, s[20:21]
	v_lshrrev_b16_e32 v2, 8, v16
	v_and_b32_e32 v11, 7, v2
	v_and_b32_e32 v14, 0x7f, v2
	v_cmp_eq_u32_e64 s[20:21], s51, v14
	v_cmp_gt_u32_e32 vcc, 8, v14
	v_ffbh_u32_e32 v14, v11
	v_min_u32_e32 v23, 32, v14
	v_subrev_u32_e32 v14, 28, v23
	v_lshlrev_b64 v[14:15], v14, v[2:3]
	v_bfe_u32 v22, v2, 3, 4
	v_sub_u32_e32 v15, 29, v23
	v_and_b32_e32 v14, 7, v14
	v_cndmask_b32_e32 v15, v22, v15, vcc
	v_cndmask_b32_e32 v11, v11, v14, vcc
	v_lshlrev_b32_e32 v14, 24, v2
	v_lshrrev_b16_e32 v10, 8, v12
	v_lshlrev_b32_e32 v11, 20, v11
	v_and_b32_e32 v14, 0x80000000, v14
	v_lshl_add_u32 v15, v15, 23, v5
	v_or3_b32 v11, v14, v15, v11
	v_cmp_ne_u16_e64 s[22:23], 0, v10
	s_mov_b64 s[24:25], -1
	s_and_b64 vcc, exec, s[30:31]
                                        ; implicit-def: $vgpr14
	s_cbranch_vccz .LBB6_8611
; %bb.8598:                             ;   in Loop: Header=BB6_8225 Depth=2
	v_mov_b32_e32 v14, 0
	s_and_saveexec_b64 s[24:25], s[22:23]
	s_cbranch_execz .LBB6_8604
; %bb.8599:                             ;   in Loop: Header=BB6_8225 Depth=2
	v_cmp_ne_u16_e32 vcc, s49, v10
	v_bfrev_b32_e32 v14, 1
	s_and_saveexec_b64 s[26:27], vcc
	s_cbranch_execz .LBB6_8603
; %bb.8600:                             ;   in Loop: Header=BB6_8225 Depth=2
	v_and_b32_e32 v15, 0x7f, v10
	v_cmp_ne_u32_e32 vcc, s51, v15
	v_mov_b32_e32 v14, 0x7f800001
	s_and_saveexec_b64 s[34:35], vcc
	s_cbranch_execz .LBB6_8602
; %bb.8601:                             ;   in Loop: Header=BB6_8225 Depth=2
	v_and_b32_e32 v22, 7, v10
	v_ffbh_u32_e32 v14, v22
	v_min_u32_e32 v32, 32, v14
	v_subrev_u32_e32 v14, 28, v32
	v_lshrrev_b32_e32 v23, 3, v15
	v_cmp_gt_u32_e32 vcc, 8, v15
	v_lshlrev_b64 v[14:15], v14, v[10:11]
	v_sub_u32_e32 v15, 29, v32
	v_and_b32_e32 v14, 7, v14
	v_cndmask_b32_e32 v15, v23, v15, vcc
	v_cndmask_b32_e32 v14, v22, v14, vcc
	v_lshlrev_b32_e32 v22, 16, v12
	v_lshlrev_b32_e32 v14, 20, v14
	v_and_b32_e32 v22, 0x80000000, v22
	v_lshl_add_u32 v15, v15, 23, v5
	v_or3_b32 v14, v22, v15, v14
.LBB6_8602:                             ;   in Loop: Header=BB6_8225 Depth=2
	s_or_b64 exec, exec, s[34:35]
.LBB6_8603:                             ;   in Loop: Header=BB6_8225 Depth=2
	s_or_b64 exec, exec, s[26:27]
.LBB6_8604:                             ;   in Loop: Header=BB6_8225 Depth=2
	s_or_b64 exec, exec, s[24:25]
	v_cmp_lt_i16_e32 vcc, s51, v2
	s_mov_b64 s[24:25], 0
	s_and_saveexec_b64 s[26:27], vcc
	s_xor_b64 s[26:27], exec, s[26:27]
	s_cbranch_execz .LBB6_8909
; %bb.8605:                             ;   in Loop: Header=BB6_8225 Depth=2
	v_cmp_eq_u16_e32 vcc, s49, v2
	s_mov_b64 s[24:25], -1
	s_and_saveexec_b64 s[34:35], vcc
; %bb.8606:                             ;   in Loop: Header=BB6_8225 Depth=2
	s_xor_b64 s[24:25], exec, -1
; %bb.8607:                             ;   in Loop: Header=BB6_8225 Depth=2
	s_or_b64 exec, exec, s[34:35]
	s_and_b64 s[24:25], s[24:25], exec
	s_or_saveexec_b64 s[26:27], s[26:27]
	v_bfrev_b32_e32 v15, 1
	s_xor_b64 exec, exec, s[26:27]
	s_cbranch_execnz .LBB6_8910
.LBB6_8608:                             ;   in Loop: Header=BB6_8225 Depth=2
	s_or_b64 exec, exec, s[26:27]
	s_and_saveexec_b64 s[26:27], s[24:25]
.LBB6_8609:                             ;   in Loop: Header=BB6_8225 Depth=2
	v_cndmask_b32_e64 v15, v11, v54, s[20:21]
.LBB6_8610:                             ;   in Loop: Header=BB6_8225 Depth=2
	s_or_b64 exec, exec, s[26:27]
	v_max_f32_e32 v15, v15, v15
	v_max_f32_e32 v14, v14, v14
	;; [unrolled: 1-line block ×3, first 2 shown]
	s_mov_b64 s[24:25], 0
.LBB6_8611:                             ;   in Loop: Header=BB6_8225 Depth=2
	s_and_b64 vcc, exec, s[24:25]
	s_cbranch_vccz .LBB6_8625
; %bb.8612:                             ;   in Loop: Header=BB6_8225 Depth=2
	v_mov_b32_e32 v14, 0
	s_and_saveexec_b64 s[24:25], s[22:23]
	s_cbranch_execz .LBB6_8618
; %bb.8613:                             ;   in Loop: Header=BB6_8225 Depth=2
	v_cmp_ne_u16_e32 vcc, s49, v10
	v_bfrev_b32_e32 v14, 1
	s_and_saveexec_b64 s[22:23], vcc
	s_cbranch_execz .LBB6_8617
; %bb.8614:                             ;   in Loop: Header=BB6_8225 Depth=2
	v_and_b32_e32 v15, 0x7f, v10
	v_cmp_ne_u32_e32 vcc, s51, v15
	v_mov_b32_e32 v14, 0x7f800001
	s_and_saveexec_b64 s[26:27], vcc
	s_cbranch_execz .LBB6_8616
; %bb.8615:                             ;   in Loop: Header=BB6_8225 Depth=2
	v_and_b32_e32 v22, 7, v10
	v_ffbh_u32_e32 v14, v22
	v_min_u32_e32 v32, 32, v14
	v_subrev_u32_e32 v14, 28, v32
	v_lshrrev_b32_e32 v23, 3, v15
	v_cmp_gt_u32_e32 vcc, 8, v15
	v_lshlrev_b64 v[14:15], v14, v[10:11]
	v_sub_u32_e32 v10, 29, v32
	v_and_b32_e32 v14, 7, v14
	v_cndmask_b32_e32 v10, v23, v10, vcc
	v_cndmask_b32_e32 v14, v22, v14, vcc
	v_lshlrev_b32_e32 v15, 16, v12
	v_lshlrev_b32_e32 v14, 20, v14
	v_and_b32_e32 v15, 0x80000000, v15
	v_lshl_add_u32 v10, v10, 23, v5
	v_or3_b32 v14, v15, v10, v14
.LBB6_8616:                             ;   in Loop: Header=BB6_8225 Depth=2
	s_or_b64 exec, exec, s[26:27]
.LBB6_8617:                             ;   in Loop: Header=BB6_8225 Depth=2
	s_or_b64 exec, exec, s[22:23]
.LBB6_8618:                             ;   in Loop: Header=BB6_8225 Depth=2
	s_or_b64 exec, exec, s[24:25]
	v_cmp_lt_i16_e32 vcc, s51, v2
	s_mov_b64 s[22:23], 0
	s_and_saveexec_b64 s[24:25], vcc
	s_xor_b64 s[24:25], exec, s[24:25]
	s_cbranch_execz .LBB6_8911
; %bb.8619:                             ;   in Loop: Header=BB6_8225 Depth=2
	v_cmp_eq_u16_e32 vcc, s49, v2
	s_mov_b64 s[22:23], -1
	s_and_saveexec_b64 s[26:27], vcc
; %bb.8620:                             ;   in Loop: Header=BB6_8225 Depth=2
	s_xor_b64 s[22:23], exec, -1
; %bb.8621:                             ;   in Loop: Header=BB6_8225 Depth=2
	s_or_b64 exec, exec, s[26:27]
	s_and_b64 s[22:23], s[22:23], exec
	s_or_saveexec_b64 s[24:25], s[24:25]
	v_bfrev_b32_e32 v10, 1
	s_xor_b64 exec, exec, s[24:25]
	s_cbranch_execnz .LBB6_8912
.LBB6_8622:                             ;   in Loop: Header=BB6_8225 Depth=2
	s_or_b64 exec, exec, s[24:25]
	s_and_saveexec_b64 s[24:25], s[22:23]
.LBB6_8623:                             ;   in Loop: Header=BB6_8225 Depth=2
	v_cndmask_b32_e64 v10, v11, v54, s[20:21]
.LBB6_8624:                             ;   in Loop: Header=BB6_8225 Depth=2
	s_or_b64 exec, exec, s[24:25]
	v_max_f32_e32 v2, v10, v10
	v_max_f32_e32 v10, v14, v14
	v_min_f32_e32 v14, v10, v2
.LBB6_8625:                             ;   in Loop: Header=BB6_8225 Depth=2
	v_and_b32_e32 v2, 0x7f800000, v14
	v_cmp_ne_u64_e32 vcc, s[62:63], v[2:3]
                                        ; implicit-def: $vgpr32
	s_and_saveexec_b64 s[20:21], vcc
	s_xor_b64 s[22:23], exec, s[20:21]
	s_cbranch_execz .LBB6_8639
; %bb.8626:                             ;   in Loop: Header=BB6_8225 Depth=2
	v_and_b32_e32 v2, 0x7fffffff, v14
	v_cmp_gt_u64_e32 vcc, s[72:73], v[2:3]
	v_and_b32_sdwa v22, v14, s49 dst_sel:DWORD dst_unused:UNUSED_PAD src0_sel:BYTE_3 src1_sel:DWORD
                                        ; implicit-def: $vgpr32
	s_and_saveexec_b64 s[20:21], vcc
	s_xor_b64 s[24:25], exec, s[20:21]
	s_cbranch_execz .LBB6_8636
; %bb.8627:                             ;   in Loop: Header=BB6_8225 Depth=2
	v_mov_b32_e32 v32, 0
	v_cmp_ne_u32_e32 vcc, 0, v14
	s_and_saveexec_b64 s[26:27], vcc
	s_cbranch_execz .LBB6_8635
; %bb.8628:                             ;   in Loop: Header=BB6_8225 Depth=2
	v_bfe_u32 v23, v14, 23, 8
	v_cmp_gt_u32_e64 s[20:21], s53, v23
	v_sub_u32_e32 v10, 0x79, v23
	v_and_b32_e32 v2, 0x7fffff, v14
	v_cmp_eq_u32_e32 vcc, 0, v23
	v_cndmask_b32_e64 v10, 0, v10, s[20:21]
	v_mov_b32_e32 v14, 0x78
	v_cndmask_b32_e32 v32, v10, v14, vcc
	v_or_b32_e32 v11, 0x800000, v2
	v_add_u32_e32 v10, 20, v32
	v_cndmask_b32_e32 v2, v11, v2, vcc
	v_lshlrev_b64 v[10:11], v10, -1
	v_add_u32_e32 v14, 19, v32
	v_lshlrev_b64 v[14:15], v14, 1
	v_bfi_b32 v11, v11, 0, 0
	v_bfi_b32 v10, v10, 0, v2
	v_cmp_eq_u64_e64 s[20:21], v[10:11], v[14:15]
	v_lshrrev_b64 v[10:11], v32, v[2:3]
	v_mov_b32_e32 v15, v11
	v_mov_b32_e32 v14, v10
	s_and_saveexec_b64 s[34:35], s[20:21]
; %bb.8629:                             ;   in Loop: Header=BB6_8225 Depth=2
	v_bfe_u32 v2, v10, 20, 1
	v_add_co_u32_e64 v2, s[20:21], v10, v2
	v_add_co_u32_e64 v14, s[20:21], -1, v2
; %bb.8630:                             ;   in Loop: Header=BB6_8225 Depth=2
	s_or_b64 exec, exec, s[34:35]
	v_add_u32_e32 v2, 0xffffff81, v23
	v_cndmask_b32_e32 v2, v2, v59, vcc
	v_lshrrev_b32_e32 v11, 23, v10
	v_add3_u32 v23, v32, v2, v11
	v_add_u32_e32 v15, 6, v23
	v_and_b32_e32 v2, 0xfffff, v14
	v_add_u32_e32 v2, v2, v10
	v_cmp_ne_u32_e32 vcc, 0, v15
                                        ; implicit-def: $vgpr10_vgpr11
                                        ; implicit-def: $vgpr14
	s_and_saveexec_b64 s[20:21], vcc
	s_xor_b64 s[20:21], exec, s[20:21]
; %bb.8631:                             ;   in Loop: Header=BB6_8225 Depth=2
	v_cmp_lt_u64_e32 vcc, s[74:75], v[2:3]
	v_add_u32_e32 v10, 7, v23
	v_cndmask_b32_e32 v14, v15, v10, vcc
	v_cndmask_b32_e64 v10, 0, 1, vcc
	v_lshrrev_b64 v[10:11], v10, v[2:3]
; %bb.8632:                             ;   in Loop: Header=BB6_8225 Depth=2
	s_andn2_saveexec_b64 s[20:21], s[20:21]
; %bb.8633:                             ;   in Loop: Header=BB6_8225 Depth=2
	v_mov_b32_e32 v11, v3
	v_bfe_u32 v14, v2, 23, 1
	v_mov_b32_e32 v10, v2
; %bb.8634:                             ;   in Loop: Header=BB6_8225 Depth=2
	s_or_b64 exec, exec, s[20:21]
	v_lshrrev_b64 v[10:11], 20, v[10:11]
	v_cmp_gt_i32_e32 vcc, 16, v14
	v_cndmask_b32_e32 v11, 0, v11, vcc
	v_cndmask_b32_e32 v10, 7, v10, vcc
	v_min_i32_e32 v2, 15, v14
	v_cmp_eq_u64_e64 s[20:21], 0, v[10:11]
	v_lshlrev_b32_e32 v2, 3, v2
	v_cmp_eq_u32_e32 vcc, 0, v14
	v_and_b32_e32 v2, 0xf8, v2
	v_and_or_b32 v2, v10, 7, v2
	s_and_b64 s[20:21], vcc, s[20:21]
	v_cndmask_b32_e64 v2, v2, 0, s[20:21]
	v_or_b32_e32 v32, v2, v22
.LBB6_8635:                             ;   in Loop: Header=BB6_8225 Depth=2
	s_or_b64 exec, exec, s[26:27]
                                        ; implicit-def: $vgpr22
.LBB6_8636:                             ;   in Loop: Header=BB6_8225 Depth=2
	s_andn2_saveexec_b64 s[20:21], s[24:25]
; %bb.8637:                             ;   in Loop: Header=BB6_8225 Depth=2
	v_or_b32_e32 v32, 0x7e, v22
; %bb.8638:                             ;   in Loop: Header=BB6_8225 Depth=2
	s_or_b64 exec, exec, s[20:21]
                                        ; implicit-def: $vgpr14
.LBB6_8639:                             ;   in Loop: Header=BB6_8225 Depth=2
	s_andn2_saveexec_b64 s[20:21], s[22:23]
; %bb.8640:                             ;   in Loop: Header=BB6_8225 Depth=2
	v_or_b32_sdwa v32, v14, s51 dst_sel:DWORD dst_unused:UNUSED_PAD src0_sel:BYTE_3 src1_sel:DWORD
; %bb.8641:                             ;   in Loop: Header=BB6_8225 Depth=2
	s_or_b64 exec, exec, s[20:21]
	v_bfe_u32 v14, v16, 16, 3
	v_bfe_u32 v10, v16, 16, 7
	v_cmp_eq_u32_e64 s[20:21], s51, v10
	v_cmp_gt_u32_e32 vcc, 8, v10
	v_ffbh_u32_e32 v10, v14
	v_min_u32_e32 v22, 32, v10
	v_lshrrev_b32_e32 v2, 16, v16
	v_subrev_u32_e32 v10, 28, v22
	v_lshlrev_b64 v[10:11], v10, v[2:3]
	v_bfe_u32 v15, v2, 3, 4
	v_sub_u32_e32 v11, 29, v22
	v_and_b32_e32 v10, 7, v10
	v_cndmask_b32_e32 v11, v15, v11, vcc
	v_cndmask_b32_e32 v10, v14, v10, vcc
	v_lshlrev_b32_e32 v14, 8, v16
	v_lshlrev_b32_e32 v10, 20, v10
	v_and_b32_e32 v14, 0x80000000, v14
	v_lshl_add_u32 v11, v11, 23, v5
	v_or3_b32 v11, v14, v11, v10
	v_lshrrev_b32_e32 v10, 16, v12
	v_cmp_ne_u16_sdwa s[22:23], v10, v3 src0_sel:BYTE_0 src1_sel:DWORD
	s_mov_b64 s[24:25], -1
	s_and_b64 vcc, exec, s[30:31]
                                        ; implicit-def: $vgpr14
	s_cbranch_vccz .LBB6_8655
; %bb.8642:                             ;   in Loop: Header=BB6_8225 Depth=2
	v_mov_b32_e32 v14, 0
	s_and_saveexec_b64 s[24:25], s[22:23]
	s_cbranch_execz .LBB6_8648
; %bb.8643:                             ;   in Loop: Header=BB6_8225 Depth=2
	v_cmp_ne_u16_sdwa vcc, v10, s49 src0_sel:BYTE_0 src1_sel:DWORD
	v_bfrev_b32_e32 v14, 1
	s_and_saveexec_b64 s[26:27], vcc
	s_cbranch_execz .LBB6_8647
; %bb.8644:                             ;   in Loop: Header=BB6_8225 Depth=2
	v_bfe_u32 v15, v12, 16, 7
	v_cmp_ne_u32_e32 vcc, s51, v15
	v_mov_b32_e32 v14, 0x7f800001
	s_and_saveexec_b64 s[34:35], vcc
	s_cbranch_execz .LBB6_8646
; %bb.8645:                             ;   in Loop: Header=BB6_8225 Depth=2
	v_and_b32_e32 v22, 7, v10
	v_ffbh_u32_e32 v14, v22
	v_min_u32_e32 v33, 32, v14
	v_subrev_u32_e32 v14, 28, v33
	v_lshrrev_b32_e32 v23, 3, v15
	v_cmp_gt_u32_e32 vcc, 8, v15
	v_lshlrev_b64 v[14:15], v14, v[10:11]
	v_sub_u32_e32 v15, 29, v33
	v_and_b32_e32 v14, 7, v14
	v_cndmask_b32_e32 v15, v23, v15, vcc
	v_cndmask_b32_e32 v14, v22, v14, vcc
	v_lshlrev_b32_e32 v22, 24, v10
	v_lshlrev_b32_e32 v14, 20, v14
	v_and_b32_e32 v22, 0x80000000, v22
	v_lshl_add_u32 v15, v15, 23, v5
	v_or3_b32 v14, v22, v15, v14
.LBB6_8646:                             ;   in Loop: Header=BB6_8225 Depth=2
	s_or_b64 exec, exec, s[34:35]
.LBB6_8647:                             ;   in Loop: Header=BB6_8225 Depth=2
	s_or_b64 exec, exec, s[26:27]
.LBB6_8648:                             ;   in Loop: Header=BB6_8225 Depth=2
	s_or_b64 exec, exec, s[24:25]
	v_cmp_gt_i16_sdwa s[26:27], v2, s51 src0_sel:BYTE_0 src1_sel:DWORD
	s_mov_b64 s[24:25], 0
	s_and_saveexec_b64 vcc, s[26:27]
	s_xor_b64 s[26:27], exec, vcc
	s_cbranch_execz .LBB6_8913
; %bb.8649:                             ;   in Loop: Header=BB6_8225 Depth=2
	v_cmp_eq_u16_sdwa s[34:35], v2, s49 src0_sel:BYTE_0 src1_sel:DWORD
	s_mov_b64 s[24:25], -1
	s_and_saveexec_b64 vcc, s[34:35]
; %bb.8650:                             ;   in Loop: Header=BB6_8225 Depth=2
	s_xor_b64 s[24:25], exec, -1
; %bb.8651:                             ;   in Loop: Header=BB6_8225 Depth=2
	s_or_b64 exec, exec, vcc
	s_and_b64 s[24:25], s[24:25], exec
	s_or_saveexec_b64 s[26:27], s[26:27]
	v_bfrev_b32_e32 v15, 1
	s_xor_b64 exec, exec, s[26:27]
	s_cbranch_execnz .LBB6_8914
.LBB6_8652:                             ;   in Loop: Header=BB6_8225 Depth=2
	s_or_b64 exec, exec, s[26:27]
	s_and_saveexec_b64 s[26:27], s[24:25]
.LBB6_8653:                             ;   in Loop: Header=BB6_8225 Depth=2
	v_cndmask_b32_e64 v15, v11, v54, s[20:21]
.LBB6_8654:                             ;   in Loop: Header=BB6_8225 Depth=2
	s_or_b64 exec, exec, s[26:27]
	v_max_f32_e32 v15, v15, v15
	v_max_f32_e32 v14, v14, v14
	;; [unrolled: 1-line block ×3, first 2 shown]
	s_mov_b64 s[24:25], 0
.LBB6_8655:                             ;   in Loop: Header=BB6_8225 Depth=2
	s_and_b64 vcc, exec, s[24:25]
	s_cbranch_vccz .LBB6_8669
; %bb.8656:                             ;   in Loop: Header=BB6_8225 Depth=2
	v_mov_b32_e32 v14, 0
	s_and_saveexec_b64 s[24:25], s[22:23]
	s_cbranch_execz .LBB6_8662
; %bb.8657:                             ;   in Loop: Header=BB6_8225 Depth=2
	v_cmp_ne_u16_sdwa s[26:27], v10, s49 src0_sel:BYTE_0 src1_sel:DWORD
	v_bfrev_b32_e32 v14, 1
	s_and_saveexec_b64 s[22:23], s[26:27]
	s_cbranch_execz .LBB6_8661
; %bb.8658:                             ;   in Loop: Header=BB6_8225 Depth=2
	v_bfe_u32 v15, v12, 16, 7
	v_cmp_ne_u32_e32 vcc, s51, v15
	v_mov_b32_e32 v14, 0x7f800001
	s_and_saveexec_b64 s[26:27], vcc
	s_cbranch_execz .LBB6_8660
; %bb.8659:                             ;   in Loop: Header=BB6_8225 Depth=2
	v_and_b32_e32 v22, 7, v10
	v_ffbh_u32_e32 v14, v22
	v_min_u32_e32 v33, 32, v14
	v_subrev_u32_e32 v14, 28, v33
	v_lshrrev_b32_e32 v23, 3, v15
	v_cmp_gt_u32_e32 vcc, 8, v15
	v_lshlrev_b64 v[14:15], v14, v[10:11]
	v_sub_u32_e32 v15, 29, v33
	v_and_b32_e32 v14, 7, v14
	v_cndmask_b32_e32 v15, v23, v15, vcc
	v_cndmask_b32_e32 v14, v22, v14, vcc
	v_lshlrev_b32_e32 v10, 24, v10
	v_lshlrev_b32_e32 v14, 20, v14
	v_and_b32_e32 v10, 0x80000000, v10
	v_lshl_add_u32 v15, v15, 23, v5
	v_or3_b32 v14, v10, v15, v14
.LBB6_8660:                             ;   in Loop: Header=BB6_8225 Depth=2
	s_or_b64 exec, exec, s[26:27]
.LBB6_8661:                             ;   in Loop: Header=BB6_8225 Depth=2
	s_or_b64 exec, exec, s[22:23]
.LBB6_8662:                             ;   in Loop: Header=BB6_8225 Depth=2
	s_or_b64 exec, exec, s[24:25]
	v_cmp_gt_i16_sdwa s[24:25], v2, s51 src0_sel:BYTE_0 src1_sel:DWORD
	s_mov_b64 s[22:23], 0
	s_and_saveexec_b64 s[26:27], s[24:25]
	s_xor_b64 s[24:25], exec, s[26:27]
	s_cbranch_execz .LBB6_8915
; %bb.8663:                             ;   in Loop: Header=BB6_8225 Depth=2
	v_cmp_eq_u16_sdwa vcc, v2, s49 src0_sel:BYTE_0 src1_sel:DWORD
	s_mov_b64 s[22:23], -1
	s_and_saveexec_b64 s[26:27], vcc
; %bb.8664:                             ;   in Loop: Header=BB6_8225 Depth=2
	s_xor_b64 s[22:23], exec, -1
; %bb.8665:                             ;   in Loop: Header=BB6_8225 Depth=2
	s_or_b64 exec, exec, s[26:27]
	s_and_b64 s[22:23], s[22:23], exec
                                        ; implicit-def: $vgpr2
	s_or_saveexec_b64 s[24:25], s[24:25]
	v_bfrev_b32_e32 v10, 1
	s_xor_b64 exec, exec, s[24:25]
	s_cbranch_execnz .LBB6_8916
.LBB6_8666:                             ;   in Loop: Header=BB6_8225 Depth=2
	s_or_b64 exec, exec, s[24:25]
	s_and_saveexec_b64 s[24:25], s[22:23]
.LBB6_8667:                             ;   in Loop: Header=BB6_8225 Depth=2
	v_cndmask_b32_e64 v10, v11, v54, s[20:21]
.LBB6_8668:                             ;   in Loop: Header=BB6_8225 Depth=2
	s_or_b64 exec, exec, s[24:25]
	v_max_f32_e32 v2, v10, v10
	v_max_f32_e32 v10, v14, v14
	v_min_f32_e32 v14, v10, v2
.LBB6_8669:                             ;   in Loop: Header=BB6_8225 Depth=2
	v_and_b32_e32 v2, 0x7f800000, v14
	v_cmp_ne_u64_e32 vcc, s[62:63], v[2:3]
                                        ; implicit-def: $vgpr33
	s_and_saveexec_b64 s[20:21], vcc
	s_xor_b64 s[22:23], exec, s[20:21]
	s_cbranch_execz .LBB6_8683
; %bb.8670:                             ;   in Loop: Header=BB6_8225 Depth=2
	v_and_b32_e32 v2, 0x7fffffff, v14
	v_cmp_gt_u64_e32 vcc, s[72:73], v[2:3]
	v_and_b32_sdwa v22, v14, s49 dst_sel:DWORD dst_unused:UNUSED_PAD src0_sel:BYTE_3 src1_sel:DWORD
                                        ; implicit-def: $vgpr33
	s_and_saveexec_b64 s[20:21], vcc
	s_xor_b64 s[24:25], exec, s[20:21]
	s_cbranch_execz .LBB6_8680
; %bb.8671:                             ;   in Loop: Header=BB6_8225 Depth=2
	v_mov_b32_e32 v33, 0
	v_cmp_ne_u32_e32 vcc, 0, v14
	s_and_saveexec_b64 s[26:27], vcc
	s_cbranch_execz .LBB6_8679
; %bb.8672:                             ;   in Loop: Header=BB6_8225 Depth=2
	v_bfe_u32 v23, v14, 23, 8
	v_cmp_gt_u32_e64 s[20:21], s53, v23
	v_sub_u32_e32 v10, 0x79, v23
	v_and_b32_e32 v2, 0x7fffff, v14
	v_cmp_eq_u32_e32 vcc, 0, v23
	v_cndmask_b32_e64 v10, 0, v10, s[20:21]
	v_mov_b32_e32 v14, 0x78
	v_cndmask_b32_e32 v33, v10, v14, vcc
	v_or_b32_e32 v11, 0x800000, v2
	v_add_u32_e32 v10, 20, v33
	v_cndmask_b32_e32 v2, v11, v2, vcc
	v_lshlrev_b64 v[10:11], v10, -1
	v_add_u32_e32 v14, 19, v33
	v_lshlrev_b64 v[14:15], v14, 1
	v_bfi_b32 v11, v11, 0, 0
	v_bfi_b32 v10, v10, 0, v2
	v_cmp_eq_u64_e64 s[20:21], v[10:11], v[14:15]
	v_lshrrev_b64 v[10:11], v33, v[2:3]
	v_mov_b32_e32 v15, v11
	v_mov_b32_e32 v14, v10
	s_and_saveexec_b64 s[34:35], s[20:21]
; %bb.8673:                             ;   in Loop: Header=BB6_8225 Depth=2
	v_bfe_u32 v2, v10, 20, 1
	v_add_co_u32_e64 v2, s[20:21], v10, v2
	v_add_co_u32_e64 v14, s[20:21], -1, v2
; %bb.8674:                             ;   in Loop: Header=BB6_8225 Depth=2
	s_or_b64 exec, exec, s[34:35]
	v_add_u32_e32 v2, 0xffffff81, v23
	v_cndmask_b32_e32 v2, v2, v59, vcc
	v_lshrrev_b32_e32 v11, 23, v10
	v_add3_u32 v23, v33, v2, v11
	v_add_u32_e32 v15, 6, v23
	v_and_b32_e32 v2, 0xfffff, v14
	v_add_u32_e32 v2, v2, v10
	v_cmp_ne_u32_e32 vcc, 0, v15
                                        ; implicit-def: $vgpr10_vgpr11
                                        ; implicit-def: $vgpr14
	s_and_saveexec_b64 s[20:21], vcc
	s_xor_b64 s[20:21], exec, s[20:21]
; %bb.8675:                             ;   in Loop: Header=BB6_8225 Depth=2
	v_cmp_lt_u64_e32 vcc, s[74:75], v[2:3]
	v_add_u32_e32 v10, 7, v23
	v_cndmask_b32_e32 v14, v15, v10, vcc
	v_cndmask_b32_e64 v10, 0, 1, vcc
	v_lshrrev_b64 v[10:11], v10, v[2:3]
; %bb.8676:                             ;   in Loop: Header=BB6_8225 Depth=2
	s_andn2_saveexec_b64 s[20:21], s[20:21]
; %bb.8677:                             ;   in Loop: Header=BB6_8225 Depth=2
	v_mov_b32_e32 v11, v3
	v_bfe_u32 v14, v2, 23, 1
	v_mov_b32_e32 v10, v2
; %bb.8678:                             ;   in Loop: Header=BB6_8225 Depth=2
	s_or_b64 exec, exec, s[20:21]
	v_lshrrev_b64 v[10:11], 20, v[10:11]
	v_cmp_gt_i32_e32 vcc, 16, v14
	v_cndmask_b32_e32 v11, 0, v11, vcc
	v_cndmask_b32_e32 v10, 7, v10, vcc
	v_min_i32_e32 v2, 15, v14
	v_cmp_eq_u64_e64 s[20:21], 0, v[10:11]
	v_lshlrev_b32_e32 v2, 3, v2
	v_cmp_eq_u32_e32 vcc, 0, v14
	v_and_b32_e32 v2, 0xf8, v2
	v_and_or_b32 v2, v10, 7, v2
	s_and_b64 s[20:21], vcc, s[20:21]
	v_cndmask_b32_e64 v2, v2, 0, s[20:21]
	v_or_b32_e32 v33, v2, v22
.LBB6_8679:                             ;   in Loop: Header=BB6_8225 Depth=2
	s_or_b64 exec, exec, s[26:27]
                                        ; implicit-def: $vgpr22
.LBB6_8680:                             ;   in Loop: Header=BB6_8225 Depth=2
	s_andn2_saveexec_b64 s[20:21], s[24:25]
; %bb.8681:                             ;   in Loop: Header=BB6_8225 Depth=2
	v_or_b32_e32 v33, 0x7e, v22
; %bb.8682:                             ;   in Loop: Header=BB6_8225 Depth=2
	s_or_b64 exec, exec, s[20:21]
                                        ; implicit-def: $vgpr14
.LBB6_8683:                             ;   in Loop: Header=BB6_8225 Depth=2
	s_andn2_saveexec_b64 s[20:21], s[22:23]
; %bb.8684:                             ;   in Loop: Header=BB6_8225 Depth=2
	v_or_b32_sdwa v33, v14, s51 dst_sel:DWORD dst_unused:UNUSED_PAD src0_sel:BYTE_3 src1_sel:DWORD
; %bb.8685:                             ;   in Loop: Header=BB6_8225 Depth=2
	s_or_b64 exec, exec, s[20:21]
	v_bfe_u32 v14, v16, 24, 3
	v_bfe_u32 v11, v16, 24, 7
	v_cmp_eq_u32_e64 s[24:25], s51, v11
	v_cmp_gt_u32_e32 vcc, 8, v11
	v_ffbh_u32_e32 v11, v14
	v_min_u32_e32 v22, 32, v11
	v_lshrrev_b32_e32 v10, 24, v16
	v_subrev_u32_e32 v11, 28, v22
	v_bfe_u32 v15, v10, 3, 4
	v_cmp_eq_u32_e64 s[22:23], s49, v10
	v_lshlrev_b64 v[10:11], v11, v[10:11]
	v_sub_u32_e32 v11, 29, v22
	v_and_b32_e32 v10, 7, v10
	v_cndmask_b32_e32 v11, v15, v11, vcc
	v_cndmask_b32_e32 v10, v14, v10, vcc
	v_lshlrev_b32_e32 v10, 20, v10
	v_and_b32_e32 v14, 0x80000000, v16
	v_lshl_add_u32 v11, v11, 23, v5
	v_lshrrev_b32_e32 v2, 24, v12
	v_cmp_gt_u32_e64 s[20:21], s57, v16
	v_or3_b32 v10, v14, v11, v10
	v_cmp_lt_u32_e64 s[26:27], s77, v12
	s_mov_b64 s[34:35], -1
	s_and_b64 vcc, exec, s[30:31]
                                        ; implicit-def: $vgpr11
	s_cbranch_vccz .LBB6_8693
; %bb.8686:                             ;   in Loop: Header=BB6_8225 Depth=2
	v_mov_b32_e32 v11, 0
	s_and_saveexec_b64 s[34:35], s[26:27]
	s_cbranch_execz .LBB6_8692
; %bb.8687:                             ;   in Loop: Header=BB6_8225 Depth=2
	v_cmp_ne_u32_e32 vcc, s49, v2
	v_bfrev_b32_e32 v11, 1
	s_and_saveexec_b64 s[36:37], vcc
	s_cbranch_execz .LBB6_8691
; %bb.8688:                             ;   in Loop: Header=BB6_8225 Depth=2
	v_bfe_u32 v14, v12, 24, 7
	v_cmp_ne_u32_e32 vcc, s51, v14
	v_mov_b32_e32 v11, 0x7f800001
	s_and_saveexec_b64 s[38:39], vcc
	s_cbranch_execz .LBB6_8690
; %bb.8689:                             ;   in Loop: Header=BB6_8225 Depth=2
	v_and_b32_e32 v11, 7, v2
	v_lshrrev_b32_e32 v22, 3, v14
	v_cmp_gt_u32_e32 vcc, 8, v14
	v_ffbh_u32_e32 v14, v11
	v_min_u32_e32 v23, 32, v14
	v_subrev_u32_e32 v14, 28, v23
	v_lshlrev_b64 v[14:15], v14, v[2:3]
	v_sub_u32_e32 v15, 29, v23
	v_and_b32_e32 v14, 7, v14
	v_cndmask_b32_e32 v15, v22, v15, vcc
	v_cndmask_b32_e32 v11, v11, v14, vcc
	v_lshlrev_b32_e32 v14, 24, v2
	v_lshlrev_b32_e32 v11, 20, v11
	v_and_b32_e32 v14, 0x80000000, v14
	v_lshl_add_u32 v15, v15, 23, v5
	v_or3_b32 v11, v14, v15, v11
.LBB6_8690:                             ;   in Loop: Header=BB6_8225 Depth=2
	s_or_b64 exec, exec, s[38:39]
.LBB6_8691:                             ;   in Loop: Header=BB6_8225 Depth=2
	s_or_b64 exec, exec, s[36:37]
.LBB6_8692:                             ;   in Loop: Header=BB6_8225 Depth=2
	s_or_b64 exec, exec, s[34:35]
	v_cndmask_b32_e64 v14, v10, v54, s[24:25]
	v_cndmask_b32_e64 v14, v14, v48, s[22:23]
	;; [unrolled: 1-line block ×3, first 2 shown]
	v_max_f32_e32 v14, v14, v14
	v_max_f32_e32 v11, v11, v11
	;; [unrolled: 1-line block ×3, first 2 shown]
	s_mov_b64 s[34:35], 0
.LBB6_8693:                             ;   in Loop: Header=BB6_8225 Depth=2
	s_and_b64 vcc, exec, s[34:35]
	s_cbranch_vccz .LBB6_8701
; %bb.8694:                             ;   in Loop: Header=BB6_8225 Depth=2
	v_mov_b32_e32 v11, 0
	s_and_saveexec_b64 s[34:35], s[26:27]
	s_cbranch_execz .LBB6_8700
; %bb.8695:                             ;   in Loop: Header=BB6_8225 Depth=2
	v_cmp_ne_u32_e32 vcc, s49, v2
	v_bfrev_b32_e32 v11, 1
	s_and_saveexec_b64 s[26:27], vcc
	s_cbranch_execz .LBB6_8699
; %bb.8696:                             ;   in Loop: Header=BB6_8225 Depth=2
	v_bfe_u32 v14, v12, 24, 7
	v_cmp_ne_u32_e32 vcc, s51, v14
	v_mov_b32_e32 v11, 0x7f800001
	s_and_saveexec_b64 s[36:37], vcc
	s_cbranch_execz .LBB6_8698
; %bb.8697:                             ;   in Loop: Header=BB6_8225 Depth=2
	v_and_b32_e32 v11, 7, v2
	v_lshrrev_b32_e32 v22, 3, v14
	v_cmp_gt_u32_e32 vcc, 8, v14
	v_ffbh_u32_e32 v14, v11
	v_min_u32_e32 v23, 32, v14
	v_subrev_u32_e32 v14, 28, v23
	v_lshlrev_b64 v[14:15], v14, v[2:3]
	v_sub_u32_e32 v15, 29, v23
	v_and_b32_e32 v14, 7, v14
	v_cndmask_b32_e32 v15, v22, v15, vcc
	v_cndmask_b32_e32 v11, v11, v14, vcc
	v_lshlrev_b32_e32 v2, 24, v2
	v_lshlrev_b32_e32 v11, 20, v11
	v_and_b32_e32 v2, 0x80000000, v2
	v_lshl_add_u32 v14, v15, 23, v5
	v_or3_b32 v11, v2, v14, v11
.LBB6_8698:                             ;   in Loop: Header=BB6_8225 Depth=2
	s_or_b64 exec, exec, s[36:37]
.LBB6_8699:                             ;   in Loop: Header=BB6_8225 Depth=2
	s_or_b64 exec, exec, s[26:27]
.LBB6_8700:                             ;   in Loop: Header=BB6_8225 Depth=2
	s_or_b64 exec, exec, s[34:35]
	v_cndmask_b32_e64 v2, v10, v54, s[24:25]
	v_cndmask_b32_e64 v2, v2, v48, s[22:23]
	;; [unrolled: 1-line block ×3, first 2 shown]
	v_max_f32_e32 v2, v2, v2
	v_max_f32_e32 v10, v11, v11
	v_min_f32_e32 v11, v10, v2
.LBB6_8701:                             ;   in Loop: Header=BB6_8225 Depth=2
	v_and_b32_e32 v2, 0x7f800000, v11
	v_cmp_ne_u64_e32 vcc, s[62:63], v[2:3]
                                        ; implicit-def: $vgpr34
	s_and_saveexec_b64 s[20:21], vcc
	s_xor_b64 s[22:23], exec, s[20:21]
	s_cbranch_execz .LBB6_8715
; %bb.8702:                             ;   in Loop: Header=BB6_8225 Depth=2
	v_and_b32_e32 v2, 0x7fffffff, v11
	v_cmp_gt_u64_e32 vcc, s[72:73], v[2:3]
	v_and_b32_sdwa v22, v11, s49 dst_sel:DWORD dst_unused:UNUSED_PAD src0_sel:BYTE_3 src1_sel:DWORD
                                        ; implicit-def: $vgpr34
	s_and_saveexec_b64 s[20:21], vcc
	s_xor_b64 s[24:25], exec, s[20:21]
	s_cbranch_execz .LBB6_8712
; %bb.8703:                             ;   in Loop: Header=BB6_8225 Depth=2
	v_mov_b32_e32 v34, 0
	v_cmp_ne_u32_e32 vcc, 0, v11
	s_and_saveexec_b64 s[26:27], vcc
	s_cbranch_execz .LBB6_8711
; %bb.8704:                             ;   in Loop: Header=BB6_8225 Depth=2
	v_bfe_u32 v23, v11, 23, 8
	v_cmp_gt_u32_e64 s[20:21], s53, v23
	v_sub_u32_e32 v10, 0x79, v23
	v_cmp_eq_u32_e32 vcc, 0, v23
	v_cndmask_b32_e64 v10, 0, v10, s[20:21]
	v_mov_b32_e32 v14, 0x78
	v_and_b32_e32 v2, 0x7fffff, v11
	v_cndmask_b32_e32 v34, v10, v14, vcc
	v_or_b32_e32 v11, 0x800000, v2
	v_add_u32_e32 v10, 20, v34
	v_cndmask_b32_e32 v2, v11, v2, vcc
	v_lshlrev_b64 v[10:11], v10, -1
	v_add_u32_e32 v14, 19, v34
	v_lshlrev_b64 v[14:15], v14, 1
	v_bfi_b32 v11, v11, 0, 0
	v_bfi_b32 v10, v10, 0, v2
	v_cmp_eq_u64_e64 s[20:21], v[10:11], v[14:15]
	v_lshrrev_b64 v[10:11], v34, v[2:3]
	v_mov_b32_e32 v15, v11
	v_mov_b32_e32 v14, v10
	s_and_saveexec_b64 s[34:35], s[20:21]
; %bb.8705:                             ;   in Loop: Header=BB6_8225 Depth=2
	v_bfe_u32 v2, v10, 20, 1
	v_add_co_u32_e64 v2, s[20:21], v10, v2
	v_add_co_u32_e64 v14, s[20:21], -1, v2
; %bb.8706:                             ;   in Loop: Header=BB6_8225 Depth=2
	s_or_b64 exec, exec, s[34:35]
	v_add_u32_e32 v2, 0xffffff81, v23
	v_cndmask_b32_e32 v2, v2, v59, vcc
	v_lshrrev_b32_e32 v11, 23, v10
	v_add3_u32 v23, v34, v2, v11
	v_add_u32_e32 v15, 6, v23
	v_and_b32_e32 v2, 0xfffff, v14
	v_add_u32_e32 v2, v2, v10
	v_cmp_ne_u32_e32 vcc, 0, v15
                                        ; implicit-def: $vgpr10_vgpr11
                                        ; implicit-def: $vgpr14
	s_and_saveexec_b64 s[20:21], vcc
	s_xor_b64 s[20:21], exec, s[20:21]
; %bb.8707:                             ;   in Loop: Header=BB6_8225 Depth=2
	v_cmp_lt_u64_e32 vcc, s[74:75], v[2:3]
	v_add_u32_e32 v10, 7, v23
	v_cndmask_b32_e32 v14, v15, v10, vcc
	v_cndmask_b32_e64 v10, 0, 1, vcc
	v_lshrrev_b64 v[10:11], v10, v[2:3]
; %bb.8708:                             ;   in Loop: Header=BB6_8225 Depth=2
	s_andn2_saveexec_b64 s[20:21], s[20:21]
; %bb.8709:                             ;   in Loop: Header=BB6_8225 Depth=2
	v_mov_b32_e32 v11, v3
	v_bfe_u32 v14, v2, 23, 1
	v_mov_b32_e32 v10, v2
; %bb.8710:                             ;   in Loop: Header=BB6_8225 Depth=2
	s_or_b64 exec, exec, s[20:21]
	v_lshrrev_b64 v[10:11], 20, v[10:11]
	v_cmp_gt_i32_e32 vcc, 16, v14
	v_cndmask_b32_e32 v11, 0, v11, vcc
	v_cndmask_b32_e32 v10, 7, v10, vcc
	v_min_i32_e32 v2, 15, v14
	v_cmp_eq_u64_e64 s[20:21], 0, v[10:11]
	v_lshlrev_b32_e32 v2, 3, v2
	v_cmp_eq_u32_e32 vcc, 0, v14
	v_and_b32_e32 v2, 0xf8, v2
	v_and_or_b32 v2, v10, 7, v2
	s_and_b64 s[20:21], vcc, s[20:21]
	v_cndmask_b32_e64 v2, v2, 0, s[20:21]
	v_or_b32_e32 v34, v2, v22
.LBB6_8711:                             ;   in Loop: Header=BB6_8225 Depth=2
	s_or_b64 exec, exec, s[26:27]
                                        ; implicit-def: $vgpr22
.LBB6_8712:                             ;   in Loop: Header=BB6_8225 Depth=2
	s_andn2_saveexec_b64 s[20:21], s[24:25]
; %bb.8713:                             ;   in Loop: Header=BB6_8225 Depth=2
	v_or_b32_e32 v34, 0x7e, v22
; %bb.8714:                             ;   in Loop: Header=BB6_8225 Depth=2
	s_or_b64 exec, exec, s[20:21]
                                        ; implicit-def: $vgpr11
.LBB6_8715:                             ;   in Loop: Header=BB6_8225 Depth=2
	s_andn2_saveexec_b64 s[20:21], s[22:23]
; %bb.8716:                             ;   in Loop: Header=BB6_8225 Depth=2
	v_or_b32_sdwa v34, v11, s51 dst_sel:DWORD dst_unused:UNUSED_PAD src0_sel:BYTE_3 src1_sel:DWORD
; %bb.8717:                             ;   in Loop: Header=BB6_8225 Depth=2
	s_or_b64 exec, exec, s[20:21]
	v_and_b32_e32 v14, 7, v17
	v_ffbh_u32_e32 v14, v14
	v_and_b32_e32 v15, 0x7f, v17
	v_min_u32_e32 v14, 32, v14
	v_bfe_u32 v22, v17, 3, 4
	v_cmp_eq_u32_e64 s[20:21], s51, v15
	v_cmp_gt_u32_e32 vcc, 8, v15
	v_subrev_u32_e32 v15, 28, v14
	v_sub_u32_e32 v14, 29, v14
	v_mov_b32_e32 v10, v17
	v_mov_b32_e32 v11, v3
	v_cndmask_b32_e32 v22, v22, v14, vcc
	v_cndmask_b32_e32 v14, 0, v15, vcc
	v_lshlrev_b64 v[14:15], v14, v[10:11]
	v_lshl_add_u32 v15, v22, 23, v5
	v_lshlrev_b32_e32 v11, 20, v14
	v_lshlrev_b32_e32 v14, 24, v17
	v_and_b32_e32 v11, 0x700000, v11
	v_and_b32_e32 v14, 0x80000000, v14
	v_mov_b32_e32 v2, v13
	v_or3_b32 v11, v14, v15, v11
	v_cmp_ne_u16_sdwa s[22:23], v13, v3 src0_sel:BYTE_0 src1_sel:DWORD
	s_mov_b64 s[24:25], -1
	s_and_b64 vcc, exec, s[30:31]
                                        ; implicit-def: $vgpr14
	s_cbranch_vccz .LBB6_8731
; %bb.8718:                             ;   in Loop: Header=BB6_8225 Depth=2
	v_mov_b32_e32 v14, 0
	s_and_saveexec_b64 s[24:25], s[22:23]
	s_cbranch_execz .LBB6_8724
; %bb.8719:                             ;   in Loop: Header=BB6_8225 Depth=2
	v_cmp_ne_u16_sdwa vcc, v13, s49 src0_sel:BYTE_0 src1_sel:DWORD
	v_bfrev_b32_e32 v14, 1
	s_and_saveexec_b64 s[26:27], vcc
	s_cbranch_execz .LBB6_8723
; %bb.8720:                             ;   in Loop: Header=BB6_8225 Depth=2
	v_and_b32_e32 v15, 0x7f, v13
	v_cmp_ne_u32_e32 vcc, s51, v15
	v_mov_b32_e32 v14, 0x7f800001
	s_and_saveexec_b64 s[34:35], vcc
	s_cbranch_execz .LBB6_8722
; %bb.8721:                             ;   in Loop: Header=BB6_8225 Depth=2
	v_and_b32_e32 v14, 7, v13
	v_ffbh_u32_e32 v14, v14
	v_min_u32_e32 v14, 32, v14
	v_lshrrev_b32_e32 v22, 3, v15
	v_cmp_gt_u32_e32 vcc, 8, v15
	v_subrev_u32_e32 v15, 28, v14
	v_sub_u32_e32 v14, 29, v14
	v_cndmask_b32_e32 v22, v22, v14, vcc
	v_cndmask_b32_e32 v14, 0, v15, vcc
	v_lshlrev_b64 v[14:15], v14, v[2:3]
	v_lshlrev_b32_e32 v15, 24, v2
	v_lshlrev_b32_e32 v14, 20, v14
	v_and_b32_e32 v14, 0x700000, v14
	v_and_b32_e32 v15, 0x80000000, v15
	v_lshl_add_u32 v22, v22, 23, v5
	v_or3_b32 v14, v15, v22, v14
.LBB6_8722:                             ;   in Loop: Header=BB6_8225 Depth=2
	s_or_b64 exec, exec, s[34:35]
.LBB6_8723:                             ;   in Loop: Header=BB6_8225 Depth=2
	s_or_b64 exec, exec, s[26:27]
.LBB6_8724:                             ;   in Loop: Header=BB6_8225 Depth=2
	s_or_b64 exec, exec, s[24:25]
	v_cmp_gt_i16_sdwa s[26:27], v17, s51 src0_sel:BYTE_0 src1_sel:DWORD
	s_mov_b64 s[24:25], 0
	s_and_saveexec_b64 vcc, s[26:27]
	s_xor_b64 s[26:27], exec, vcc
	s_cbranch_execz .LBB6_8917
; %bb.8725:                             ;   in Loop: Header=BB6_8225 Depth=2
	v_cmp_eq_u16_sdwa s[34:35], v17, s49 src0_sel:BYTE_0 src1_sel:DWORD
	s_mov_b64 s[24:25], -1
	s_and_saveexec_b64 vcc, s[34:35]
; %bb.8726:                             ;   in Loop: Header=BB6_8225 Depth=2
	s_xor_b64 s[24:25], exec, -1
; %bb.8727:                             ;   in Loop: Header=BB6_8225 Depth=2
	s_or_b64 exec, exec, vcc
	s_and_b64 s[24:25], s[24:25], exec
	s_or_saveexec_b64 s[26:27], s[26:27]
	v_bfrev_b32_e32 v15, 1
	s_xor_b64 exec, exec, s[26:27]
	s_cbranch_execnz .LBB6_8918
.LBB6_8728:                             ;   in Loop: Header=BB6_8225 Depth=2
	s_or_b64 exec, exec, s[26:27]
	s_and_saveexec_b64 s[26:27], s[24:25]
.LBB6_8729:                             ;   in Loop: Header=BB6_8225 Depth=2
	v_cndmask_b32_e64 v15, v11, v54, s[20:21]
.LBB6_8730:                             ;   in Loop: Header=BB6_8225 Depth=2
	s_or_b64 exec, exec, s[26:27]
	v_max_f32_e32 v15, v15, v15
	v_max_f32_e32 v14, v14, v14
	;; [unrolled: 1-line block ×3, first 2 shown]
	s_mov_b64 s[24:25], 0
.LBB6_8731:                             ;   in Loop: Header=BB6_8225 Depth=2
	s_and_b64 vcc, exec, s[24:25]
	s_cbranch_vccz .LBB6_8745
; %bb.8732:                             ;   in Loop: Header=BB6_8225 Depth=2
	v_mov_b32_e32 v14, 0
	s_and_saveexec_b64 s[24:25], s[22:23]
	s_cbranch_execz .LBB6_8738
; %bb.8733:                             ;   in Loop: Header=BB6_8225 Depth=2
	v_cmp_ne_u16_sdwa s[26:27], v13, s49 src0_sel:BYTE_0 src1_sel:DWORD
	v_bfrev_b32_e32 v14, 1
	s_and_saveexec_b64 s[22:23], s[26:27]
	s_cbranch_execz .LBB6_8737
; %bb.8734:                             ;   in Loop: Header=BB6_8225 Depth=2
	v_and_b32_e32 v15, 0x7f, v13
	v_cmp_ne_u32_e32 vcc, s51, v15
	v_mov_b32_e32 v14, 0x7f800001
	s_and_saveexec_b64 s[26:27], vcc
	s_cbranch_execz .LBB6_8736
; %bb.8735:                             ;   in Loop: Header=BB6_8225 Depth=2
	v_and_b32_e32 v14, 7, v13
	v_ffbh_u32_e32 v14, v14
	v_min_u32_e32 v14, 32, v14
	v_lshrrev_b32_e32 v22, 3, v15
	v_cmp_gt_u32_e32 vcc, 8, v15
	v_subrev_u32_e32 v15, 28, v14
	v_sub_u32_e32 v14, 29, v14
	v_cndmask_b32_e32 v22, v22, v14, vcc
	v_cndmask_b32_e32 v14, 0, v15, vcc
	v_lshlrev_b64 v[14:15], v14, v[2:3]
	v_lshlrev_b32_e32 v15, 24, v2
	v_lshlrev_b32_e32 v14, 20, v14
	v_and_b32_e32 v14, 0x700000, v14
	v_and_b32_e32 v15, 0x80000000, v15
	v_lshl_add_u32 v22, v22, 23, v5
	v_or3_b32 v14, v15, v22, v14
.LBB6_8736:                             ;   in Loop: Header=BB6_8225 Depth=2
	s_or_b64 exec, exec, s[26:27]
.LBB6_8737:                             ;   in Loop: Header=BB6_8225 Depth=2
	s_or_b64 exec, exec, s[22:23]
.LBB6_8738:                             ;   in Loop: Header=BB6_8225 Depth=2
	s_or_b64 exec, exec, s[24:25]
	v_cmp_gt_i16_sdwa s[24:25], v17, s51 src0_sel:BYTE_0 src1_sel:DWORD
	s_mov_b64 s[22:23], 0
	s_and_saveexec_b64 s[26:27], s[24:25]
	s_xor_b64 s[24:25], exec, s[26:27]
	s_cbranch_execz .LBB6_8919
; %bb.8739:                             ;   in Loop: Header=BB6_8225 Depth=2
	v_cmp_eq_u16_sdwa vcc, v17, s49 src0_sel:BYTE_0 src1_sel:DWORD
	s_mov_b64 s[22:23], -1
	s_and_saveexec_b64 s[26:27], vcc
; %bb.8740:                             ;   in Loop: Header=BB6_8225 Depth=2
	s_xor_b64 s[22:23], exec, -1
; %bb.8741:                             ;   in Loop: Header=BB6_8225 Depth=2
	s_or_b64 exec, exec, s[26:27]
	s_and_b64 s[22:23], s[22:23], exec
	s_or_saveexec_b64 s[24:25], s[24:25]
	v_bfrev_b32_e32 v15, 1
	s_xor_b64 exec, exec, s[24:25]
	s_cbranch_execnz .LBB6_8920
.LBB6_8742:                             ;   in Loop: Header=BB6_8225 Depth=2
	s_or_b64 exec, exec, s[24:25]
	s_and_saveexec_b64 s[24:25], s[22:23]
.LBB6_8743:                             ;   in Loop: Header=BB6_8225 Depth=2
	v_cndmask_b32_e64 v15, v11, v54, s[20:21]
.LBB6_8744:                             ;   in Loop: Header=BB6_8225 Depth=2
	s_or_b64 exec, exec, s[24:25]
	v_max_f32_e32 v11, v15, v15
	v_max_f32_e32 v14, v14, v14
	v_min_f32_e32 v14, v14, v11
.LBB6_8745:                             ;   in Loop: Header=BB6_8225 Depth=2
	v_and_b32_e32 v22, 0x7f800000, v14
	v_mov_b32_e32 v23, v3
	v_cmp_ne_u64_e32 vcc, s[62:63], v[22:23]
                                        ; implicit-def: $vgpr22
	s_and_saveexec_b64 s[20:21], vcc
	s_xor_b64 s[22:23], exec, s[20:21]
	s_cbranch_execz .LBB6_8759
; %bb.8746:                             ;   in Loop: Header=BB6_8225 Depth=2
	v_and_b32_e32 v22, 0x7fffffff, v14
	v_mov_b32_e32 v23, v3
	v_cmp_gt_u64_e32 vcc, s[72:73], v[22:23]
	v_and_b32_sdwa v11, v14, s49 dst_sel:DWORD dst_unused:UNUSED_PAD src0_sel:BYTE_3 src1_sel:DWORD
                                        ; implicit-def: $vgpr22
	s_and_saveexec_b64 s[20:21], vcc
	s_xor_b64 s[24:25], exec, s[20:21]
	s_cbranch_execz .LBB6_8756
; %bb.8747:                             ;   in Loop: Header=BB6_8225 Depth=2
	v_mov_b32_e32 v22, 0
	v_cmp_ne_u32_e32 vcc, 0, v14
	s_and_saveexec_b64 s[26:27], vcc
	s_cbranch_execz .LBB6_8755
; %bb.8748:                             ;   in Loop: Header=BB6_8225 Depth=2
	v_bfe_u32 v35, v14, 23, 8
	v_and_b32_e32 v15, 0x7fffff, v14
	v_cmp_gt_u32_e64 s[20:21], s53, v35
	v_sub_u32_e32 v14, 0x79, v35
	v_cmp_eq_u32_e32 vcc, 0, v35
	v_cndmask_b32_e64 v14, 0, v14, s[20:21]
	v_mov_b32_e32 v23, 0x78
	v_or_b32_e32 v22, 0x800000, v15
	v_cndmask_b32_e32 v36, v14, v23, vcc
	v_cndmask_b32_e32 v14, v22, v15, vcc
	v_add_u32_e32 v22, 20, v36
	v_lshlrev_b64 v[22:23], v22, -1
	v_mov_b32_e32 v15, v3
	v_add_u32_e32 v37, 19, v36
	v_bfi_b32 v22, v22, 0, v14
	v_lshlrev_b64 v[37:38], v37, 1
	v_lshrrev_b64 v[14:15], v36, v[14:15]
	v_bfi_b32 v23, v23, 0, 0
	v_cmp_eq_u64_e64 s[20:21], v[22:23], v[37:38]
	v_mov_b32_e32 v23, v15
	v_mov_b32_e32 v22, v14
	s_and_saveexec_b64 s[34:35], s[20:21]
; %bb.8749:                             ;   in Loop: Header=BB6_8225 Depth=2
	v_bfe_u32 v15, v14, 20, 1
	v_add_co_u32_e64 v15, s[20:21], v14, v15
	v_add_co_u32_e64 v22, s[20:21], -1, v15
; %bb.8750:                             ;   in Loop: Header=BB6_8225 Depth=2
	s_or_b64 exec, exec, s[34:35]
	v_add_u32_e32 v15, 0xffffff81, v35
	v_cndmask_b32_e32 v15, v15, v59, vcc
	v_lshrrev_b32_e32 v23, 23, v14
	v_add3_u32 v35, v36, v15, v23
	v_add_u32_e32 v23, 6, v35
	v_and_b32_e32 v15, 0xfffff, v22
	v_add_u32_e32 v14, v15, v14
	v_mov_b32_e32 v15, v3
	v_cmp_ne_u32_e32 vcc, 0, v23
                                        ; implicit-def: $vgpr22
	s_and_saveexec_b64 s[20:21], vcc
	s_xor_b64 s[20:21], exec, s[20:21]
; %bb.8751:                             ;   in Loop: Header=BB6_8225 Depth=2
	v_cmp_lt_u64_e32 vcc, s[74:75], v[14:15]
	v_add_u32_e32 v22, 7, v35
	v_cndmask_b32_e32 v22, v23, v22, vcc
	v_cndmask_b32_e64 v23, 0, 1, vcc
	v_lshrrev_b64 v[14:15], v23, v[14:15]
; %bb.8752:                             ;   in Loop: Header=BB6_8225 Depth=2
	s_andn2_saveexec_b64 s[20:21], s[20:21]
; %bb.8753:                             ;   in Loop: Header=BB6_8225 Depth=2
	v_bfe_u32 v22, v14, 23, 1
; %bb.8754:                             ;   in Loop: Header=BB6_8225 Depth=2
	s_or_b64 exec, exec, s[20:21]
	v_lshrrev_b64 v[14:15], 20, v[14:15]
	v_cmp_gt_i32_e32 vcc, 16, v22
	v_cndmask_b32_e32 v15, 0, v15, vcc
	v_cndmask_b32_e32 v14, 7, v14, vcc
	v_cmp_eq_u64_e64 s[20:21], 0, v[14:15]
	v_min_i32_e32 v15, 15, v22
	v_lshlrev_b32_e32 v15, 3, v15
	v_cmp_eq_u32_e32 vcc, 0, v22
	v_and_b32_e32 v15, 0xf8, v15
	v_and_or_b32 v14, v14, 7, v15
	s_and_b64 s[20:21], vcc, s[20:21]
	v_cndmask_b32_e64 v14, v14, 0, s[20:21]
	v_or_b32_e32 v22, v14, v11
.LBB6_8755:                             ;   in Loop: Header=BB6_8225 Depth=2
	s_or_b64 exec, exec, s[26:27]
                                        ; implicit-def: $vgpr11
.LBB6_8756:                             ;   in Loop: Header=BB6_8225 Depth=2
	s_andn2_saveexec_b64 s[20:21], s[24:25]
; %bb.8757:                             ;   in Loop: Header=BB6_8225 Depth=2
	v_or_b32_e32 v22, 0x7e, v11
; %bb.8758:                             ;   in Loop: Header=BB6_8225 Depth=2
	s_or_b64 exec, exec, s[20:21]
                                        ; implicit-def: $vgpr14
.LBB6_8759:                             ;   in Loop: Header=BB6_8225 Depth=2
	s_andn2_saveexec_b64 s[20:21], s[22:23]
; %bb.8760:                             ;   in Loop: Header=BB6_8225 Depth=2
	v_or_b32_sdwa v22, v14, s51 dst_sel:DWORD dst_unused:UNUSED_PAD src0_sel:BYTE_3 src1_sel:DWORD
; %bb.8761:                             ;   in Loop: Header=BB6_8225 Depth=2
	s_or_b64 exec, exec, s[20:21]
	v_lshrrev_b16_e32 v10, 8, v10
	v_and_b32_e32 v15, 7, v10
	v_and_b32_e32 v23, 0x7f, v10
	v_cmp_eq_u32_e64 s[20:21], s51, v23
	v_cmp_gt_u32_e32 vcc, 8, v23
	v_ffbh_u32_e32 v23, v15
	v_min_u32_e32 v23, 32, v23
	v_mov_b32_e32 v11, v3
	v_subrev_u32_e32 v35, 28, v23
	v_lshlrev_b64 v[35:36], v35, v[10:11]
	v_bfe_u32 v37, v10, 3, 4
	v_sub_u32_e32 v11, 29, v23
	v_and_b32_e32 v23, 7, v35
	v_cndmask_b32_e32 v11, v37, v11, vcc
	v_cndmask_b32_e32 v15, v15, v23, vcc
	v_lshlrev_b32_e32 v23, 24, v10
	v_lshrrev_b16_e32 v14, 8, v2
	v_lshlrev_b32_e32 v15, 20, v15
	v_and_b32_e32 v23, 0x80000000, v23
	v_lshl_add_u32 v11, v11, 23, v5
	v_or3_b32 v11, v23, v11, v15
	v_cmp_ne_u16_e64 s[22:23], 0, v14
	s_mov_b64 s[24:25], -1
	s_and_b64 vcc, exec, s[30:31]
                                        ; implicit-def: $vgpr15
	s_cbranch_vccz .LBB6_8775
; %bb.8762:                             ;   in Loop: Header=BB6_8225 Depth=2
	v_mov_b32_e32 v15, 0
	s_and_saveexec_b64 s[24:25], s[22:23]
	s_cbranch_execz .LBB6_8768
; %bb.8763:                             ;   in Loop: Header=BB6_8225 Depth=2
	v_cmp_ne_u16_e32 vcc, s49, v14
	v_bfrev_b32_e32 v15, 1
	s_and_saveexec_b64 s[26:27], vcc
	s_cbranch_execz .LBB6_8767
; %bb.8764:                             ;   in Loop: Header=BB6_8225 Depth=2
	v_and_b32_e32 v23, 0x7f, v14
	v_cmp_ne_u32_e32 vcc, s51, v23
	v_mov_b32_e32 v15, 0x7f800001
	s_and_saveexec_b64 s[34:35], vcc
	s_cbranch_execz .LBB6_8766
; %bb.8765:                             ;   in Loop: Header=BB6_8225 Depth=2
	v_and_b32_e32 v15, 7, v14
	v_lshrrev_b32_e32 v37, 3, v23
	v_cmp_gt_u32_e32 vcc, 8, v23
	v_ffbh_u32_e32 v23, v15
	v_min_u32_e32 v23, 32, v23
	v_subrev_u32_e32 v35, 28, v23
	v_lshlrev_b64 v[35:36], v35, v[14:15]
	v_sub_u32_e32 v23, 29, v23
	v_and_b32_e32 v35, 7, v35
	v_cndmask_b32_e32 v23, v37, v23, vcc
	v_cndmask_b32_e32 v15, v15, v35, vcc
	v_lshlrev_b32_e32 v35, 16, v2
	v_lshlrev_b32_e32 v15, 20, v15
	v_and_b32_e32 v35, 0x80000000, v35
	v_lshl_add_u32 v23, v23, 23, v5
	v_or3_b32 v15, v35, v23, v15
.LBB6_8766:                             ;   in Loop: Header=BB6_8225 Depth=2
	s_or_b64 exec, exec, s[34:35]
.LBB6_8767:                             ;   in Loop: Header=BB6_8225 Depth=2
	s_or_b64 exec, exec, s[26:27]
.LBB6_8768:                             ;   in Loop: Header=BB6_8225 Depth=2
	s_or_b64 exec, exec, s[24:25]
	v_cmp_lt_i16_e32 vcc, s51, v10
	s_mov_b64 s[24:25], 0
	s_and_saveexec_b64 s[26:27], vcc
	s_xor_b64 s[26:27], exec, s[26:27]
	s_cbranch_execz .LBB6_8921
; %bb.8769:                             ;   in Loop: Header=BB6_8225 Depth=2
	v_cmp_eq_u16_e32 vcc, s49, v10
	s_mov_b64 s[24:25], -1
	s_and_saveexec_b64 s[34:35], vcc
; %bb.8770:                             ;   in Loop: Header=BB6_8225 Depth=2
	s_xor_b64 s[24:25], exec, -1
; %bb.8771:                             ;   in Loop: Header=BB6_8225 Depth=2
	s_or_b64 exec, exec, s[34:35]
	s_and_b64 s[24:25], s[24:25], exec
	s_or_saveexec_b64 s[26:27], s[26:27]
	v_bfrev_b32_e32 v23, 1
	s_xor_b64 exec, exec, s[26:27]
	s_cbranch_execnz .LBB6_8922
.LBB6_8772:                             ;   in Loop: Header=BB6_8225 Depth=2
	s_or_b64 exec, exec, s[26:27]
	s_and_saveexec_b64 s[26:27], s[24:25]
.LBB6_8773:                             ;   in Loop: Header=BB6_8225 Depth=2
	v_cndmask_b32_e64 v23, v11, v54, s[20:21]
.LBB6_8774:                             ;   in Loop: Header=BB6_8225 Depth=2
	s_or_b64 exec, exec, s[26:27]
	v_max_f32_e32 v23, v23, v23
	v_max_f32_e32 v15, v15, v15
	;; [unrolled: 1-line block ×3, first 2 shown]
	s_mov_b64 s[24:25], 0
.LBB6_8775:                             ;   in Loop: Header=BB6_8225 Depth=2
	s_and_b64 vcc, exec, s[24:25]
	s_cbranch_vccz .LBB6_8789
; %bb.8776:                             ;   in Loop: Header=BB6_8225 Depth=2
	v_mov_b32_e32 v15, 0
	s_and_saveexec_b64 s[24:25], s[22:23]
	s_cbranch_execz .LBB6_8782
; %bb.8777:                             ;   in Loop: Header=BB6_8225 Depth=2
	v_cmp_ne_u16_e32 vcc, s49, v14
	v_bfrev_b32_e32 v15, 1
	s_and_saveexec_b64 s[22:23], vcc
	s_cbranch_execz .LBB6_8781
; %bb.8778:                             ;   in Loop: Header=BB6_8225 Depth=2
	v_and_b32_e32 v23, 0x7f, v14
	v_cmp_ne_u32_e32 vcc, s51, v23
	v_mov_b32_e32 v15, 0x7f800001
	s_and_saveexec_b64 s[26:27], vcc
	s_cbranch_execz .LBB6_8780
; %bb.8779:                             ;   in Loop: Header=BB6_8225 Depth=2
	v_and_b32_e32 v35, 7, v14
	v_ffbh_u32_e32 v15, v35
	v_lshrrev_b32_e32 v36, 3, v23
	v_cmp_gt_u32_e32 vcc, 8, v23
	v_min_u32_e32 v23, 32, v15
	v_subrev_u32_e32 v15, 28, v23
	v_lshlrev_b64 v[14:15], v15, v[14:15]
	v_sub_u32_e32 v15, 29, v23
	v_and_b32_e32 v14, 7, v14
	v_cndmask_b32_e32 v15, v36, v15, vcc
	v_cndmask_b32_e32 v14, v35, v14, vcc
	v_lshlrev_b32_e32 v2, 16, v2
	v_lshlrev_b32_e32 v14, 20, v14
	v_and_b32_e32 v2, 0x80000000, v2
	v_lshl_add_u32 v15, v15, 23, v5
	v_or3_b32 v15, v2, v15, v14
.LBB6_8780:                             ;   in Loop: Header=BB6_8225 Depth=2
	s_or_b64 exec, exec, s[26:27]
.LBB6_8781:                             ;   in Loop: Header=BB6_8225 Depth=2
	s_or_b64 exec, exec, s[22:23]
.LBB6_8782:                             ;   in Loop: Header=BB6_8225 Depth=2
	s_or_b64 exec, exec, s[24:25]
	v_cmp_lt_i16_e32 vcc, s51, v10
	s_mov_b64 s[22:23], 0
	s_and_saveexec_b64 s[24:25], vcc
	s_xor_b64 s[24:25], exec, s[24:25]
	s_cbranch_execz .LBB6_8923
; %bb.8783:                             ;   in Loop: Header=BB6_8225 Depth=2
	v_cmp_eq_u16_e32 vcc, s49, v10
	s_mov_b64 s[22:23], -1
	s_and_saveexec_b64 s[26:27], vcc
; %bb.8784:                             ;   in Loop: Header=BB6_8225 Depth=2
	s_xor_b64 s[22:23], exec, -1
; %bb.8785:                             ;   in Loop: Header=BB6_8225 Depth=2
	s_or_b64 exec, exec, s[26:27]
	s_and_b64 s[22:23], s[22:23], exec
                                        ; implicit-def: $vgpr10
	s_or_saveexec_b64 s[24:25], s[24:25]
	v_bfrev_b32_e32 v2, 1
	s_xor_b64 exec, exec, s[24:25]
	s_cbranch_execnz .LBB6_8924
.LBB6_8786:                             ;   in Loop: Header=BB6_8225 Depth=2
	s_or_b64 exec, exec, s[24:25]
	s_and_saveexec_b64 s[24:25], s[22:23]
.LBB6_8787:                             ;   in Loop: Header=BB6_8225 Depth=2
	v_cndmask_b32_e64 v2, v11, v54, s[20:21]
.LBB6_8788:                             ;   in Loop: Header=BB6_8225 Depth=2
	s_or_b64 exec, exec, s[24:25]
	v_max_f32_e32 v2, v2, v2
	v_max_f32_e32 v10, v15, v15
	v_min_f32_e32 v15, v10, v2
.LBB6_8789:                             ;   in Loop: Header=BB6_8225 Depth=2
	v_and_b32_e32 v2, 0x7f800000, v15
	v_cmp_ne_u64_e32 vcc, s[62:63], v[2:3]
                                        ; implicit-def: $vgpr23
	s_and_saveexec_b64 s[20:21], vcc
	s_xor_b64 s[22:23], exec, s[20:21]
	s_cbranch_execz .LBB6_8803
; %bb.8790:                             ;   in Loop: Header=BB6_8225 Depth=2
	v_and_b32_e32 v2, 0x7fffffff, v15
	v_cmp_gt_u64_e32 vcc, s[72:73], v[2:3]
	v_and_b32_sdwa v35, v15, s49 dst_sel:DWORD dst_unused:UNUSED_PAD src0_sel:BYTE_3 src1_sel:DWORD
                                        ; implicit-def: $vgpr23
	s_and_saveexec_b64 s[20:21], vcc
	s_xor_b64 s[24:25], exec, s[20:21]
	s_cbranch_execz .LBB6_8800
; %bb.8791:                             ;   in Loop: Header=BB6_8225 Depth=2
	v_mov_b32_e32 v23, 0
	v_cmp_ne_u32_e32 vcc, 0, v15
	s_and_saveexec_b64 s[26:27], vcc
	s_cbranch_execz .LBB6_8799
; %bb.8792:                             ;   in Loop: Header=BB6_8225 Depth=2
	v_bfe_u32 v23, v15, 23, 8
	v_cmp_gt_u32_e64 s[20:21], s53, v23
	v_sub_u32_e32 v10, 0x79, v23
	v_cmp_eq_u32_e32 vcc, 0, v23
	v_cndmask_b32_e64 v10, 0, v10, s[20:21]
	v_mov_b32_e32 v14, 0x78
	v_and_b32_e32 v2, 0x7fffff, v15
	v_cndmask_b32_e32 v36, v10, v14, vcc
	v_or_b32_e32 v11, 0x800000, v2
	v_add_u32_e32 v10, 20, v36
	v_cndmask_b32_e32 v2, v11, v2, vcc
	v_lshlrev_b64 v[10:11], v10, -1
	v_add_u32_e32 v14, 19, v36
	v_lshlrev_b64 v[14:15], v14, 1
	v_bfi_b32 v11, v11, 0, 0
	v_bfi_b32 v10, v10, 0, v2
	v_cmp_eq_u64_e64 s[20:21], v[10:11], v[14:15]
	v_lshrrev_b64 v[10:11], v36, v[2:3]
	v_mov_b32_e32 v15, v11
	v_mov_b32_e32 v14, v10
	s_and_saveexec_b64 s[34:35], s[20:21]
; %bb.8793:                             ;   in Loop: Header=BB6_8225 Depth=2
	v_bfe_u32 v2, v10, 20, 1
	v_add_co_u32_e64 v2, s[20:21], v10, v2
	v_add_co_u32_e64 v14, s[20:21], -1, v2
; %bb.8794:                             ;   in Loop: Header=BB6_8225 Depth=2
	s_or_b64 exec, exec, s[34:35]
	v_add_u32_e32 v2, 0xffffff81, v23
	v_cndmask_b32_e32 v2, v2, v59, vcc
	v_lshrrev_b32_e32 v11, 23, v10
	v_add3_u32 v23, v36, v2, v11
	v_add_u32_e32 v15, 6, v23
	v_and_b32_e32 v2, 0xfffff, v14
	v_add_u32_e32 v2, v2, v10
	v_cmp_ne_u32_e32 vcc, 0, v15
                                        ; implicit-def: $vgpr10_vgpr11
                                        ; implicit-def: $vgpr14
	s_and_saveexec_b64 s[20:21], vcc
	s_xor_b64 s[20:21], exec, s[20:21]
; %bb.8795:                             ;   in Loop: Header=BB6_8225 Depth=2
	v_cmp_lt_u64_e32 vcc, s[74:75], v[2:3]
	v_add_u32_e32 v10, 7, v23
	v_cndmask_b32_e32 v14, v15, v10, vcc
	v_cndmask_b32_e64 v10, 0, 1, vcc
	v_lshrrev_b64 v[10:11], v10, v[2:3]
; %bb.8796:                             ;   in Loop: Header=BB6_8225 Depth=2
	s_andn2_saveexec_b64 s[20:21], s[20:21]
; %bb.8797:                             ;   in Loop: Header=BB6_8225 Depth=2
	v_mov_b32_e32 v11, v3
	v_bfe_u32 v14, v2, 23, 1
	v_mov_b32_e32 v10, v2
; %bb.8798:                             ;   in Loop: Header=BB6_8225 Depth=2
	s_or_b64 exec, exec, s[20:21]
	v_lshrrev_b64 v[10:11], 20, v[10:11]
	v_cmp_gt_i32_e32 vcc, 16, v14
	v_cndmask_b32_e32 v11, 0, v11, vcc
	v_cndmask_b32_e32 v10, 7, v10, vcc
	v_min_i32_e32 v2, 15, v14
	v_cmp_eq_u64_e64 s[20:21], 0, v[10:11]
	v_lshlrev_b32_e32 v2, 3, v2
	v_cmp_eq_u32_e32 vcc, 0, v14
	v_and_b32_e32 v2, 0xf8, v2
	v_and_or_b32 v2, v10, 7, v2
	s_and_b64 s[20:21], vcc, s[20:21]
	v_cndmask_b32_e64 v2, v2, 0, s[20:21]
	v_or_b32_e32 v23, v2, v35
.LBB6_8799:                             ;   in Loop: Header=BB6_8225 Depth=2
	s_or_b64 exec, exec, s[26:27]
                                        ; implicit-def: $vgpr35
.LBB6_8800:                             ;   in Loop: Header=BB6_8225 Depth=2
	s_andn2_saveexec_b64 s[20:21], s[24:25]
; %bb.8801:                             ;   in Loop: Header=BB6_8225 Depth=2
	v_or_b32_e32 v23, 0x7e, v35
; %bb.8802:                             ;   in Loop: Header=BB6_8225 Depth=2
	s_or_b64 exec, exec, s[20:21]
                                        ; implicit-def: $vgpr15
.LBB6_8803:                             ;   in Loop: Header=BB6_8225 Depth=2
	s_andn2_saveexec_b64 s[20:21], s[22:23]
; %bb.8804:                             ;   in Loop: Header=BB6_8225 Depth=2
	v_or_b32_sdwa v23, v15, s51 dst_sel:DWORD dst_unused:UNUSED_PAD src0_sel:BYTE_3 src1_sel:DWORD
; %bb.8805:                             ;   in Loop: Header=BB6_8225 Depth=2
	s_or_b64 exec, exec, s[20:21]
	v_bfe_u32 v14, v17, 16, 3
	v_bfe_u32 v10, v17, 16, 7
	v_cmp_eq_u32_e64 s[20:21], s51, v10
	v_cmp_gt_u32_e32 vcc, 8, v10
	v_ffbh_u32_e32 v10, v14
	v_min_u32_e32 v35, 32, v10
	v_lshrrev_b32_e32 v2, 16, v17
	v_subrev_u32_e32 v10, 28, v35
	v_lshlrev_b64 v[10:11], v10, v[2:3]
	v_bfe_u32 v15, v2, 3, 4
	v_sub_u32_e32 v11, 29, v35
	v_and_b32_e32 v10, 7, v10
	v_cndmask_b32_e32 v11, v15, v11, vcc
	v_cndmask_b32_e32 v10, v14, v10, vcc
	v_lshlrev_b32_e32 v14, 8, v17
	v_lshlrev_b32_e32 v10, 20, v10
	v_and_b32_e32 v14, 0x80000000, v14
	v_lshl_add_u32 v11, v11, 23, v5
	v_or3_b32 v11, v14, v11, v10
	v_lshrrev_b32_e32 v10, 16, v13
	v_cmp_ne_u16_sdwa s[22:23], v10, v3 src0_sel:BYTE_0 src1_sel:DWORD
	s_mov_b64 s[24:25], -1
	s_and_b64 vcc, exec, s[30:31]
                                        ; implicit-def: $vgpr15
	s_cbranch_vccz .LBB6_8819
; %bb.8806:                             ;   in Loop: Header=BB6_8225 Depth=2
	v_mov_b32_e32 v14, 0
	s_and_saveexec_b64 s[24:25], s[22:23]
	s_cbranch_execz .LBB6_8812
; %bb.8807:                             ;   in Loop: Header=BB6_8225 Depth=2
	v_cmp_ne_u16_sdwa vcc, v10, s49 src0_sel:BYTE_0 src1_sel:DWORD
	v_bfrev_b32_e32 v14, 1
	s_and_saveexec_b64 s[26:27], vcc
	s_cbranch_execz .LBB6_8811
; %bb.8808:                             ;   in Loop: Header=BB6_8225 Depth=2
	v_bfe_u32 v15, v13, 16, 7
	v_cmp_ne_u32_e32 vcc, s51, v15
	v_mov_b32_e32 v14, 0x7f800001
	s_and_saveexec_b64 s[34:35], vcc
	s_cbranch_execz .LBB6_8810
; %bb.8809:                             ;   in Loop: Header=BB6_8225 Depth=2
	v_and_b32_e32 v35, 7, v10
	v_ffbh_u32_e32 v14, v35
	v_min_u32_e32 v37, 32, v14
	v_subrev_u32_e32 v14, 28, v37
	v_lshrrev_b32_e32 v36, 3, v15
	v_cmp_gt_u32_e32 vcc, 8, v15
	v_lshlrev_b64 v[14:15], v14, v[10:11]
	v_sub_u32_e32 v15, 29, v37
	v_and_b32_e32 v14, 7, v14
	v_cndmask_b32_e32 v15, v36, v15, vcc
	v_cndmask_b32_e32 v14, v35, v14, vcc
	v_lshlrev_b32_e32 v35, 24, v10
	v_lshlrev_b32_e32 v14, 20, v14
	v_and_b32_e32 v35, 0x80000000, v35
	v_lshl_add_u32 v15, v15, 23, v5
	v_or3_b32 v14, v35, v15, v14
.LBB6_8810:                             ;   in Loop: Header=BB6_8225 Depth=2
	s_or_b64 exec, exec, s[34:35]
.LBB6_8811:                             ;   in Loop: Header=BB6_8225 Depth=2
	s_or_b64 exec, exec, s[26:27]
.LBB6_8812:                             ;   in Loop: Header=BB6_8225 Depth=2
	s_or_b64 exec, exec, s[24:25]
	v_cmp_gt_i16_sdwa s[26:27], v2, s51 src0_sel:BYTE_0 src1_sel:DWORD
	s_mov_b64 s[24:25], 0
	s_and_saveexec_b64 vcc, s[26:27]
	s_xor_b64 s[26:27], exec, vcc
	s_cbranch_execz .LBB6_8925
; %bb.8813:                             ;   in Loop: Header=BB6_8225 Depth=2
	v_cmp_eq_u16_sdwa s[34:35], v2, s49 src0_sel:BYTE_0 src1_sel:DWORD
	s_mov_b64 s[24:25], -1
	s_and_saveexec_b64 vcc, s[34:35]
; %bb.8814:                             ;   in Loop: Header=BB6_8225 Depth=2
	s_xor_b64 s[24:25], exec, -1
; %bb.8815:                             ;   in Loop: Header=BB6_8225 Depth=2
	s_or_b64 exec, exec, vcc
	s_and_b64 s[24:25], s[24:25], exec
	s_or_saveexec_b64 s[26:27], s[26:27]
	v_bfrev_b32_e32 v15, 1
	s_xor_b64 exec, exec, s[26:27]
	s_cbranch_execnz .LBB6_8926
.LBB6_8816:                             ;   in Loop: Header=BB6_8225 Depth=2
	s_or_b64 exec, exec, s[26:27]
	s_and_saveexec_b64 s[26:27], s[24:25]
.LBB6_8817:                             ;   in Loop: Header=BB6_8225 Depth=2
	v_cndmask_b32_e64 v15, v11, v54, s[20:21]
.LBB6_8818:                             ;   in Loop: Header=BB6_8225 Depth=2
	s_or_b64 exec, exec, s[26:27]
	v_max_f32_e32 v15, v15, v15
	v_max_f32_e32 v14, v14, v14
	;; [unrolled: 1-line block ×3, first 2 shown]
	s_mov_b64 s[24:25], 0
.LBB6_8819:                             ;   in Loop: Header=BB6_8225 Depth=2
	s_and_b64 vcc, exec, s[24:25]
	s_cbranch_vccz .LBB6_8833
; %bb.8820:                             ;   in Loop: Header=BB6_8225 Depth=2
	v_mov_b32_e32 v14, 0
	s_and_saveexec_b64 s[24:25], s[22:23]
	s_cbranch_execz .LBB6_8826
; %bb.8821:                             ;   in Loop: Header=BB6_8225 Depth=2
	v_cmp_ne_u16_sdwa s[26:27], v10, s49 src0_sel:BYTE_0 src1_sel:DWORD
	v_bfrev_b32_e32 v14, 1
	s_and_saveexec_b64 s[22:23], s[26:27]
	s_cbranch_execz .LBB6_8825
; %bb.8822:                             ;   in Loop: Header=BB6_8225 Depth=2
	v_bfe_u32 v15, v13, 16, 7
	v_cmp_ne_u32_e32 vcc, s51, v15
	v_mov_b32_e32 v14, 0x7f800001
	s_and_saveexec_b64 s[26:27], vcc
	s_cbranch_execz .LBB6_8824
; %bb.8823:                             ;   in Loop: Header=BB6_8225 Depth=2
	v_and_b32_e32 v35, 7, v10
	v_ffbh_u32_e32 v14, v35
	v_min_u32_e32 v37, 32, v14
	v_subrev_u32_e32 v14, 28, v37
	v_lshrrev_b32_e32 v36, 3, v15
	v_cmp_gt_u32_e32 vcc, 8, v15
	v_lshlrev_b64 v[14:15], v14, v[10:11]
	v_sub_u32_e32 v15, 29, v37
	v_and_b32_e32 v14, 7, v14
	v_cndmask_b32_e32 v15, v36, v15, vcc
	v_cndmask_b32_e32 v14, v35, v14, vcc
	v_lshlrev_b32_e32 v10, 24, v10
	v_lshlrev_b32_e32 v14, 20, v14
	v_and_b32_e32 v10, 0x80000000, v10
	v_lshl_add_u32 v15, v15, 23, v5
	v_or3_b32 v14, v10, v15, v14
.LBB6_8824:                             ;   in Loop: Header=BB6_8225 Depth=2
	s_or_b64 exec, exec, s[26:27]
.LBB6_8825:                             ;   in Loop: Header=BB6_8225 Depth=2
	s_or_b64 exec, exec, s[22:23]
.LBB6_8826:                             ;   in Loop: Header=BB6_8225 Depth=2
	s_or_b64 exec, exec, s[24:25]
	v_cmp_gt_i16_sdwa s[24:25], v2, s51 src0_sel:BYTE_0 src1_sel:DWORD
	s_mov_b64 s[22:23], 0
	s_and_saveexec_b64 s[26:27], s[24:25]
	s_xor_b64 s[24:25], exec, s[26:27]
	s_cbranch_execz .LBB6_8927
; %bb.8827:                             ;   in Loop: Header=BB6_8225 Depth=2
	v_cmp_eq_u16_sdwa vcc, v2, s49 src0_sel:BYTE_0 src1_sel:DWORD
	s_mov_b64 s[22:23], -1
	s_and_saveexec_b64 s[26:27], vcc
; %bb.8828:                             ;   in Loop: Header=BB6_8225 Depth=2
	s_xor_b64 s[22:23], exec, -1
; %bb.8829:                             ;   in Loop: Header=BB6_8225 Depth=2
	s_or_b64 exec, exec, s[26:27]
	s_and_b64 s[22:23], s[22:23], exec
                                        ; implicit-def: $vgpr2
	s_or_saveexec_b64 s[24:25], s[24:25]
	v_bfrev_b32_e32 v10, 1
	s_xor_b64 exec, exec, s[24:25]
	s_cbranch_execnz .LBB6_8928
.LBB6_8830:                             ;   in Loop: Header=BB6_8225 Depth=2
	s_or_b64 exec, exec, s[24:25]
	s_and_saveexec_b64 s[24:25], s[22:23]
.LBB6_8831:                             ;   in Loop: Header=BB6_8225 Depth=2
	v_cndmask_b32_e64 v10, v11, v54, s[20:21]
.LBB6_8832:                             ;   in Loop: Header=BB6_8225 Depth=2
	s_or_b64 exec, exec, s[24:25]
	v_max_f32_e32 v2, v10, v10
	v_max_f32_e32 v10, v14, v14
	v_min_f32_e32 v15, v10, v2
.LBB6_8833:                             ;   in Loop: Header=BB6_8225 Depth=2
	v_and_b32_e32 v2, 0x7f800000, v15
	v_cmp_ne_u64_e32 vcc, s[62:63], v[2:3]
                                        ; implicit-def: $vgpr14
	s_and_saveexec_b64 s[20:21], vcc
	s_xor_b64 s[22:23], exec, s[20:21]
	s_cbranch_execz .LBB6_8847
; %bb.8834:                             ;   in Loop: Header=BB6_8225 Depth=2
	v_and_b32_e32 v2, 0x7fffffff, v15
	v_cmp_gt_u64_e32 vcc, s[72:73], v[2:3]
	v_and_b32_sdwa v35, v15, s49 dst_sel:DWORD dst_unused:UNUSED_PAD src0_sel:BYTE_3 src1_sel:DWORD
                                        ; implicit-def: $vgpr14
	s_and_saveexec_b64 s[20:21], vcc
	s_xor_b64 s[24:25], exec, s[20:21]
	s_cbranch_execz .LBB6_8844
; %bb.8835:                             ;   in Loop: Header=BB6_8225 Depth=2
	v_mov_b32_e32 v14, 0
	v_cmp_ne_u32_e32 vcc, 0, v15
	s_and_saveexec_b64 s[26:27], vcc
	s_cbranch_execz .LBB6_8843
; %bb.8836:                             ;   in Loop: Header=BB6_8225 Depth=2
	v_bfe_u32 v36, v15, 23, 8
	v_cmp_gt_u32_e64 s[20:21], s53, v36
	v_sub_u32_e32 v10, 0x79, v36
	v_cmp_eq_u32_e32 vcc, 0, v36
	v_cndmask_b32_e64 v10, 0, v10, s[20:21]
	v_mov_b32_e32 v14, 0x78
	v_and_b32_e32 v2, 0x7fffff, v15
	v_cndmask_b32_e32 v37, v10, v14, vcc
	v_or_b32_e32 v11, 0x800000, v2
	v_add_u32_e32 v10, 20, v37
	v_cndmask_b32_e32 v2, v11, v2, vcc
	v_lshlrev_b64 v[10:11], v10, -1
	v_add_u32_e32 v14, 19, v37
	v_lshlrev_b64 v[14:15], v14, 1
	v_bfi_b32 v11, v11, 0, 0
	v_bfi_b32 v10, v10, 0, v2
	v_cmp_eq_u64_e64 s[20:21], v[10:11], v[14:15]
	v_lshrrev_b64 v[10:11], v37, v[2:3]
	v_mov_b32_e32 v15, v11
	v_mov_b32_e32 v14, v10
	s_and_saveexec_b64 s[34:35], s[20:21]
; %bb.8837:                             ;   in Loop: Header=BB6_8225 Depth=2
	v_bfe_u32 v2, v10, 20, 1
	v_add_co_u32_e64 v2, s[20:21], v10, v2
	v_add_co_u32_e64 v14, s[20:21], -1, v2
; %bb.8838:                             ;   in Loop: Header=BB6_8225 Depth=2
	s_or_b64 exec, exec, s[34:35]
	v_add_u32_e32 v2, 0xffffff81, v36
	v_cndmask_b32_e32 v2, v2, v59, vcc
	v_lshrrev_b32_e32 v11, 23, v10
	v_add3_u32 v36, v37, v2, v11
	v_add_u32_e32 v15, 6, v36
	v_and_b32_e32 v2, 0xfffff, v14
	v_add_u32_e32 v2, v2, v10
	v_cmp_ne_u32_e32 vcc, 0, v15
                                        ; implicit-def: $vgpr10_vgpr11
                                        ; implicit-def: $vgpr14
	s_and_saveexec_b64 s[20:21], vcc
	s_xor_b64 s[20:21], exec, s[20:21]
; %bb.8839:                             ;   in Loop: Header=BB6_8225 Depth=2
	v_cmp_lt_u64_e32 vcc, s[74:75], v[2:3]
	v_add_u32_e32 v10, 7, v36
	v_cndmask_b32_e32 v14, v15, v10, vcc
	v_cndmask_b32_e64 v10, 0, 1, vcc
	v_lshrrev_b64 v[10:11], v10, v[2:3]
; %bb.8840:                             ;   in Loop: Header=BB6_8225 Depth=2
	s_andn2_saveexec_b64 s[20:21], s[20:21]
; %bb.8841:                             ;   in Loop: Header=BB6_8225 Depth=2
	v_mov_b32_e32 v11, v3
	v_bfe_u32 v14, v2, 23, 1
	v_mov_b32_e32 v10, v2
; %bb.8842:                             ;   in Loop: Header=BB6_8225 Depth=2
	s_or_b64 exec, exec, s[20:21]
	v_lshrrev_b64 v[10:11], 20, v[10:11]
	v_cmp_gt_i32_e32 vcc, 16, v14
	v_cndmask_b32_e32 v11, 0, v11, vcc
	v_cndmask_b32_e32 v10, 7, v10, vcc
	v_min_i32_e32 v2, 15, v14
	v_cmp_eq_u64_e64 s[20:21], 0, v[10:11]
	v_lshlrev_b32_e32 v2, 3, v2
	v_cmp_eq_u32_e32 vcc, 0, v14
	v_and_b32_e32 v2, 0xf8, v2
	v_and_or_b32 v2, v10, 7, v2
	s_and_b64 s[20:21], vcc, s[20:21]
	v_cndmask_b32_e64 v2, v2, 0, s[20:21]
	v_or_b32_e32 v14, v2, v35
.LBB6_8843:                             ;   in Loop: Header=BB6_8225 Depth=2
	s_or_b64 exec, exec, s[26:27]
                                        ; implicit-def: $vgpr35
.LBB6_8844:                             ;   in Loop: Header=BB6_8225 Depth=2
	s_andn2_saveexec_b64 s[20:21], s[24:25]
; %bb.8845:                             ;   in Loop: Header=BB6_8225 Depth=2
	v_or_b32_e32 v14, 0x7e, v35
; %bb.8846:                             ;   in Loop: Header=BB6_8225 Depth=2
	s_or_b64 exec, exec, s[20:21]
                                        ; implicit-def: $vgpr15
.LBB6_8847:                             ;   in Loop: Header=BB6_8225 Depth=2
	s_andn2_saveexec_b64 s[20:21], s[22:23]
; %bb.8848:                             ;   in Loop: Header=BB6_8225 Depth=2
	v_or_b32_sdwa v14, v15, s51 dst_sel:DWORD dst_unused:UNUSED_PAD src0_sel:BYTE_3 src1_sel:DWORD
; %bb.8849:                             ;   in Loop: Header=BB6_8225 Depth=2
	s_or_b64 exec, exec, s[20:21]
	v_bfe_u32 v15, v17, 24, 3
	v_bfe_u32 v11, v17, 24, 7
	v_cmp_eq_u32_e64 s[24:25], s51, v11
	v_cmp_gt_u32_e32 vcc, 8, v11
	v_ffbh_u32_e32 v11, v15
	v_min_u32_e32 v35, 32, v11
	v_lshrrev_b32_e32 v10, 24, v17
	v_subrev_u32_e32 v11, 28, v35
	v_cmp_gt_u64_e64 s[20:21], s[56:57], v[16:17]
	v_bfe_u32 v16, v10, 3, 4
	v_cmp_eq_u32_e64 s[22:23], s49, v10
	v_lshlrev_b64 v[10:11], v11, v[10:11]
	v_sub_u32_e32 v11, 29, v35
	v_and_b32_e32 v10, 7, v10
	v_cndmask_b32_e32 v11, v16, v11, vcc
	v_cndmask_b32_e32 v10, v15, v10, vcc
	v_lshlrev_b32_e32 v10, 20, v10
	v_and_b32_e32 v15, 0x80000000, v17
	v_lshl_add_u32 v11, v11, 23, v5
	v_cmp_lt_u64_e64 s[26:27], s[76:77], v[12:13]
	v_lshrrev_b32_e32 v2, 24, v13
	v_or3_b32 v10, v15, v11, v10
	s_mov_b64 s[34:35], -1
	s_and_b64 vcc, exec, s[30:31]
                                        ; implicit-def: $vgpr11
	s_cbranch_vccz .LBB6_8857
; %bb.8850:                             ;   in Loop: Header=BB6_8225 Depth=2
	v_mov_b32_e32 v11, 0
	s_and_saveexec_b64 s[34:35], s[26:27]
	s_cbranch_execz .LBB6_8856
; %bb.8851:                             ;   in Loop: Header=BB6_8225 Depth=2
	v_cmp_ne_u32_e32 vcc, s49, v2
	v_bfrev_b32_e32 v11, 1
	s_and_saveexec_b64 s[36:37], vcc
	s_cbranch_execz .LBB6_8855
; %bb.8852:                             ;   in Loop: Header=BB6_8225 Depth=2
	v_bfe_u32 v12, v13, 24, 7
	v_cmp_ne_u32_e32 vcc, s51, v12
	v_mov_b32_e32 v11, 0x7f800001
	s_and_saveexec_b64 s[38:39], vcc
	s_cbranch_execz .LBB6_8854
; %bb.8853:                             ;   in Loop: Header=BB6_8225 Depth=2
	v_and_b32_e32 v15, 7, v2
	v_ffbh_u32_e32 v11, v15
	v_min_u32_e32 v17, 32, v11
	v_subrev_u32_e32 v11, 28, v17
	v_lshrrev_b32_e32 v16, 3, v12
	v_cmp_gt_u32_e32 vcc, 8, v12
	v_lshlrev_b64 v[11:12], v11, v[2:3]
	v_sub_u32_e32 v12, 29, v17
	v_and_b32_e32 v11, 7, v11
	v_cndmask_b32_e32 v12, v16, v12, vcc
	v_cndmask_b32_e32 v11, v15, v11, vcc
	v_lshlrev_b32_e32 v15, 24, v2
	v_lshlrev_b32_e32 v11, 20, v11
	v_and_b32_e32 v15, 0x80000000, v15
	v_lshl_add_u32 v12, v12, 23, v5
	v_or3_b32 v11, v15, v12, v11
.LBB6_8854:                             ;   in Loop: Header=BB6_8225 Depth=2
	s_or_b64 exec, exec, s[38:39]
.LBB6_8855:                             ;   in Loop: Header=BB6_8225 Depth=2
	s_or_b64 exec, exec, s[36:37]
.LBB6_8856:                             ;   in Loop: Header=BB6_8225 Depth=2
	s_or_b64 exec, exec, s[34:35]
	v_cndmask_b32_e64 v12, v10, v54, s[24:25]
	v_cndmask_b32_e64 v12, v12, v48, s[22:23]
	;; [unrolled: 1-line block ×3, first 2 shown]
	v_max_f32_e32 v12, v12, v12
	v_max_f32_e32 v11, v11, v11
	;; [unrolled: 1-line block ×3, first 2 shown]
	s_mov_b64 s[34:35], 0
.LBB6_8857:                             ;   in Loop: Header=BB6_8225 Depth=2
	s_and_b64 vcc, exec, s[34:35]
	s_cbranch_vccz .LBB6_8865
; %bb.8858:                             ;   in Loop: Header=BB6_8225 Depth=2
	v_mov_b32_e32 v11, 0
	s_and_saveexec_b64 s[34:35], s[26:27]
	s_cbranch_execz .LBB6_8864
; %bb.8859:                             ;   in Loop: Header=BB6_8225 Depth=2
	v_cmp_ne_u32_e32 vcc, s49, v2
	v_bfrev_b32_e32 v11, 1
	s_and_saveexec_b64 s[26:27], vcc
	s_cbranch_execz .LBB6_8863
; %bb.8860:                             ;   in Loop: Header=BB6_8225 Depth=2
	v_bfe_u32 v12, v13, 24, 7
	v_cmp_ne_u32_e32 vcc, s51, v12
	v_mov_b32_e32 v11, 0x7f800001
	s_and_saveexec_b64 s[36:37], vcc
	s_cbranch_execz .LBB6_8862
; %bb.8861:                             ;   in Loop: Header=BB6_8225 Depth=2
	v_and_b32_e32 v13, 7, v2
	v_ffbh_u32_e32 v11, v13
	v_min_u32_e32 v16, 32, v11
	v_subrev_u32_e32 v11, 28, v16
	v_lshrrev_b32_e32 v15, 3, v12
	v_cmp_gt_u32_e32 vcc, 8, v12
	v_lshlrev_b64 v[11:12], v11, v[2:3]
	v_sub_u32_e32 v12, 29, v16
	v_and_b32_e32 v11, 7, v11
	v_cndmask_b32_e32 v12, v15, v12, vcc
	v_cndmask_b32_e32 v11, v13, v11, vcc
	v_lshlrev_b32_e32 v2, 24, v2
	v_lshlrev_b32_e32 v11, 20, v11
	v_and_b32_e32 v2, 0x80000000, v2
	v_lshl_add_u32 v12, v12, 23, v5
	v_or3_b32 v11, v2, v12, v11
.LBB6_8862:                             ;   in Loop: Header=BB6_8225 Depth=2
	s_or_b64 exec, exec, s[36:37]
.LBB6_8863:                             ;   in Loop: Header=BB6_8225 Depth=2
	s_or_b64 exec, exec, s[26:27]
.LBB6_8864:                             ;   in Loop: Header=BB6_8225 Depth=2
	s_or_b64 exec, exec, s[34:35]
	v_cndmask_b32_e64 v2, v10, v54, s[24:25]
	v_cndmask_b32_e64 v2, v2, v48, s[22:23]
	;; [unrolled: 1-line block ×3, first 2 shown]
	v_max_f32_e32 v2, v2, v2
	v_max_f32_e32 v10, v11, v11
	v_min_f32_e32 v11, v10, v2
.LBB6_8865:                             ;   in Loop: Header=BB6_8225 Depth=2
	v_and_b32_e32 v2, 0x7f800000, v11
	v_cmp_ne_u64_e32 vcc, s[62:63], v[2:3]
                                        ; implicit-def: $vgpr2
	s_and_saveexec_b64 s[20:21], vcc
	s_xor_b64 s[22:23], exec, s[20:21]
	s_cbranch_execz .LBB6_8879
; %bb.8866:                             ;   in Loop: Header=BB6_8225 Depth=2
	v_and_b32_e32 v2, 0x7fffffff, v11
	v_cmp_gt_u64_e32 vcc, s[72:73], v[2:3]
	v_and_b32_sdwa v13, v11, s49 dst_sel:DWORD dst_unused:UNUSED_PAD src0_sel:BYTE_3 src1_sel:DWORD
                                        ; implicit-def: $vgpr2
	s_and_saveexec_b64 s[20:21], vcc
	s_xor_b64 s[24:25], exec, s[20:21]
	s_cbranch_execz .LBB6_8876
; %bb.8867:                             ;   in Loop: Header=BB6_8225 Depth=2
	v_mov_b32_e32 v2, 0
	v_cmp_ne_u32_e32 vcc, 0, v11
	s_and_saveexec_b64 s[26:27], vcc
	s_cbranch_execz .LBB6_8875
; %bb.8868:                             ;   in Loop: Header=BB6_8225 Depth=2
	v_bfe_u32 v15, v11, 23, 8
	v_cmp_gt_u32_e64 s[20:21], s53, v15
	v_sub_u32_e32 v10, 0x79, v15
	v_cmp_eq_u32_e32 vcc, 0, v15
	v_cndmask_b32_e64 v10, 0, v10, s[20:21]
	v_mov_b32_e32 v12, 0x78
	v_and_b32_e32 v2, 0x7fffff, v11
	v_cndmask_b32_e32 v16, v10, v12, vcc
	v_or_b32_e32 v11, 0x800000, v2
	v_add_u32_e32 v10, 20, v16
	v_cndmask_b32_e32 v2, v11, v2, vcc
	v_lshlrev_b64 v[10:11], v10, -1
	v_add_u32_e32 v12, 19, v16
	v_lshlrev_b64 v[35:36], v12, 1
	v_bfi_b32 v11, v11, 0, 0
	v_bfi_b32 v10, v10, 0, v2
	v_cmp_eq_u64_e64 s[20:21], v[10:11], v[35:36]
	v_lshrrev_b64 v[10:11], v16, v[2:3]
	v_mov_b32_e32 v12, v11
	v_mov_b32_e32 v11, v10
	s_and_saveexec_b64 s[34:35], s[20:21]
; %bb.8869:                             ;   in Loop: Header=BB6_8225 Depth=2
	v_bfe_u32 v2, v10, 20, 1
	v_add_co_u32_e64 v2, s[20:21], v10, v2
	v_add_co_u32_e64 v11, s[20:21], -1, v2
; %bb.8870:                             ;   in Loop: Header=BB6_8225 Depth=2
	s_or_b64 exec, exec, s[34:35]
	v_add_u32_e32 v2, 0xffffff81, v15
	v_cndmask_b32_e32 v2, v2, v59, vcc
	v_lshrrev_b32_e32 v12, 23, v10
	v_add3_u32 v16, v16, v2, v12
	v_add_u32_e32 v15, 6, v16
	v_and_b32_e32 v2, 0xfffff, v11
	v_add_u32_e32 v2, v2, v10
	v_cmp_ne_u32_e32 vcc, 0, v15
                                        ; implicit-def: $vgpr10_vgpr11
                                        ; implicit-def: $vgpr12
	s_and_saveexec_b64 s[20:21], vcc
	s_xor_b64 s[20:21], exec, s[20:21]
; %bb.8871:                             ;   in Loop: Header=BB6_8225 Depth=2
	v_cmp_lt_u64_e32 vcc, s[74:75], v[2:3]
	v_add_u32_e32 v10, 7, v16
	v_cndmask_b32_e32 v12, v15, v10, vcc
	v_cndmask_b32_e64 v10, 0, 1, vcc
	v_lshrrev_b64 v[10:11], v10, v[2:3]
; %bb.8872:                             ;   in Loop: Header=BB6_8225 Depth=2
	s_andn2_saveexec_b64 s[20:21], s[20:21]
; %bb.8873:                             ;   in Loop: Header=BB6_8225 Depth=2
	v_mov_b32_e32 v11, v3
	v_bfe_u32 v12, v2, 23, 1
	v_mov_b32_e32 v10, v2
; %bb.8874:                             ;   in Loop: Header=BB6_8225 Depth=2
	s_or_b64 exec, exec, s[20:21]
	v_lshrrev_b64 v[10:11], 20, v[10:11]
	v_cmp_gt_i32_e32 vcc, 16, v12
	v_cndmask_b32_e32 v11, 0, v11, vcc
	v_cndmask_b32_e32 v10, 7, v10, vcc
	v_min_i32_e32 v2, 15, v12
	v_cmp_eq_u64_e64 s[20:21], 0, v[10:11]
	v_lshlrev_b32_e32 v2, 3, v2
	v_cmp_eq_u32_e32 vcc, 0, v12
	v_and_b32_e32 v2, 0xf8, v2
	v_and_or_b32 v2, v10, 7, v2
	s_and_b64 s[20:21], vcc, s[20:21]
	v_cndmask_b32_e64 v2, v2, 0, s[20:21]
	v_or_b32_e32 v2, v2, v13
.LBB6_8875:                             ;   in Loop: Header=BB6_8225 Depth=2
	s_or_b64 exec, exec, s[26:27]
                                        ; implicit-def: $vgpr13
.LBB6_8876:                             ;   in Loop: Header=BB6_8225 Depth=2
	s_andn2_saveexec_b64 s[20:21], s[24:25]
; %bb.8877:                             ;   in Loop: Header=BB6_8225 Depth=2
	v_or_b32_e32 v2, 0x7e, v13
; %bb.8878:                             ;   in Loop: Header=BB6_8225 Depth=2
	s_or_b64 exec, exec, s[20:21]
                                        ; implicit-def: $vgpr11
.LBB6_8879:                             ;   in Loop: Header=BB6_8225 Depth=2
	s_andn2_saveexec_b64 s[20:21], s[22:23]
	s_cbranch_execz .LBB6_8224
; %bb.8880:                             ;   in Loop: Header=BB6_8225 Depth=2
	v_or_b32_sdwa v2, v11, s51 dst_sel:DWORD dst_unused:UNUSED_PAD src0_sel:BYTE_3 src1_sel:DWORD
	s_branch .LBB6_8224
.LBB6_8881:                             ;   in Loop: Header=BB6_8225 Depth=2
	s_or_saveexec_b64 s[26:27], s[26:27]
	v_bfrev_b32_e32 v22, 1
	s_xor_b64 exec, exec, s[26:27]
	s_cbranch_execz .LBB6_8236
.LBB6_8882:                             ;   in Loop: Header=BB6_8225 Depth=2
	v_cmp_ne_u16_sdwa vcc, v14, v3 src0_sel:BYTE_0 src1_sel:DWORD
	s_andn2_b64 s[24:25], s[24:25], exec
	s_and_b64 vcc, vcc, exec
	v_mov_b32_e32 v22, 0
	s_or_b64 s[24:25], s[24:25], vcc
	s_or_b64 exec, exec, s[26:27]
	s_and_saveexec_b64 s[26:27], s[24:25]
	s_cbranch_execnz .LBB6_8237
	s_branch .LBB6_8238
.LBB6_8883:                             ;   in Loop: Header=BB6_8225 Depth=2
	s_or_saveexec_b64 s[24:25], s[24:25]
	v_bfrev_b32_e32 v22, 1
	s_xor_b64 exec, exec, s[24:25]
	s_cbranch_execz .LBB6_8250
.LBB6_8884:                             ;   in Loop: Header=BB6_8225 Depth=2
	v_cmp_ne_u16_sdwa s[26:27], v14, v3 src0_sel:BYTE_0 src1_sel:DWORD
	s_andn2_b64 s[22:23], s[22:23], exec
	s_and_b64 s[26:27], s[26:27], exec
	v_mov_b32_e32 v22, 0
	s_or_b64 s[22:23], s[22:23], s[26:27]
	s_or_b64 exec, exec, s[24:25]
	s_and_saveexec_b64 s[24:25], s[22:23]
	s_cbranch_execnz .LBB6_8251
	s_branch .LBB6_8252
.LBB6_8885:                             ;   in Loop: Header=BB6_8225 Depth=2
	s_or_saveexec_b64 s[26:27], s[26:27]
	v_bfrev_b32_e32 v25, 1
	s_xor_b64 exec, exec, s[26:27]
	s_cbranch_execz .LBB6_8280
.LBB6_8886:                             ;   in Loop: Header=BB6_8225 Depth=2
	v_cmp_ne_u16_e32 vcc, 0, v2
	s_andn2_b64 s[24:25], s[24:25], exec
	s_and_b64 vcc, vcc, exec
	v_mov_b32_e32 v25, 0
	s_or_b64 s[24:25], s[24:25], vcc
	s_or_b64 exec, exec, s[26:27]
	s_and_saveexec_b64 s[26:27], s[24:25]
	s_cbranch_execnz .LBB6_8281
	s_branch .LBB6_8282
.LBB6_8887:                             ;   in Loop: Header=BB6_8225 Depth=2
	s_or_saveexec_b64 s[24:25], s[24:25]
	v_bfrev_b32_e32 v22, 1
	s_xor_b64 exec, exec, s[24:25]
	s_cbranch_execz .LBB6_8294
.LBB6_8888:                             ;   in Loop: Header=BB6_8225 Depth=2
	v_cmp_ne_u16_e32 vcc, 0, v2
	s_andn2_b64 s[22:23], s[22:23], exec
	s_and_b64 s[26:27], vcc, exec
	v_mov_b32_e32 v22, 0
	s_or_b64 s[22:23], s[22:23], s[26:27]
	s_or_b64 exec, exec, s[24:25]
	s_and_saveexec_b64 s[24:25], s[22:23]
	s_cbranch_execnz .LBB6_8295
	s_branch .LBB6_8296
.LBB6_8889:                             ;   in Loop: Header=BB6_8225 Depth=2
	s_or_saveexec_b64 s[26:27], s[26:27]
	v_bfrev_b32_e32 v25, 1
	s_xor_b64 exec, exec, s[26:27]
	s_cbranch_execz .LBB6_8324
.LBB6_8890:                             ;   in Loop: Header=BB6_8225 Depth=2
	v_cmp_ne_u16_sdwa vcc, v2, v3 src0_sel:BYTE_0 src1_sel:DWORD
	s_andn2_b64 s[24:25], s[24:25], exec
	s_and_b64 vcc, vcc, exec
	v_mov_b32_e32 v25, 0
	s_or_b64 s[24:25], s[24:25], vcc
	s_or_b64 exec, exec, s[26:27]
	s_and_saveexec_b64 s[26:27], s[24:25]
	s_cbranch_execnz .LBB6_8325
	s_branch .LBB6_8326
.LBB6_8891:                             ;   in Loop: Header=BB6_8225 Depth=2
	s_or_saveexec_b64 s[24:25], s[24:25]
	v_bfrev_b32_e32 v22, 1
	s_xor_b64 exec, exec, s[24:25]
	s_cbranch_execz .LBB6_8338
.LBB6_8892:                             ;   in Loop: Header=BB6_8225 Depth=2
	v_cmp_ne_u16_sdwa s[26:27], v2, v3 src0_sel:BYTE_0 src1_sel:DWORD
	s_andn2_b64 s[22:23], s[22:23], exec
	s_and_b64 s[26:27], s[26:27], exec
	v_mov_b32_e32 v22, 0
	s_or_b64 s[22:23], s[22:23], s[26:27]
	s_or_b64 exec, exec, s[24:25]
	s_and_saveexec_b64 s[24:25], s[22:23]
	s_cbranch_execnz .LBB6_8339
	s_branch .LBB6_8340
.LBB6_8893:                             ;   in Loop: Header=BB6_8225 Depth=2
	s_or_saveexec_b64 s[26:27], s[26:27]
	v_bfrev_b32_e32 v29, 1
	s_xor_b64 exec, exec, s[26:27]
	s_cbranch_execz .LBB6_8400
.LBB6_8894:                             ;   in Loop: Header=BB6_8225 Depth=2
	v_cmp_ne_u16_sdwa vcc, v15, v3 src0_sel:BYTE_0 src1_sel:DWORD
	s_andn2_b64 s[24:25], s[24:25], exec
	s_and_b64 vcc, vcc, exec
	v_mov_b32_e32 v29, 0
	s_or_b64 s[24:25], s[24:25], vcc
	s_or_b64 exec, exec, s[26:27]
	s_and_saveexec_b64 s[26:27], s[24:25]
	s_cbranch_execnz .LBB6_8401
	s_branch .LBB6_8402
.LBB6_8895:                             ;   in Loop: Header=BB6_8225 Depth=2
	s_or_saveexec_b64 s[24:25], s[24:25]
	v_bfrev_b32_e32 v23, 1
	s_xor_b64 exec, exec, s[24:25]
	s_cbranch_execz .LBB6_8414
.LBB6_8896:                             ;   in Loop: Header=BB6_8225 Depth=2
	v_cmp_ne_u16_sdwa s[26:27], v15, v3 src0_sel:BYTE_0 src1_sel:DWORD
	s_andn2_b64 s[22:23], s[22:23], exec
	s_and_b64 s[26:27], s[26:27], exec
	v_mov_b32_e32 v23, 0
	s_or_b64 s[22:23], s[22:23], s[26:27]
	s_or_b64 exec, exec, s[24:25]
	s_and_saveexec_b64 s[24:25], s[22:23]
	s_cbranch_execnz .LBB6_8415
	s_branch .LBB6_8416
.LBB6_8897:                             ;   in Loop: Header=BB6_8225 Depth=2
	s_or_saveexec_b64 s[26:27], s[26:27]
	v_bfrev_b32_e32 v30, 1
	s_xor_b64 exec, exec, s[26:27]
	s_cbranch_execz .LBB6_8444
.LBB6_8898:                             ;   in Loop: Header=BB6_8225 Depth=2
	v_cmp_ne_u16_e32 vcc, 0, v2
	s_andn2_b64 s[24:25], s[24:25], exec
	s_and_b64 vcc, vcc, exec
	v_mov_b32_e32 v30, 0
	s_or_b64 s[24:25], s[24:25], vcc
	s_or_b64 exec, exec, s[26:27]
	s_and_saveexec_b64 s[26:27], s[24:25]
	s_cbranch_execnz .LBB6_8445
	s_branch .LBB6_8446
.LBB6_8899:                             ;   in Loop: Header=BB6_8225 Depth=2
	s_or_saveexec_b64 s[24:25], s[24:25]
	v_bfrev_b32_e32 v22, 1
	s_xor_b64 exec, exec, s[24:25]
	s_cbranch_execz .LBB6_8458
.LBB6_8900:                             ;   in Loop: Header=BB6_8225 Depth=2
	v_cmp_ne_u16_e32 vcc, 0, v2
	s_andn2_b64 s[22:23], s[22:23], exec
	s_and_b64 s[26:27], vcc, exec
	v_mov_b32_e32 v22, 0
	s_or_b64 s[22:23], s[22:23], s[26:27]
	s_or_b64 exec, exec, s[24:25]
	s_and_saveexec_b64 s[24:25], s[22:23]
	s_cbranch_execnz .LBB6_8459
	s_branch .LBB6_8460
.LBB6_8901:                             ;   in Loop: Header=BB6_8225 Depth=2
	s_or_saveexec_b64 s[26:27], s[26:27]
	v_bfrev_b32_e32 v30, 1
	s_xor_b64 exec, exec, s[26:27]
	s_cbranch_execz .LBB6_8488
.LBB6_8902:                             ;   in Loop: Header=BB6_8225 Depth=2
	v_cmp_ne_u16_sdwa vcc, v2, v3 src0_sel:BYTE_0 src1_sel:DWORD
	s_andn2_b64 s[24:25], s[24:25], exec
	s_and_b64 vcc, vcc, exec
	v_mov_b32_e32 v30, 0
	s_or_b64 s[24:25], s[24:25], vcc
	s_or_b64 exec, exec, s[26:27]
	s_and_saveexec_b64 s[26:27], s[24:25]
	s_cbranch_execnz .LBB6_8489
	s_branch .LBB6_8490
.LBB6_8903:                             ;   in Loop: Header=BB6_8225 Depth=2
	s_or_saveexec_b64 s[24:25], s[24:25]
	v_bfrev_b32_e32 v22, 1
	s_xor_b64 exec, exec, s[24:25]
	s_cbranch_execz .LBB6_8502
.LBB6_8904:                             ;   in Loop: Header=BB6_8225 Depth=2
	v_cmp_ne_u16_sdwa s[26:27], v2, v3 src0_sel:BYTE_0 src1_sel:DWORD
	s_andn2_b64 s[22:23], s[22:23], exec
	s_and_b64 s[26:27], s[26:27], exec
	v_mov_b32_e32 v22, 0
	s_or_b64 s[22:23], s[22:23], s[26:27]
	s_or_b64 exec, exec, s[24:25]
	s_and_saveexec_b64 s[24:25], s[22:23]
	s_cbranch_execnz .LBB6_8503
	s_branch .LBB6_8504
.LBB6_8905:                             ;   in Loop: Header=BB6_8225 Depth=2
	s_or_saveexec_b64 s[26:27], s[26:27]
	v_bfrev_b32_e32 v11, 1
	s_xor_b64 exec, exec, s[26:27]
	s_cbranch_execz .LBB6_8564
.LBB6_8906:                             ;   in Loop: Header=BB6_8225 Depth=2
	v_cmp_ne_u16_sdwa vcc, v16, v3 src0_sel:BYTE_0 src1_sel:DWORD
	s_andn2_b64 s[24:25], s[24:25], exec
	s_and_b64 vcc, vcc, exec
	v_mov_b32_e32 v11, 0
	s_or_b64 s[24:25], s[24:25], vcc
	s_or_b64 exec, exec, s[26:27]
	s_and_saveexec_b64 s[26:27], s[24:25]
	s_cbranch_execnz .LBB6_8565
	s_branch .LBB6_8566
.LBB6_8907:                             ;   in Loop: Header=BB6_8225 Depth=2
	s_or_saveexec_b64 s[24:25], s[24:25]
	v_bfrev_b32_e32 v11, 1
	s_xor_b64 exec, exec, s[24:25]
	s_cbranch_execz .LBB6_8578
.LBB6_8908:                             ;   in Loop: Header=BB6_8225 Depth=2
	v_cmp_ne_u16_sdwa s[26:27], v16, v3 src0_sel:BYTE_0 src1_sel:DWORD
	s_andn2_b64 s[22:23], s[22:23], exec
	s_and_b64 s[26:27], s[26:27], exec
	v_mov_b32_e32 v11, 0
	s_or_b64 s[22:23], s[22:23], s[26:27]
	s_or_b64 exec, exec, s[24:25]
	s_and_saveexec_b64 s[24:25], s[22:23]
	s_cbranch_execnz .LBB6_8579
	s_branch .LBB6_8580
.LBB6_8909:                             ;   in Loop: Header=BB6_8225 Depth=2
	s_or_saveexec_b64 s[26:27], s[26:27]
	v_bfrev_b32_e32 v15, 1
	s_xor_b64 exec, exec, s[26:27]
	s_cbranch_execz .LBB6_8608
.LBB6_8910:                             ;   in Loop: Header=BB6_8225 Depth=2
	v_cmp_ne_u16_e32 vcc, 0, v2
	s_andn2_b64 s[24:25], s[24:25], exec
	s_and_b64 vcc, vcc, exec
	v_mov_b32_e32 v15, 0
	s_or_b64 s[24:25], s[24:25], vcc
	s_or_b64 exec, exec, s[26:27]
	s_and_saveexec_b64 s[26:27], s[24:25]
	s_cbranch_execnz .LBB6_8609
	s_branch .LBB6_8610
.LBB6_8911:                             ;   in Loop: Header=BB6_8225 Depth=2
	s_or_saveexec_b64 s[24:25], s[24:25]
	v_bfrev_b32_e32 v10, 1
	s_xor_b64 exec, exec, s[24:25]
	s_cbranch_execz .LBB6_8622
.LBB6_8912:                             ;   in Loop: Header=BB6_8225 Depth=2
	v_cmp_ne_u16_e32 vcc, 0, v2
	s_andn2_b64 s[22:23], s[22:23], exec
	s_and_b64 s[26:27], vcc, exec
	v_mov_b32_e32 v10, 0
	s_or_b64 s[22:23], s[22:23], s[26:27]
	s_or_b64 exec, exec, s[24:25]
	s_and_saveexec_b64 s[24:25], s[22:23]
	s_cbranch_execnz .LBB6_8623
	s_branch .LBB6_8624
.LBB6_8913:                             ;   in Loop: Header=BB6_8225 Depth=2
	s_or_saveexec_b64 s[26:27], s[26:27]
	v_bfrev_b32_e32 v15, 1
	s_xor_b64 exec, exec, s[26:27]
	s_cbranch_execz .LBB6_8652
.LBB6_8914:                             ;   in Loop: Header=BB6_8225 Depth=2
	v_cmp_ne_u16_sdwa vcc, v2, v3 src0_sel:BYTE_0 src1_sel:DWORD
	s_andn2_b64 s[24:25], s[24:25], exec
	s_and_b64 vcc, vcc, exec
	v_mov_b32_e32 v15, 0
	s_or_b64 s[24:25], s[24:25], vcc
	s_or_b64 exec, exec, s[26:27]
	s_and_saveexec_b64 s[26:27], s[24:25]
	s_cbranch_execnz .LBB6_8653
	s_branch .LBB6_8654
.LBB6_8915:                             ;   in Loop: Header=BB6_8225 Depth=2
	s_or_saveexec_b64 s[24:25], s[24:25]
	v_bfrev_b32_e32 v10, 1
	s_xor_b64 exec, exec, s[24:25]
	s_cbranch_execz .LBB6_8666
.LBB6_8916:                             ;   in Loop: Header=BB6_8225 Depth=2
	v_cmp_ne_u16_sdwa s[26:27], v2, v3 src0_sel:BYTE_0 src1_sel:DWORD
	s_andn2_b64 s[22:23], s[22:23], exec
	s_and_b64 s[26:27], s[26:27], exec
	v_mov_b32_e32 v10, 0
	s_or_b64 s[22:23], s[22:23], s[26:27]
	s_or_b64 exec, exec, s[24:25]
	s_and_saveexec_b64 s[24:25], s[22:23]
	s_cbranch_execnz .LBB6_8667
	s_branch .LBB6_8668
.LBB6_8917:                             ;   in Loop: Header=BB6_8225 Depth=2
	s_or_saveexec_b64 s[26:27], s[26:27]
	v_bfrev_b32_e32 v15, 1
	s_xor_b64 exec, exec, s[26:27]
	s_cbranch_execz .LBB6_8728
.LBB6_8918:                             ;   in Loop: Header=BB6_8225 Depth=2
	v_cmp_ne_u16_sdwa vcc, v17, v3 src0_sel:BYTE_0 src1_sel:DWORD
	s_andn2_b64 s[24:25], s[24:25], exec
	s_and_b64 vcc, vcc, exec
	v_mov_b32_e32 v15, 0
	s_or_b64 s[24:25], s[24:25], vcc
	s_or_b64 exec, exec, s[26:27]
	s_and_saveexec_b64 s[26:27], s[24:25]
	s_cbranch_execnz .LBB6_8729
	s_branch .LBB6_8730
.LBB6_8919:                             ;   in Loop: Header=BB6_8225 Depth=2
	s_or_saveexec_b64 s[24:25], s[24:25]
	v_bfrev_b32_e32 v15, 1
	s_xor_b64 exec, exec, s[24:25]
	s_cbranch_execz .LBB6_8742
.LBB6_8920:                             ;   in Loop: Header=BB6_8225 Depth=2
	v_cmp_ne_u16_sdwa s[26:27], v17, v3 src0_sel:BYTE_0 src1_sel:DWORD
	s_andn2_b64 s[22:23], s[22:23], exec
	s_and_b64 s[26:27], s[26:27], exec
	v_mov_b32_e32 v15, 0
	s_or_b64 s[22:23], s[22:23], s[26:27]
	s_or_b64 exec, exec, s[24:25]
	s_and_saveexec_b64 s[24:25], s[22:23]
	s_cbranch_execnz .LBB6_8743
	s_branch .LBB6_8744
.LBB6_8921:                             ;   in Loop: Header=BB6_8225 Depth=2
	s_or_saveexec_b64 s[26:27], s[26:27]
	v_bfrev_b32_e32 v23, 1
	s_xor_b64 exec, exec, s[26:27]
	s_cbranch_execz .LBB6_8772
.LBB6_8922:                             ;   in Loop: Header=BB6_8225 Depth=2
	v_cmp_ne_u16_e32 vcc, 0, v10
	s_andn2_b64 s[24:25], s[24:25], exec
	s_and_b64 vcc, vcc, exec
	v_mov_b32_e32 v23, 0
	s_or_b64 s[24:25], s[24:25], vcc
	s_or_b64 exec, exec, s[26:27]
	s_and_saveexec_b64 s[26:27], s[24:25]
	s_cbranch_execnz .LBB6_8773
	s_branch .LBB6_8774
.LBB6_8923:                             ;   in Loop: Header=BB6_8225 Depth=2
	s_or_saveexec_b64 s[24:25], s[24:25]
	v_bfrev_b32_e32 v2, 1
	s_xor_b64 exec, exec, s[24:25]
	s_cbranch_execz .LBB6_8786
.LBB6_8924:                             ;   in Loop: Header=BB6_8225 Depth=2
	v_cmp_ne_u16_e32 vcc, 0, v10
	s_andn2_b64 s[22:23], s[22:23], exec
	s_and_b64 s[26:27], vcc, exec
	v_mov_b32_e32 v2, 0
	s_or_b64 s[22:23], s[22:23], s[26:27]
	s_or_b64 exec, exec, s[24:25]
	s_and_saveexec_b64 s[24:25], s[22:23]
	s_cbranch_execnz .LBB6_8787
	s_branch .LBB6_8788
.LBB6_8925:                             ;   in Loop: Header=BB6_8225 Depth=2
	s_or_saveexec_b64 s[26:27], s[26:27]
	v_bfrev_b32_e32 v15, 1
	s_xor_b64 exec, exec, s[26:27]
	s_cbranch_execz .LBB6_8816
.LBB6_8926:                             ;   in Loop: Header=BB6_8225 Depth=2
	v_cmp_ne_u16_sdwa vcc, v2, v3 src0_sel:BYTE_0 src1_sel:DWORD
	s_andn2_b64 s[24:25], s[24:25], exec
	s_and_b64 vcc, vcc, exec
	v_mov_b32_e32 v15, 0
	s_or_b64 s[24:25], s[24:25], vcc
	s_or_b64 exec, exec, s[26:27]
	s_and_saveexec_b64 s[26:27], s[24:25]
	s_cbranch_execnz .LBB6_8817
	s_branch .LBB6_8818
.LBB6_8927:                             ;   in Loop: Header=BB6_8225 Depth=2
	s_or_saveexec_b64 s[24:25], s[24:25]
	v_bfrev_b32_e32 v10, 1
	s_xor_b64 exec, exec, s[24:25]
	s_cbranch_execz .LBB6_8830
.LBB6_8928:                             ;   in Loop: Header=BB6_8225 Depth=2
	v_cmp_ne_u16_sdwa s[26:27], v2, v3 src0_sel:BYTE_0 src1_sel:DWORD
	s_andn2_b64 s[22:23], s[22:23], exec
	s_and_b64 s[26:27], s[26:27], exec
	v_mov_b32_e32 v10, 0
	s_or_b64 s[22:23], s[22:23], s[26:27]
	s_or_b64 exec, exec, s[24:25]
	s_and_saveexec_b64 s[24:25], s[22:23]
	s_cbranch_execnz .LBB6_8831
	s_branch .LBB6_8832
.LBB6_8929:                             ;   in Loop: Header=BB6_5329 Depth=1
	s_or_b64 exec, exec, s[94:95]
.LBB6_8930:                             ;   in Loop: Header=BB6_5329 Depth=1
	s_or_b64 exec, exec, s[92:93]
	v_and_b32_e32 v0, 15, v49
	v_cmp_lt_i32_e32 vcc, 0, v7
	v_and_b32_e32 v1, 0x3f0, v49
	v_cndmask_b32_e64 v6, v6, v0, s[18:19]
	v_cndmask_b32_e32 v0, 0, v46, vcc
	v_cndmask_b32_e64 v1, 0, v1, s[18:19]
	v_sub_u32_e32 v0, v0, v7
	v_cmp_ne_u32_e32 vcc, 0, v6
	v_and_or_b32 v10, v49, s55, v1
	v_lshl_add_u32 v2, v0, 6, v4
	s_and_b64 s[18:19], vcc, exec
.LBB6_8931:                             ;   in Loop: Header=BB6_5329 Depth=1
	s_or_b64 exec, exec, s[90:91]
	buffer_load_dword v23, off, s[0:3], s33 offset:296 ; 4-byte Folded Reload
	buffer_load_dword v24, off, s[0:3], s33 offset:276 ; 4-byte Folded Reload
	;; [unrolled: 1-line block ×5, first 2 shown]
	s_and_saveexec_b64 s[24:25], s[18:19]
	s_cbranch_execz .LBB6_10524
.LBB6_8932:                             ;   in Loop: Header=BB6_5329 Depth=1
	s_waitcnt vmcnt(0)
	v_ashrrev_i32_e32 v0, 31, v2
	v_lshrrev_b32_e32 v0, 26, v0
	v_add_u32_e32 v0, v2, v0
	v_ashrrev_i32_e32 v4, 6, v0
	v_lshrrev_b32_e32 v1, 11, v6
	v_sub_u32_e32 v21, v1, v4
	v_cmp_lt_i32_e32 vcc, 0, v21
	s_and_saveexec_b64 s[22:23], vcc
	s_cbranch_execz .LBB6_10472
; %bb.8933:                             ;   in Loop: Header=BB6_5329 Depth=1
	v_and_b32_e32 v0, 0xffffffc0, v0
	v_sub_u32_e32 v0, v2, v0
	buffer_store_dword v6, off, s[0:3], s33 offset:192 ; 4-byte Folded Spill
	buffer_store_dword v19, off, s[0:3], s33 offset:268 ; 4-byte Folded Spill
	;; [unrolled: 1-line block ×4, first 2 shown]
	s_nop 0
	buffer_store_dword v25, off, s[0:3], s33 offset:280 ; 4-byte Folded Spill
	buffer_store_dword v2, off, s[0:3], s33 offset:196 ; 4-byte Folded Spill
	;; [unrolled: 1-line block ×4, first 2 shown]
	s_trap 2
	ds_read_b64 v[6:7], v0
	v_lshlrev_b32_e32 v1, 11, v4
	v_add3_u32 v2, v10, v0, v1
	v_ashrrev_i32_e32 v4, 31, v2
	v_add_co_u32_e32 v0, vcc, v2, v52
	v_addc_co_u32_e32 v1, vcc, v4, v53, vcc
	s_waitcnt lgkmcnt(0)
	v_add_co_u32_e32 v10, vcc, v6, v2
	v_addc_co_u32_e32 v11, vcc, v7, v4, vcc
	v_add_co_u32_e32 v6, vcc, 0x7c0, v50
	v_addc_co_u32_e32 v7, vcc, 0, v51, vcc
	s_bitcmp1_b32 s64, 0
	v_add_co_u32_e32 v12, vcc, v6, v2
	s_cselect_b64 s[26:27], -1, 0
	v_addc_co_u32_e32 v13, vcc, v7, v4, vcc
	s_mov_b64 s[90:91], 0
	s_branch .LBB6_8935
.LBB6_8934:                             ;   in Loop: Header=BB6_8935 Depth=2
	s_or_b64 exec, exec, s[18:19]
	v_add_co_u32_e32 v14, vcc, 0xfffff840, v12
	v_addc_co_u32_e32 v15, vcc, -1, v13, vcc
	flat_store_byte v[14:15], v46 glc slc
	v_add_co_u32_e32 v14, vcc, 0xfffff880, v12
	v_addc_co_u32_e32 v15, vcc, -1, v13, vcc
	flat_store_byte v[14:15], v40 glc slc
	;; [unrolled: 3-line block ×17, first 2 shown]
	v_add_co_u32_e32 v14, vcc, 0xfffffc80, v12
	v_addc_co_u32_e32 v15, vcc, -1, v13, vcc
	v_add_co_u32_e32 v7, vcc, 0xfffffcc0, v12
	flat_store_byte v[14:15], v8 glc slc
	v_addc_co_u32_e32 v8, vcc, -1, v13, vcc
	flat_store_byte v[7:8], v6 glc slc
	v_add_co_u32_e32 v6, vcc, 0xfffffd00, v12
	v_addc_co_u32_e32 v7, vcc, -1, v13, vcc
	flat_store_byte v[6:7], v4 glc slc
	v_add_co_u32_e32 v6, vcc, 0xfffffd40, v12
	;; [unrolled: 3-line block ×12, first 2 shown]
	v_addc_co_u32_e32 v7, vcc, -1, v13, vcc
	flat_store_byte v[6:7], v31 glc slc
	flat_store_byte v[12:13], v2 glc slc
	buffer_load_dword v46, off, s[0:3], s33 offset:168 ; 4-byte Folded Reload
	s_waitcnt vmcnt(0)
	v_lshlrev_b32_e32 v2, 11, v46
	v_add_co_u32_e32 v0, vcc, v0, v2
	v_addc_co_u32_e32 v1, vcc, 0, v1, vcc
	v_add_co_u32_e32 v10, vcc, v10, v2
	v_addc_co_u32_e32 v11, vcc, 0, v11, vcc
	v_sub_u32_e32 v21, v21, v46
	v_cmp_gt_i32_e32 vcc, 1, v21
	s_or_b64 s[90:91], vcc, s[90:91]
	v_add_co_u32_e32 v12, vcc, v12, v2
	v_addc_co_u32_e32 v13, vcc, 0, v13, vcc
	s_andn2_b64 exec, exec, s[90:91]
	s_cbranch_execz .LBB6_10471
.LBB6_8935:                             ;   Parent Loop BB6_5329 Depth=1
                                        ; =>  This Inner Loop Header: Depth=2
	flat_load_ubyte v15, v[0:1] glc slc
	flat_load_ubyte v41, v[0:1] offset:64 glc slc
	flat_load_ubyte v49, v[0:1] offset:128 glc slc
	;; [unrolled: 1-line block ×15, first 2 shown]
	v_mov_b32_e32 v9, 0xffffff82
	s_mov_b64 s[20:21], -1
	s_and_b64 vcc, exec, s[26:27]
                                        ; implicit-def: $vgpr16
	s_waitcnt vmcnt(0) lgkmcnt(0)
	v_cmp_ne_u16_e64 s[18:19], 0, v15
	buffer_store_dword v2, off, s[0:3], s33 offset:156 ; 4-byte Folded Spill
	flat_load_ubyte v2, v[0:1] offset:1024 glc slc
	s_waitcnt vmcnt(0) lgkmcnt(0)
	buffer_store_dword v2, off, s[0:3], s33 offset:148 ; 4-byte Folded Spill
	flat_load_ubyte v2, v[0:1] offset:1088 glc slc
	s_waitcnt vmcnt(0) lgkmcnt(0)
	;; [unrolled: 3-line block ×11, first 2 shown]
	buffer_store_dword v2, off, s[0:3], s33 offset:164 ; 4-byte Folded Spill
	flat_load_ubyte v6, v[0:1] offset:1728 glc slc
	s_nop 0
	flat_load_ubyte v2, v[0:1] offset:1792 glc slc
	s_waitcnt vmcnt(0) lgkmcnt(0)
	buffer_store_dword v2, off, s[0:3], s33 offset:132 ; 4-byte Folded Spill
	flat_load_ubyte v17, v[0:1] offset:1856 glc slc
	flat_load_ubyte v61, v[0:1] offset:1920 glc slc
	;; [unrolled: 1-line block ×3, first 2 shown]
	flat_load_ubyte v14, v[10:11] glc slc
	flat_load_ubyte v40, v[10:11] offset:64 glc slc
	flat_load_ubyte v48, v[10:11] offset:128 glc slc
	;; [unrolled: 1-line block ×18, first 2 shown]
	s_waitcnt vmcnt(0) lgkmcnt(0)
	buffer_store_dword v2, off, s[0:3], s33 offset:124 ; 4-byte Folded Spill
	flat_load_ubyte v18, v[10:11] offset:1216 glc slc
	flat_load_ubyte v46, v[10:11] offset:1280 glc slc
	s_nop 0
	flat_load_ubyte v2, v[10:11] offset:1344 glc slc
	s_waitcnt vmcnt(0) lgkmcnt(0)
	buffer_store_dword v2, off, s[0:3], s33 offset:120 ; 4-byte Folded Spill
	flat_load_ubyte v23, v[10:11] offset:1408 glc slc
	flat_load_ubyte v56, v[10:11] offset:1472 glc slc
	;; [unrolled: 1-line block ×3, first 2 shown]
	s_nop 0
	flat_load_ubyte v2, v[10:11] offset:1600 glc slc
	s_waitcnt vmcnt(0) lgkmcnt(0)
	buffer_store_dword v2, off, s[0:3], s33 offset:128 ; 4-byte Folded Spill
	flat_load_ubyte v8, v[10:11] offset:1664 glc slc
	flat_load_ubyte v47, v[10:11] offset:1728 glc slc
	s_nop 0
	flat_load_ubyte v2, v[10:11] offset:1792 glc slc
	s_waitcnt vmcnt(0) lgkmcnt(0)
	buffer_store_dword v2, off, s[0:3], s33 offset:136 ; 4-byte Folded Spill
	flat_load_ubyte v20, v[10:11] offset:1856 glc slc
	flat_load_ubyte v60, v[10:11] offset:1920 glc slc
	;; [unrolled: 1-line block ×3, first 2 shown]
	s_cbranch_vccz .LBB6_8949
; %bb.8936:                             ;   in Loop: Header=BB6_8935 Depth=2
	v_mov_b32_e32 v16, 0
	v_mov_b32_e32 v51, 0
	s_and_saveexec_b64 s[20:21], s[18:19]
	s_cbranch_execz .LBB6_8942
; %bb.8937:                             ;   in Loop: Header=BB6_8935 Depth=2
	v_cmp_ne_u16_e32 vcc, s49, v15
	v_bfrev_b32_e32 v51, 1
	s_and_saveexec_b64 s[92:93], vcc
	s_cbranch_execz .LBB6_8941
; %bb.8938:                             ;   in Loop: Header=BB6_8935 Depth=2
	v_and_b32_e32 v2, 0xffff, v15
	v_and_b32_e32 v52, 0x7f, v2
	v_cmp_ne_u32_e32 vcc, s51, v52
	v_mov_b32_e32 v51, 0x7f800001
	s_and_saveexec_b64 s[94:95], vcc
	s_cbranch_execz .LBB6_8940
; %bb.8939:                             ;   in Loop: Header=BB6_8935 Depth=2
	v_and_b32_e32 v54, 7, v2
	v_ffbh_u32_e32 v51, v54
	v_mov_b32_e32 v30, v24
	s_waitcnt vmcnt(0) lgkmcnt(0)
	v_mov_b32_e32 v24, v44
	v_mov_b32_e32 v44, v46
	;; [unrolled: 1-line block ×3, first 2 shown]
	v_min_u32_e32 v43, 32, v51
	v_subrev_u32_e32 v51, 28, v43
	v_lshrrev_b32_e32 v55, 3, v52
	v_cmp_gt_u32_e32 vcc, 8, v52
	v_lshlrev_b64 v[51:52], v51, v[2:3]
	v_sub_u32_e32 v2, 29, v43
	v_and_b32_e32 v51, 7, v51
	v_cndmask_b32_e32 v2, v55, v2, vcc
	v_cndmask_b32_e32 v51, v54, v51, vcc
	v_lshlrev_b32_e32 v52, 24, v15
	v_bfrev_b32_e32 v54, 60
	v_lshlrev_b32_e32 v51, 20, v51
	v_and_b32_e32 v52, 0x80000000, v52
	v_lshl_add_u32 v2, v2, 23, v54
	v_mov_b32_e32 v43, v46
	v_mov_b32_e32 v46, v44
	;; [unrolled: 1-line block ×4, first 2 shown]
	v_or3_b32 v51, v52, v2, v51
.LBB6_8940:                             ;   in Loop: Header=BB6_8935 Depth=2
	s_or_b64 exec, exec, s[94:95]
.LBB6_8941:                             ;   in Loop: Header=BB6_8935 Depth=2
	s_or_b64 exec, exec, s[92:93]
.LBB6_8942:                             ;   in Loop: Header=BB6_8935 Depth=2
	s_or_b64 exec, exec, s[20:21]
	v_and_b32_e32 v2, 0xff, v14
	v_cmp_ne_u16_e32 vcc, 0, v2
	s_and_saveexec_b64 s[20:21], vcc
	s_cbranch_execz .LBB6_8948
; %bb.8943:                             ;   in Loop: Header=BB6_8935 Depth=2
	v_cmp_ne_u16_e32 vcc, s49, v2
	v_bfrev_b32_e32 v16, 1
	s_and_saveexec_b64 s[92:93], vcc
	s_cbranch_execz .LBB6_8947
; %bb.8944:                             ;   in Loop: Header=BB6_8935 Depth=2
	v_and_b32_e32 v52, 0x7f, v14
	v_cmp_ne_u32_e32 vcc, s51, v52
	v_mov_b32_e32 v16, 0x7f800001
	s_and_saveexec_b64 s[94:95], vcc
	s_cbranch_execz .LBB6_8946
; %bb.8945:                             ;   in Loop: Header=BB6_8935 Depth=2
	v_and_b32_e32 v16, 7, v2
	v_mov_b32_e32 v30, v24
	s_waitcnt vmcnt(0) lgkmcnt(0)
	v_mov_b32_e32 v24, v44
	v_mov_b32_e32 v44, v46
	;; [unrolled: 1-line block ×3, first 2 shown]
	v_lshrrev_b32_e32 v43, 3, v52
	v_cmp_gt_u32_e32 vcc, 8, v52
	v_ffbh_u32_e32 v52, v16
	v_min_u32_e32 v52, 32, v52
	v_subrev_u32_e32 v54, 28, v52
	v_lshlrev_b64 v[54:55], v54, v[2:3]
	v_sub_u32_e32 v2, 29, v52
	v_and_b32_e32 v52, 7, v54
	v_cndmask_b32_e32 v2, v43, v2, vcc
	v_cndmask_b32_e32 v16, v16, v52, vcc
	v_lshlrev_b32_e32 v52, 24, v14
	v_bfrev_b32_e32 v54, 60
	v_lshlrev_b32_e32 v16, 20, v16
	v_and_b32_e32 v52, 0x80000000, v52
	v_lshl_add_u32 v2, v2, 23, v54
	v_mov_b32_e32 v43, v46
	v_mov_b32_e32 v46, v44
	;; [unrolled: 1-line block ×4, first 2 shown]
	v_or3_b32 v16, v52, v2, v16
.LBB6_8946:                             ;   in Loop: Header=BB6_8935 Depth=2
	s_or_b64 exec, exec, s[94:95]
.LBB6_8947:                             ;   in Loop: Header=BB6_8935 Depth=2
	s_or_b64 exec, exec, s[92:93]
.LBB6_8948:                             ;   in Loop: Header=BB6_8935 Depth=2
	s_or_b64 exec, exec, s[20:21]
	v_max_f32_e32 v2, v16, v16
	v_max_f32_e32 v16, v51, v51
	v_max_f32_e32 v16, v16, v2
	s_mov_b64 s[20:21], 0
.LBB6_8949:                             ;   in Loop: Header=BB6_8935 Depth=2
	s_and_b64 vcc, exec, s[20:21]
	s_cbranch_vccz .LBB6_8963
; %bb.8950:                             ;   in Loop: Header=BB6_8935 Depth=2
	v_mov_b32_e32 v16, 0
	v_mov_b32_e32 v51, 0
	s_and_saveexec_b64 s[20:21], s[18:19]
	s_cbranch_execz .LBB6_8956
; %bb.8951:                             ;   in Loop: Header=BB6_8935 Depth=2
	v_cmp_ne_u16_e32 vcc, s49, v15
	v_bfrev_b32_e32 v51, 1
	s_and_saveexec_b64 s[18:19], vcc
	s_cbranch_execz .LBB6_8955
; %bb.8952:                             ;   in Loop: Header=BB6_8935 Depth=2
	v_and_b32_e32 v2, 0xffff, v15
	v_and_b32_e32 v52, 0x7f, v2
	v_cmp_ne_u32_e32 vcc, s51, v52
	v_mov_b32_e32 v51, 0x7f800001
	s_and_saveexec_b64 s[92:93], vcc
	s_cbranch_execz .LBB6_8954
; %bb.8953:                             ;   in Loop: Header=BB6_8935 Depth=2
	v_and_b32_e32 v54, 7, v2
	v_ffbh_u32_e32 v51, v54
	v_mov_b32_e32 v30, v24
	s_waitcnt vmcnt(0) lgkmcnt(0)
	v_mov_b32_e32 v24, v44
	v_mov_b32_e32 v44, v46
	;; [unrolled: 1-line block ×3, first 2 shown]
	v_min_u32_e32 v43, 32, v51
	v_subrev_u32_e32 v51, 28, v43
	v_lshrrev_b32_e32 v55, 3, v52
	v_cmp_gt_u32_e32 vcc, 8, v52
	v_lshlrev_b64 v[51:52], v51, v[2:3]
	v_sub_u32_e32 v2, 29, v43
	v_and_b32_e32 v51, 7, v51
	v_cndmask_b32_e32 v2, v55, v2, vcc
	v_cndmask_b32_e32 v51, v54, v51, vcc
	v_lshlrev_b32_e32 v15, 24, v15
	v_bfrev_b32_e32 v52, 60
	v_lshlrev_b32_e32 v51, 20, v51
	v_and_b32_e32 v15, 0x80000000, v15
	v_lshl_add_u32 v2, v2, 23, v52
	v_mov_b32_e32 v43, v46
	v_mov_b32_e32 v46, v44
	;; [unrolled: 1-line block ×4, first 2 shown]
	v_or3_b32 v51, v15, v2, v51
.LBB6_8954:                             ;   in Loop: Header=BB6_8935 Depth=2
	s_or_b64 exec, exec, s[92:93]
.LBB6_8955:                             ;   in Loop: Header=BB6_8935 Depth=2
	s_or_b64 exec, exec, s[18:19]
.LBB6_8956:                             ;   in Loop: Header=BB6_8935 Depth=2
	s_or_b64 exec, exec, s[20:21]
	v_and_b32_e32 v2, 0xff, v14
	v_cmp_ne_u16_e32 vcc, 0, v2
	s_and_saveexec_b64 s[18:19], vcc
	s_cbranch_execz .LBB6_8962
; %bb.8957:                             ;   in Loop: Header=BB6_8935 Depth=2
	v_cmp_ne_u16_e32 vcc, s49, v2
	v_bfrev_b32_e32 v16, 1
	s_and_saveexec_b64 s[20:21], vcc
	s_cbranch_execz .LBB6_8961
; %bb.8958:                             ;   in Loop: Header=BB6_8935 Depth=2
	v_and_b32_e32 v15, 0x7f, v14
	v_cmp_ne_u32_e32 vcc, s51, v15
	v_mov_b32_e32 v16, 0x7f800001
	s_and_saveexec_b64 s[92:93], vcc
	s_cbranch_execz .LBB6_8960
; %bb.8959:                             ;   in Loop: Header=BB6_8935 Depth=2
	v_and_b32_e32 v52, 7, v2
	v_lshrrev_b32_e32 v54, 3, v15
	v_cmp_gt_u32_e32 vcc, 8, v15
	v_ffbh_u32_e32 v15, v52
	v_min_u32_e32 v55, 32, v15
	v_subrev_u32_e32 v15, 28, v55
	v_lshlrev_b64 v[15:16], v15, v[2:3]
	v_sub_u32_e32 v2, 29, v55
	v_and_b32_e32 v15, 7, v15
	v_cndmask_b32_e32 v2, v54, v2, vcc
	v_cndmask_b32_e32 v15, v52, v15, vcc
	v_lshlrev_b32_e32 v14, 24, v14
	v_bfrev_b32_e32 v16, 60
	v_lshlrev_b32_e32 v15, 20, v15
	v_and_b32_e32 v14, 0x80000000, v14
	v_lshl_add_u32 v2, v2, 23, v16
	v_or3_b32 v16, v14, v2, v15
.LBB6_8960:                             ;   in Loop: Header=BB6_8935 Depth=2
	s_or_b64 exec, exec, s[92:93]
.LBB6_8961:                             ;   in Loop: Header=BB6_8935 Depth=2
	s_or_b64 exec, exec, s[20:21]
.LBB6_8962:                             ;   in Loop: Header=BB6_8935 Depth=2
	s_or_b64 exec, exec, s[18:19]
	v_max_f32_e32 v2, v16, v16
	v_max_f32_e32 v14, v51, v51
	v_min_f32_e32 v16, v14, v2
.LBB6_8963:                             ;   in Loop: Header=BB6_8935 Depth=2
	v_and_b32_e32 v2, 0x7f800000, v16
	v_cmp_ne_u64_e32 vcc, s[62:63], v[2:3]
	buffer_store_dword v46, off, s[0:3], s33 offset:104 ; 4-byte Folded Spill
                                        ; implicit-def: $vgpr46
	s_and_saveexec_b64 s[18:19], vcc
	s_xor_b64 s[20:21], exec, s[18:19]
	s_cbranch_execz .LBB6_8981
; %bb.8964:                             ;   in Loop: Header=BB6_8935 Depth=2
	v_and_b32_e32 v2, 0x7fffffff, v16
	v_cmp_gt_u64_e32 vcc, s[72:73], v[2:3]
	v_and_b32_sdwa v51, v16, s49 dst_sel:DWORD dst_unused:UNUSED_PAD src0_sel:BYTE_3 src1_sel:DWORD
                                        ; implicit-def: $vgpr46
	s_and_saveexec_b64 s[18:19], vcc
	s_xor_b64 s[92:93], exec, s[18:19]
	s_cbranch_execz .LBB6_8978
; %bb.8965:                             ;   in Loop: Header=BB6_8935 Depth=2
	v_cmp_ne_u32_e32 vcc, 0, v16
	v_mov_b32_e32 v46, 0
	s_and_saveexec_b64 s[94:95], vcc
	s_cbranch_execz .LBB6_8977
; %bb.8966:                             ;   in Loop: Header=BB6_8935 Depth=2
	v_bfe_u32 v52, v16, 23, 8
	v_cmp_gt_u32_e64 s[18:19], s53, v52
	v_sub_u32_e32 v14, 0x79, v52
	v_and_b32_e32 v2, 0x7fffff, v16
	v_cmp_eq_u32_e32 vcc, 0, v52
	v_cndmask_b32_e64 v14, 0, v14, s[18:19]
	v_mov_b32_e32 v16, 0x78
	v_cndmask_b32_e32 v54, v14, v16, vcc
	v_or_b32_e32 v15, 0x800000, v2
	v_add_u32_e32 v14, 20, v54
	v_cndmask_b32_e32 v2, v15, v2, vcc
	v_lshlrev_b64 v[14:15], v14, -1
	v_add_u32_e32 v16, 19, v54
	v_mov_b32_e32 v46, v43
	s_waitcnt vmcnt(0) lgkmcnt(0)
	v_mov_b32_e32 v55, v44
	v_lshlrev_b64 v[43:44], v16, 1
	v_bfi_b32 v15, v15, 0, 0
	v_bfi_b32 v14, v14, 0, v2
	v_cmp_eq_u64_e64 s[18:19], v[14:15], v[43:44]
	v_lshrrev_b64 v[14:15], v54, v[2:3]
	v_mov_b32_e32 v16, v15
	v_mov_b32_e32 v15, v14
	s_and_saveexec_b64 s[30:31], s[18:19]
; %bb.8967:                             ;   in Loop: Header=BB6_8935 Depth=2
	v_bfe_u32 v2, v14, 20, 1
	v_add_co_u32_e64 v2, s[18:19], v14, v2
	v_add_co_u32_e64 v15, s[18:19], -1, v2
; %bb.8968:                             ;   in Loop: Header=BB6_8935 Depth=2
	s_or_b64 exec, exec, s[30:31]
	v_add_u32_e32 v2, 0xffffff81, v52
	v_cndmask_b32_e32 v2, v2, v9, vcc
	v_lshrrev_b32_e32 v16, 23, v14
	v_add3_u32 v54, v54, v2, v16
	v_add_u32_e32 v52, 6, v54
	v_and_b32_e32 v2, 0xfffff, v15
	v_add_u32_e32 v2, v2, v14
	v_cmp_ne_u32_e32 vcc, 0, v52
                                        ; implicit-def: $vgpr14_vgpr15
                                        ; implicit-def: $vgpr16
	s_and_saveexec_b64 s[18:19], vcc
	s_xor_b64 s[18:19], exec, s[18:19]
; %bb.8969:                             ;   in Loop: Header=BB6_8935 Depth=2
	v_cmp_lt_u64_e32 vcc, s[74:75], v[2:3]
	v_add_u32_e32 v14, 7, v54
	v_cndmask_b32_e32 v16, v52, v14, vcc
	v_cndmask_b32_e64 v14, 0, 1, vcc
	v_lshrrev_b64 v[14:15], v14, v[2:3]
; %bb.8970:                             ;   in Loop: Header=BB6_8935 Depth=2
	s_or_saveexec_b64 s[18:19], s[18:19]
	v_mov_b32_e32 v44, v55
	v_mov_b32_e32 v43, v46
	s_xor_b64 exec, exec, s[18:19]
; %bb.8971:                             ;   in Loop: Header=BB6_8935 Depth=2
	v_mov_b32_e32 v15, v3
	v_bfe_u32 v16, v2, 23, 1
	v_mov_b32_e32 v14, v2
; %bb.8972:                             ;   in Loop: Header=BB6_8935 Depth=2
	s_or_b64 exec, exec, s[18:19]
	v_lshrrev_b64 v[14:15], 20, v[14:15]
	v_cmp_gt_i32_e32 vcc, 16, v16
	v_cndmask_b32_e32 v15, 0, v15, vcc
	v_cndmask_b32_e32 v14, 7, v14, vcc
	v_cmp_ne_u64_e32 vcc, 0, v[14:15]
	v_cmp_ne_u32_e64 s[18:19], 0, v16
	s_or_b64 s[18:19], s[18:19], vcc
                                        ; implicit-def: $vgpr46
	s_and_saveexec_b64 vcc, s[18:19]
	s_xor_b64 s[18:19], exec, vcc
; %bb.8973:                             ;   in Loop: Header=BB6_8935 Depth=2
	v_min_i32_e32 v2, 15, v16
	v_lshl_or_b32 v2, v2, 3, v51
	v_and_or_b32 v46, v14, 7, v2
                                        ; implicit-def: $vgpr51
; %bb.8974:                             ;   in Loop: Header=BB6_8935 Depth=2
	s_andn2_saveexec_b64 s[18:19], s[18:19]
; %bb.8975:                             ;   in Loop: Header=BB6_8935 Depth=2
	v_mov_b32_e32 v46, v51
; %bb.8976:                             ;   in Loop: Header=BB6_8935 Depth=2
	s_or_b64 exec, exec, s[18:19]
.LBB6_8977:                             ;   in Loop: Header=BB6_8935 Depth=2
	s_or_b64 exec, exec, s[94:95]
                                        ; implicit-def: $vgpr51
.LBB6_8978:                             ;   in Loop: Header=BB6_8935 Depth=2
	s_andn2_saveexec_b64 s[18:19], s[92:93]
; %bb.8979:                             ;   in Loop: Header=BB6_8935 Depth=2
	v_or_b32_e32 v46, 0x7e, v51
; %bb.8980:                             ;   in Loop: Header=BB6_8935 Depth=2
	s_or_b64 exec, exec, s[18:19]
                                        ; implicit-def: $vgpr16
.LBB6_8981:                             ;   in Loop: Header=BB6_8935 Depth=2
	s_andn2_saveexec_b64 s[18:19], s[20:21]
; %bb.8982:                             ;   in Loop: Header=BB6_8935 Depth=2
	v_or_b32_sdwa v46, v16, s51 dst_sel:DWORD dst_unused:UNUSED_PAD src0_sel:BYTE_3 src1_sel:DWORD
; %bb.8983:                             ;   in Loop: Header=BB6_8935 Depth=2
	s_or_b64 exec, exec, s[18:19]
	v_and_b32_e32 v2, 0xff, v41
	v_cndmask_b32_e64 v14, 0, 1, s[26:27]
	v_cmp_ne_u16_e64 s[20:21], 0, v2
	v_cmp_ne_u32_e64 s[18:19], 1, v14
	s_andn2_b64 vcc, exec, s[26:27]
	s_mov_b64 s[92:93], -1
                                        ; implicit-def: $vgpr14
	s_cbranch_vccnz .LBB6_8997
; %bb.8984:                             ;   in Loop: Header=BB6_8935 Depth=2
	v_mov_b32_e32 v16, 0
	v_mov_b32_e32 v15, 0
	s_and_saveexec_b64 s[92:93], s[20:21]
	s_cbranch_execz .LBB6_8990
; %bb.8985:                             ;   in Loop: Header=BB6_8935 Depth=2
	v_cmp_ne_u16_e32 vcc, s49, v2
	v_bfrev_b32_e32 v15, 1
	s_and_saveexec_b64 s[94:95], vcc
	s_cbranch_execz .LBB6_8989
; %bb.8986:                             ;   in Loop: Header=BB6_8935 Depth=2
	v_and_b32_e32 v14, 0x7f, v41
	v_cmp_ne_u32_e32 vcc, s51, v14
	v_mov_b32_e32 v15, 0x7f800001
	s_and_saveexec_b64 s[30:31], vcc
	s_cbranch_execz .LBB6_8988
; %bb.8987:                             ;   in Loop: Header=BB6_8935 Depth=2
	v_and_b32_e32 v51, 7, v2
	v_lshrrev_b32_e32 v52, 3, v14
	v_cmp_gt_u32_e32 vcc, 8, v14
	v_ffbh_u32_e32 v14, v51
	v_min_u32_e32 v54, 32, v14
	v_subrev_u32_e32 v14, 28, v54
	v_lshlrev_b64 v[14:15], v14, v[2:3]
	v_sub_u32_e32 v15, 29, v54
	v_and_b32_e32 v14, 7, v14
	v_cndmask_b32_e32 v15, v52, v15, vcc
	v_cndmask_b32_e32 v14, v51, v14, vcc
	v_lshlrev_b32_e32 v51, 24, v41
	v_bfrev_b32_e32 v52, 60
	v_lshlrev_b32_e32 v14, 20, v14
	v_and_b32_e32 v51, 0x80000000, v51
	v_lshl_add_u32 v15, v15, 23, v52
	v_or3_b32 v15, v51, v15, v14
.LBB6_8988:                             ;   in Loop: Header=BB6_8935 Depth=2
	s_or_b64 exec, exec, s[30:31]
.LBB6_8989:                             ;   in Loop: Header=BB6_8935 Depth=2
	s_or_b64 exec, exec, s[94:95]
.LBB6_8990:                             ;   in Loop: Header=BB6_8935 Depth=2
	s_or_b64 exec, exec, s[92:93]
	v_and_b32_e32 v14, 0xff, v40
	v_cmp_ne_u16_e32 vcc, 0, v14
	s_and_saveexec_b64 s[92:93], vcc
	s_cbranch_execz .LBB6_8996
; %bb.8991:                             ;   in Loop: Header=BB6_8935 Depth=2
	v_cmp_ne_u16_e32 vcc, s49, v14
	v_bfrev_b32_e32 v16, 1
	s_and_saveexec_b64 s[94:95], vcc
	s_cbranch_execz .LBB6_8995
; %bb.8992:                             ;   in Loop: Header=BB6_8935 Depth=2
	v_and_b32_e32 v51, 0x7f, v40
	v_cmp_ne_u32_e32 vcc, s51, v51
	v_mov_b32_e32 v16, 0x7f800001
	s_and_saveexec_b64 s[30:31], vcc
	s_cbranch_execz .LBB6_8994
; %bb.8993:                             ;   in Loop: Header=BB6_8935 Depth=2
	v_and_b32_e32 v16, 7, v14
	v_lshrrev_b32_e32 v54, 3, v51
	v_cmp_gt_u32_e32 vcc, 8, v51
	v_ffbh_u32_e32 v51, v16
	v_min_u32_e32 v55, 32, v51
	v_subrev_u32_e32 v51, 28, v55
	v_lshlrev_b64 v[51:52], v51, v[14:15]
	v_sub_u32_e32 v14, 29, v55
	v_and_b32_e32 v51, 7, v51
	v_cndmask_b32_e32 v14, v54, v14, vcc
	v_cndmask_b32_e32 v16, v16, v51, vcc
	v_lshlrev_b32_e32 v51, 24, v40
	v_bfrev_b32_e32 v52, 60
	v_lshlrev_b32_e32 v16, 20, v16
	v_and_b32_e32 v51, 0x80000000, v51
	v_lshl_add_u32 v14, v14, 23, v52
	v_or3_b32 v16, v51, v14, v16
.LBB6_8994:                             ;   in Loop: Header=BB6_8935 Depth=2
	s_or_b64 exec, exec, s[30:31]
.LBB6_8995:                             ;   in Loop: Header=BB6_8935 Depth=2
	s_or_b64 exec, exec, s[94:95]
.LBB6_8996:                             ;   in Loop: Header=BB6_8935 Depth=2
	s_or_b64 exec, exec, s[92:93]
	v_max_f32_e32 v14, v16, v16
	v_max_f32_e32 v15, v15, v15
	;; [unrolled: 1-line block ×3, first 2 shown]
	s_mov_b64 s[92:93], 0
.LBB6_8997:                             ;   in Loop: Header=BB6_8935 Depth=2
	s_and_b64 vcc, exec, s[92:93]
	s_cbranch_vccz .LBB6_9011
; %bb.8998:                             ;   in Loop: Header=BB6_8935 Depth=2
	v_mov_b32_e32 v15, 0
	v_mov_b32_e32 v14, 0
	s_and_saveexec_b64 s[92:93], s[20:21]
	s_cbranch_execz .LBB6_9004
; %bb.8999:                             ;   in Loop: Header=BB6_8935 Depth=2
	v_cmp_ne_u16_e32 vcc, s49, v2
	v_bfrev_b32_e32 v14, 1
	s_and_saveexec_b64 s[20:21], vcc
	s_cbranch_execz .LBB6_9003
; %bb.9000:                             ;   in Loop: Header=BB6_8935 Depth=2
	v_and_b32_e32 v16, 0x7f, v41
	v_cmp_ne_u32_e32 vcc, s51, v16
	v_mov_b32_e32 v14, 0x7f800001
	s_and_saveexec_b64 s[94:95], vcc
	s_cbranch_execz .LBB6_9002
; %bb.9001:                             ;   in Loop: Header=BB6_8935 Depth=2
	v_and_b32_e32 v14, 7, v2
	v_lshrrev_b32_e32 v54, 3, v16
	v_cmp_gt_u32_e32 vcc, 8, v16
	v_ffbh_u32_e32 v16, v14
	v_min_u32_e32 v16, 32, v16
	v_subrev_u32_e32 v51, 28, v16
	v_lshlrev_b64 v[51:52], v51, v[2:3]
	v_sub_u32_e32 v2, 29, v16
	v_and_b32_e32 v16, 7, v51
	v_cndmask_b32_e32 v2, v54, v2, vcc
	v_cndmask_b32_e32 v14, v14, v16, vcc
	v_lshlrev_b32_e32 v16, 24, v41
	v_bfrev_b32_e32 v51, 60
	v_lshlrev_b32_e32 v14, 20, v14
	v_and_b32_e32 v16, 0x80000000, v16
	v_lshl_add_u32 v2, v2, 23, v51
	v_or3_b32 v14, v16, v2, v14
.LBB6_9002:                             ;   in Loop: Header=BB6_8935 Depth=2
	s_or_b64 exec, exec, s[94:95]
.LBB6_9003:                             ;   in Loop: Header=BB6_8935 Depth=2
	s_or_b64 exec, exec, s[20:21]
.LBB6_9004:                             ;   in Loop: Header=BB6_8935 Depth=2
	s_or_b64 exec, exec, s[92:93]
	v_and_b32_e32 v2, 0xff, v40
	v_cmp_ne_u16_e32 vcc, 0, v2
	s_and_saveexec_b64 s[20:21], vcc
	s_cbranch_execz .LBB6_9010
; %bb.9005:                             ;   in Loop: Header=BB6_8935 Depth=2
	v_cmp_ne_u16_e32 vcc, s49, v2
	v_bfrev_b32_e32 v15, 1
	s_and_saveexec_b64 s[92:93], vcc
	s_cbranch_execz .LBB6_9009
; %bb.9006:                             ;   in Loop: Header=BB6_8935 Depth=2
	v_and_b32_e32 v16, 0x7f, v40
	v_cmp_ne_u32_e32 vcc, s51, v16
	v_mov_b32_e32 v15, 0x7f800001
	s_and_saveexec_b64 s[94:95], vcc
	s_cbranch_execz .LBB6_9008
; %bb.9007:                             ;   in Loop: Header=BB6_8935 Depth=2
	v_and_b32_e32 v51, 7, v2
	v_ffbh_u32_e32 v15, v51
	v_min_u32_e32 v54, 32, v15
	v_subrev_u32_e32 v15, 28, v54
	v_lshrrev_b32_e32 v52, 3, v16
	v_cmp_gt_u32_e32 vcc, 8, v16
	v_lshlrev_b64 v[15:16], v15, v[2:3]
	v_sub_u32_e32 v2, 29, v54
	v_and_b32_e32 v15, 7, v15
	v_cndmask_b32_e32 v2, v52, v2, vcc
	v_cndmask_b32_e32 v15, v51, v15, vcc
	v_lshlrev_b32_e32 v16, 24, v40
	v_bfrev_b32_e32 v51, 60
	v_lshlrev_b32_e32 v15, 20, v15
	v_and_b32_e32 v16, 0x80000000, v16
	v_lshl_add_u32 v2, v2, 23, v51
	v_or3_b32 v15, v16, v2, v15
.LBB6_9008:                             ;   in Loop: Header=BB6_8935 Depth=2
	s_or_b64 exec, exec, s[94:95]
.LBB6_9009:                             ;   in Loop: Header=BB6_8935 Depth=2
	s_or_b64 exec, exec, s[92:93]
.LBB6_9010:                             ;   in Loop: Header=BB6_8935 Depth=2
	s_or_b64 exec, exec, s[20:21]
	v_max_f32_e32 v2, v15, v15
	v_max_f32_e32 v14, v14, v14
	v_min_f32_e32 v14, v14, v2
.LBB6_9011:                             ;   in Loop: Header=BB6_8935 Depth=2
	v_and_b32_e32 v2, 0x7f800000, v14
	v_cmp_ne_u64_e32 vcc, s[62:63], v[2:3]
                                        ; implicit-def: $vgpr40
	s_and_saveexec_b64 s[20:21], vcc
	s_xor_b64 s[92:93], exec, s[20:21]
	s_cbranch_execz .LBB6_9029
; %bb.9012:                             ;   in Loop: Header=BB6_8935 Depth=2
	v_and_b32_e32 v2, 0x7fffffff, v14
	v_cmp_gt_u64_e32 vcc, s[72:73], v[2:3]
	v_and_b32_sdwa v51, v14, s49 dst_sel:DWORD dst_unused:UNUSED_PAD src0_sel:BYTE_3 src1_sel:DWORD
                                        ; implicit-def: $vgpr40
	s_and_saveexec_b64 s[20:21], vcc
	s_xor_b64 s[94:95], exec, s[20:21]
	s_cbranch_execz .LBB6_9026
; %bb.9013:                             ;   in Loop: Header=BB6_8935 Depth=2
	v_cmp_ne_u32_e32 vcc, 0, v14
	v_mov_b32_e32 v40, 0
	s_and_saveexec_b64 s[30:31], vcc
	s_cbranch_execz .LBB6_9025
; %bb.9014:                             ;   in Loop: Header=BB6_8935 Depth=2
	v_bfe_u32 v52, v14, 23, 8
	v_and_b32_e32 v2, 0x7fffff, v14
	v_cmp_gt_u32_e64 s[20:21], s53, v52
	v_sub_u32_e32 v14, 0x79, v52
	v_cmp_eq_u32_e32 vcc, 0, v52
	v_cndmask_b32_e64 v14, 0, v14, s[20:21]
	v_mov_b32_e32 v16, 0x78
	v_cndmask_b32_e32 v54, v14, v16, vcc
	v_or_b32_e32 v15, 0x800000, v2
	v_add_u32_e32 v14, 20, v54
	v_cndmask_b32_e32 v2, v15, v2, vcc
	v_lshlrev_b64 v[14:15], v14, -1
	v_add_u32_e32 v16, 19, v54
	v_lshlrev_b64 v[40:41], v16, 1
	v_bfi_b32 v15, v15, 0, 0
	v_bfi_b32 v14, v14, 0, v2
	v_cmp_eq_u64_e64 s[20:21], v[14:15], v[40:41]
	v_lshrrev_b64 v[14:15], v54, v[2:3]
	v_mov_b32_e32 v16, v15
	v_mov_b32_e32 v15, v14
	s_and_saveexec_b64 s[34:35], s[20:21]
; %bb.9015:                             ;   in Loop: Header=BB6_8935 Depth=2
	v_bfe_u32 v2, v14, 20, 1
	v_add_co_u32_e64 v2, s[20:21], v14, v2
	v_add_co_u32_e64 v15, s[20:21], -1, v2
; %bb.9016:                             ;   in Loop: Header=BB6_8935 Depth=2
	s_or_b64 exec, exec, s[34:35]
	v_add_u32_e32 v2, 0xffffff81, v52
	v_cndmask_b32_e32 v2, v2, v9, vcc
	v_lshrrev_b32_e32 v16, 23, v14
	v_add3_u32 v54, v54, v2, v16
	v_add_u32_e32 v52, 6, v54
	v_and_b32_e32 v2, 0xfffff, v15
	v_add_u32_e32 v2, v2, v14
	v_cmp_ne_u32_e32 vcc, 0, v52
                                        ; implicit-def: $vgpr14_vgpr15
                                        ; implicit-def: $vgpr16
	s_and_saveexec_b64 s[20:21], vcc
	s_xor_b64 s[20:21], exec, s[20:21]
; %bb.9017:                             ;   in Loop: Header=BB6_8935 Depth=2
	v_cmp_lt_u64_e32 vcc, s[74:75], v[2:3]
	v_add_u32_e32 v14, 7, v54
	v_cndmask_b32_e32 v16, v52, v14, vcc
	v_cndmask_b32_e64 v14, 0, 1, vcc
	v_lshrrev_b64 v[14:15], v14, v[2:3]
; %bb.9018:                             ;   in Loop: Header=BB6_8935 Depth=2
	s_andn2_saveexec_b64 s[20:21], s[20:21]
; %bb.9019:                             ;   in Loop: Header=BB6_8935 Depth=2
	v_mov_b32_e32 v15, v3
	v_bfe_u32 v16, v2, 23, 1
	v_mov_b32_e32 v14, v2
; %bb.9020:                             ;   in Loop: Header=BB6_8935 Depth=2
	s_or_b64 exec, exec, s[20:21]
	v_lshrrev_b64 v[14:15], 20, v[14:15]
	v_cmp_gt_i32_e32 vcc, 16, v16
	v_cndmask_b32_e32 v15, 0, v15, vcc
	v_cndmask_b32_e32 v14, 7, v14, vcc
	v_cmp_ne_u64_e32 vcc, 0, v[14:15]
	v_cmp_ne_u32_e64 s[20:21], 0, v16
	s_or_b64 s[20:21], s[20:21], vcc
                                        ; implicit-def: $vgpr40
	s_and_saveexec_b64 vcc, s[20:21]
	s_xor_b64 s[20:21], exec, vcc
; %bb.9021:                             ;   in Loop: Header=BB6_8935 Depth=2
	v_min_i32_e32 v2, 15, v16
	v_lshl_or_b32 v2, v2, 3, v51
	v_and_or_b32 v40, v14, 7, v2
                                        ; implicit-def: $vgpr51
; %bb.9022:                             ;   in Loop: Header=BB6_8935 Depth=2
	s_andn2_saveexec_b64 s[20:21], s[20:21]
; %bb.9023:                             ;   in Loop: Header=BB6_8935 Depth=2
	v_mov_b32_e32 v40, v51
; %bb.9024:                             ;   in Loop: Header=BB6_8935 Depth=2
	s_or_b64 exec, exec, s[20:21]
.LBB6_9025:                             ;   in Loop: Header=BB6_8935 Depth=2
	s_or_b64 exec, exec, s[30:31]
                                        ; implicit-def: $vgpr51
.LBB6_9026:                             ;   in Loop: Header=BB6_8935 Depth=2
	s_andn2_saveexec_b64 s[20:21], s[94:95]
; %bb.9027:                             ;   in Loop: Header=BB6_8935 Depth=2
	v_or_b32_e32 v40, 0x7e, v51
; %bb.9028:                             ;   in Loop: Header=BB6_8935 Depth=2
	s_or_b64 exec, exec, s[20:21]
                                        ; implicit-def: $vgpr14
.LBB6_9029:                             ;   in Loop: Header=BB6_8935 Depth=2
	s_andn2_saveexec_b64 s[20:21], s[92:93]
; %bb.9030:                             ;   in Loop: Header=BB6_8935 Depth=2
	v_or_b32_sdwa v40, v14, s51 dst_sel:DWORD dst_unused:UNUSED_PAD src0_sel:BYTE_3 src1_sel:DWORD
; %bb.9031:                             ;   in Loop: Header=BB6_8935 Depth=2
	s_or_b64 exec, exec, s[20:21]
	v_and_b32_e32 v2, 0xff, v49
	v_cmp_ne_u16_e64 s[20:21], 0, v2
	s_and_b64 vcc, exec, s[18:19]
	s_mov_b64 s[92:93], -1
                                        ; implicit-def: $vgpr14
	s_cbranch_vccnz .LBB6_9045
; %bb.9032:                             ;   in Loop: Header=BB6_8935 Depth=2
	v_mov_b32_e32 v16, 0
	v_mov_b32_e32 v15, 0
	s_and_saveexec_b64 s[92:93], s[20:21]
	s_cbranch_execz .LBB6_9038
; %bb.9033:                             ;   in Loop: Header=BB6_8935 Depth=2
	v_cmp_ne_u16_e32 vcc, s49, v2
	v_bfrev_b32_e32 v15, 1
	s_and_saveexec_b64 s[94:95], vcc
	s_cbranch_execz .LBB6_9037
; %bb.9034:                             ;   in Loop: Header=BB6_8935 Depth=2
	v_and_b32_e32 v14, 0x7f, v49
	v_cmp_ne_u32_e32 vcc, s51, v14
	v_mov_b32_e32 v15, 0x7f800001
	s_and_saveexec_b64 s[30:31], vcc
	s_cbranch_execz .LBB6_9036
; %bb.9035:                             ;   in Loop: Header=BB6_8935 Depth=2
	v_and_b32_e32 v51, 7, v2
	v_lshrrev_b32_e32 v52, 3, v14
	v_cmp_gt_u32_e32 vcc, 8, v14
	v_ffbh_u32_e32 v14, v51
	v_min_u32_e32 v54, 32, v14
	v_subrev_u32_e32 v14, 28, v54
	v_lshlrev_b64 v[14:15], v14, v[2:3]
	v_sub_u32_e32 v15, 29, v54
	v_and_b32_e32 v14, 7, v14
	v_cndmask_b32_e32 v15, v52, v15, vcc
	v_cndmask_b32_e32 v14, v51, v14, vcc
	v_lshlrev_b32_e32 v51, 24, v49
	v_bfrev_b32_e32 v52, 60
	v_lshlrev_b32_e32 v14, 20, v14
	v_and_b32_e32 v51, 0x80000000, v51
	v_lshl_add_u32 v15, v15, 23, v52
	v_or3_b32 v15, v51, v15, v14
.LBB6_9036:                             ;   in Loop: Header=BB6_8935 Depth=2
	s_or_b64 exec, exec, s[30:31]
.LBB6_9037:                             ;   in Loop: Header=BB6_8935 Depth=2
	s_or_b64 exec, exec, s[94:95]
.LBB6_9038:                             ;   in Loop: Header=BB6_8935 Depth=2
	s_or_b64 exec, exec, s[92:93]
	v_and_b32_e32 v14, 0xff, v48
	v_cmp_ne_u16_e32 vcc, 0, v14
	s_and_saveexec_b64 s[92:93], vcc
	s_cbranch_execz .LBB6_9044
; %bb.9039:                             ;   in Loop: Header=BB6_8935 Depth=2
	v_cmp_ne_u16_e32 vcc, s49, v14
	v_bfrev_b32_e32 v16, 1
	s_and_saveexec_b64 s[94:95], vcc
	s_cbranch_execz .LBB6_9043
; %bb.9040:                             ;   in Loop: Header=BB6_8935 Depth=2
	v_and_b32_e32 v51, 0x7f, v48
	v_cmp_ne_u32_e32 vcc, s51, v51
	v_mov_b32_e32 v16, 0x7f800001
	s_and_saveexec_b64 s[30:31], vcc
	s_cbranch_execz .LBB6_9042
; %bb.9041:                             ;   in Loop: Header=BB6_8935 Depth=2
	v_and_b32_e32 v16, 7, v14
	v_lshrrev_b32_e32 v54, 3, v51
	v_cmp_gt_u32_e32 vcc, 8, v51
	v_ffbh_u32_e32 v51, v16
	v_min_u32_e32 v55, 32, v51
	v_subrev_u32_e32 v51, 28, v55
	v_lshlrev_b64 v[51:52], v51, v[14:15]
	v_sub_u32_e32 v14, 29, v55
	v_and_b32_e32 v51, 7, v51
	v_cndmask_b32_e32 v14, v54, v14, vcc
	v_cndmask_b32_e32 v16, v16, v51, vcc
	v_lshlrev_b32_e32 v51, 24, v48
	v_bfrev_b32_e32 v52, 60
	v_lshlrev_b32_e32 v16, 20, v16
	v_and_b32_e32 v51, 0x80000000, v51
	v_lshl_add_u32 v14, v14, 23, v52
	v_or3_b32 v16, v51, v14, v16
.LBB6_9042:                             ;   in Loop: Header=BB6_8935 Depth=2
	s_or_b64 exec, exec, s[30:31]
.LBB6_9043:                             ;   in Loop: Header=BB6_8935 Depth=2
	s_or_b64 exec, exec, s[94:95]
.LBB6_9044:                             ;   in Loop: Header=BB6_8935 Depth=2
	s_or_b64 exec, exec, s[92:93]
	v_max_f32_e32 v14, v16, v16
	v_max_f32_e32 v15, v15, v15
	;; [unrolled: 1-line block ×3, first 2 shown]
	s_mov_b64 s[92:93], 0
.LBB6_9045:                             ;   in Loop: Header=BB6_8935 Depth=2
	s_and_b64 vcc, exec, s[92:93]
	s_cbranch_vccz .LBB6_9059
; %bb.9046:                             ;   in Loop: Header=BB6_8935 Depth=2
	v_mov_b32_e32 v15, 0
	v_mov_b32_e32 v14, 0
	s_and_saveexec_b64 s[92:93], s[20:21]
	s_cbranch_execz .LBB6_9052
; %bb.9047:                             ;   in Loop: Header=BB6_8935 Depth=2
	v_cmp_ne_u16_e32 vcc, s49, v2
	v_bfrev_b32_e32 v14, 1
	s_and_saveexec_b64 s[20:21], vcc
	s_cbranch_execz .LBB6_9051
; %bb.9048:                             ;   in Loop: Header=BB6_8935 Depth=2
	v_and_b32_e32 v16, 0x7f, v49
	v_cmp_ne_u32_e32 vcc, s51, v16
	v_mov_b32_e32 v14, 0x7f800001
	s_and_saveexec_b64 s[94:95], vcc
	s_cbranch_execz .LBB6_9050
; %bb.9049:                             ;   in Loop: Header=BB6_8935 Depth=2
	v_and_b32_e32 v14, 7, v2
	v_lshrrev_b32_e32 v54, 3, v16
	v_cmp_gt_u32_e32 vcc, 8, v16
	v_ffbh_u32_e32 v16, v14
	v_min_u32_e32 v16, 32, v16
	v_subrev_u32_e32 v51, 28, v16
	v_lshlrev_b64 v[51:52], v51, v[2:3]
	v_sub_u32_e32 v2, 29, v16
	v_and_b32_e32 v16, 7, v51
	v_cndmask_b32_e32 v2, v54, v2, vcc
	v_cndmask_b32_e32 v14, v14, v16, vcc
	v_lshlrev_b32_e32 v16, 24, v49
	v_bfrev_b32_e32 v49, 60
	v_lshlrev_b32_e32 v14, 20, v14
	v_and_b32_e32 v16, 0x80000000, v16
	v_lshl_add_u32 v2, v2, 23, v49
	v_or3_b32 v14, v16, v2, v14
.LBB6_9050:                             ;   in Loop: Header=BB6_8935 Depth=2
	s_or_b64 exec, exec, s[94:95]
.LBB6_9051:                             ;   in Loop: Header=BB6_8935 Depth=2
	s_or_b64 exec, exec, s[20:21]
.LBB6_9052:                             ;   in Loop: Header=BB6_8935 Depth=2
	s_or_b64 exec, exec, s[92:93]
	v_and_b32_e32 v2, 0xff, v48
	v_cmp_ne_u16_e32 vcc, 0, v2
	s_and_saveexec_b64 s[20:21], vcc
	s_cbranch_execz .LBB6_9058
; %bb.9053:                             ;   in Loop: Header=BB6_8935 Depth=2
	v_cmp_ne_u16_e32 vcc, s49, v2
	v_bfrev_b32_e32 v15, 1
	s_and_saveexec_b64 s[92:93], vcc
	s_cbranch_execz .LBB6_9057
; %bb.9054:                             ;   in Loop: Header=BB6_8935 Depth=2
	v_and_b32_e32 v16, 0x7f, v48
	v_cmp_ne_u32_e32 vcc, s51, v16
	v_mov_b32_e32 v15, 0x7f800001
	s_and_saveexec_b64 s[94:95], vcc
	s_cbranch_execz .LBB6_9056
; %bb.9055:                             ;   in Loop: Header=BB6_8935 Depth=2
	v_and_b32_e32 v49, 7, v2
	v_ffbh_u32_e32 v15, v49
	v_min_u32_e32 v52, 32, v15
	v_subrev_u32_e32 v15, 28, v52
	v_lshrrev_b32_e32 v51, 3, v16
	v_cmp_gt_u32_e32 vcc, 8, v16
	v_lshlrev_b64 v[15:16], v15, v[2:3]
	v_sub_u32_e32 v2, 29, v52
	v_and_b32_e32 v15, 7, v15
	v_cndmask_b32_e32 v2, v51, v2, vcc
	v_cndmask_b32_e32 v15, v49, v15, vcc
	v_lshlrev_b32_e32 v16, 24, v48
	v_bfrev_b32_e32 v48, 60
	v_lshlrev_b32_e32 v15, 20, v15
	v_and_b32_e32 v16, 0x80000000, v16
	v_lshl_add_u32 v2, v2, 23, v48
	v_or3_b32 v15, v16, v2, v15
.LBB6_9056:                             ;   in Loop: Header=BB6_8935 Depth=2
	s_or_b64 exec, exec, s[94:95]
.LBB6_9057:                             ;   in Loop: Header=BB6_8935 Depth=2
	s_or_b64 exec, exec, s[92:93]
.LBB6_9058:                             ;   in Loop: Header=BB6_8935 Depth=2
	s_or_b64 exec, exec, s[20:21]
	v_max_f32_e32 v2, v15, v15
	v_max_f32_e32 v14, v14, v14
	v_min_f32_e32 v14, v14, v2
.LBB6_9059:                             ;   in Loop: Header=BB6_8935 Depth=2
	v_and_b32_e32 v2, 0x7f800000, v14
	v_cmp_ne_u64_e32 vcc, s[62:63], v[2:3]
                                        ; implicit-def: $vgpr55
	s_and_saveexec_b64 s[20:21], vcc
	s_xor_b64 s[92:93], exec, s[20:21]
	s_cbranch_execz .LBB6_9077
; %bb.9060:                             ;   in Loop: Header=BB6_8935 Depth=2
	v_and_b32_e32 v2, 0x7fffffff, v14
	v_cmp_gt_u64_e32 vcc, s[72:73], v[2:3]
	v_and_b32_sdwa v48, v14, s49 dst_sel:DWORD dst_unused:UNUSED_PAD src0_sel:BYTE_3 src1_sel:DWORD
                                        ; implicit-def: $vgpr55
	s_and_saveexec_b64 s[20:21], vcc
	s_xor_b64 s[94:95], exec, s[20:21]
	s_cbranch_execz .LBB6_9074
; %bb.9061:                             ;   in Loop: Header=BB6_8935 Depth=2
	v_cmp_ne_u32_e32 vcc, 0, v14
	v_mov_b32_e32 v55, 0
	s_and_saveexec_b64 s[30:31], vcc
	s_cbranch_execz .LBB6_9073
; %bb.9062:                             ;   in Loop: Header=BB6_8935 Depth=2
	v_bfe_u32 v49, v14, 23, 8
	v_and_b32_e32 v2, 0x7fffff, v14
	v_cmp_gt_u32_e64 s[20:21], s53, v49
	v_sub_u32_e32 v14, 0x79, v49
	v_cmp_eq_u32_e32 vcc, 0, v49
	v_cndmask_b32_e64 v14, 0, v14, s[20:21]
	v_mov_b32_e32 v16, 0x78
	v_cndmask_b32_e32 v51, v14, v16, vcc
	v_or_b32_e32 v15, 0x800000, v2
	v_add_u32_e32 v14, 20, v51
	v_cndmask_b32_e32 v2, v15, v2, vcc
	v_lshlrev_b64 v[14:15], v14, -1
	v_add_u32_e32 v16, 19, v51
	v_lshlrev_b64 v[54:55], v16, 1
	v_bfi_b32 v15, v15, 0, 0
	v_bfi_b32 v14, v14, 0, v2
	v_cmp_eq_u64_e64 s[20:21], v[14:15], v[54:55]
	v_lshrrev_b64 v[14:15], v51, v[2:3]
	v_mov_b32_e32 v16, v15
	v_mov_b32_e32 v15, v14
	s_and_saveexec_b64 s[34:35], s[20:21]
; %bb.9063:                             ;   in Loop: Header=BB6_8935 Depth=2
	v_bfe_u32 v2, v14, 20, 1
	v_add_co_u32_e64 v2, s[20:21], v14, v2
	v_add_co_u32_e64 v15, s[20:21], -1, v2
; %bb.9064:                             ;   in Loop: Header=BB6_8935 Depth=2
	s_or_b64 exec, exec, s[34:35]
	v_add_u32_e32 v2, 0xffffff81, v49
	v_cndmask_b32_e32 v2, v2, v9, vcc
	v_lshrrev_b32_e32 v16, 23, v14
	v_add3_u32 v51, v51, v2, v16
	v_add_u32_e32 v49, 6, v51
	v_and_b32_e32 v2, 0xfffff, v15
	v_add_u32_e32 v2, v2, v14
	v_cmp_ne_u32_e32 vcc, 0, v49
                                        ; implicit-def: $vgpr14_vgpr15
                                        ; implicit-def: $vgpr16
	s_and_saveexec_b64 s[20:21], vcc
	s_xor_b64 s[20:21], exec, s[20:21]
; %bb.9065:                             ;   in Loop: Header=BB6_8935 Depth=2
	v_cmp_lt_u64_e32 vcc, s[74:75], v[2:3]
	v_add_u32_e32 v14, 7, v51
	v_cndmask_b32_e32 v16, v49, v14, vcc
	v_cndmask_b32_e64 v14, 0, 1, vcc
	v_lshrrev_b64 v[14:15], v14, v[2:3]
; %bb.9066:                             ;   in Loop: Header=BB6_8935 Depth=2
	s_andn2_saveexec_b64 s[20:21], s[20:21]
; %bb.9067:                             ;   in Loop: Header=BB6_8935 Depth=2
	v_mov_b32_e32 v15, v3
	v_bfe_u32 v16, v2, 23, 1
	v_mov_b32_e32 v14, v2
; %bb.9068:                             ;   in Loop: Header=BB6_8935 Depth=2
	s_or_b64 exec, exec, s[20:21]
	v_lshrrev_b64 v[14:15], 20, v[14:15]
	v_cmp_gt_i32_e32 vcc, 16, v16
	v_cndmask_b32_e32 v15, 0, v15, vcc
	v_cndmask_b32_e32 v14, 7, v14, vcc
	v_cmp_ne_u64_e32 vcc, 0, v[14:15]
	v_cmp_ne_u32_e64 s[20:21], 0, v16
	s_or_b64 s[20:21], s[20:21], vcc
                                        ; implicit-def: $vgpr55
	s_and_saveexec_b64 vcc, s[20:21]
	s_xor_b64 s[20:21], exec, vcc
; %bb.9069:                             ;   in Loop: Header=BB6_8935 Depth=2
	v_min_i32_e32 v2, 15, v16
	v_lshl_or_b32 v2, v2, 3, v48
	v_and_or_b32 v55, v14, 7, v2
                                        ; implicit-def: $vgpr48
; %bb.9070:                             ;   in Loop: Header=BB6_8935 Depth=2
	s_andn2_saveexec_b64 s[20:21], s[20:21]
; %bb.9071:                             ;   in Loop: Header=BB6_8935 Depth=2
	v_mov_b32_e32 v55, v48
; %bb.9072:                             ;   in Loop: Header=BB6_8935 Depth=2
	s_or_b64 exec, exec, s[20:21]
.LBB6_9073:                             ;   in Loop: Header=BB6_8935 Depth=2
	s_or_b64 exec, exec, s[30:31]
                                        ; implicit-def: $vgpr48
.LBB6_9074:                             ;   in Loop: Header=BB6_8935 Depth=2
	s_andn2_saveexec_b64 s[20:21], s[94:95]
; %bb.9075:                             ;   in Loop: Header=BB6_8935 Depth=2
	v_or_b32_e32 v55, 0x7e, v48
; %bb.9076:                             ;   in Loop: Header=BB6_8935 Depth=2
	s_or_b64 exec, exec, s[20:21]
                                        ; implicit-def: $vgpr14
.LBB6_9077:                             ;   in Loop: Header=BB6_8935 Depth=2
	s_andn2_saveexec_b64 s[20:21], s[92:93]
; %bb.9078:                             ;   in Loop: Header=BB6_8935 Depth=2
	v_or_b32_sdwa v55, v14, s51 dst_sel:DWORD dst_unused:UNUSED_PAD src0_sel:BYTE_3 src1_sel:DWORD
; %bb.9079:                             ;   in Loop: Header=BB6_8935 Depth=2
	s_or_b64 exec, exec, s[20:21]
	v_and_b32_e32 v2, 0xff, v38
	v_cmp_ne_u16_e64 s[20:21], 0, v2
	s_and_b64 vcc, exec, s[18:19]
	s_mov_b64 s[92:93], -1
                                        ; implicit-def: $vgpr14
	s_cbranch_vccnz .LBB6_9093
; %bb.9080:                             ;   in Loop: Header=BB6_8935 Depth=2
	v_mov_b32_e32 v16, 0
	v_mov_b32_e32 v15, 0
	s_and_saveexec_b64 s[92:93], s[20:21]
	s_cbranch_execz .LBB6_9086
; %bb.9081:                             ;   in Loop: Header=BB6_8935 Depth=2
	v_cmp_ne_u16_e32 vcc, s49, v2
	v_bfrev_b32_e32 v15, 1
	s_and_saveexec_b64 s[94:95], vcc
	s_cbranch_execz .LBB6_9085
; %bb.9082:                             ;   in Loop: Header=BB6_8935 Depth=2
	v_and_b32_e32 v14, 0x7f, v38
	v_cmp_ne_u32_e32 vcc, s51, v14
	v_mov_b32_e32 v15, 0x7f800001
	s_and_saveexec_b64 s[30:31], vcc
	s_cbranch_execz .LBB6_9084
; %bb.9083:                             ;   in Loop: Header=BB6_8935 Depth=2
	v_and_b32_e32 v48, 7, v2
	v_lshrrev_b32_e32 v49, 3, v14
	v_cmp_gt_u32_e32 vcc, 8, v14
	v_ffbh_u32_e32 v14, v48
	v_min_u32_e32 v51, 32, v14
	v_subrev_u32_e32 v14, 28, v51
	v_lshlrev_b64 v[14:15], v14, v[2:3]
	v_sub_u32_e32 v15, 29, v51
	v_and_b32_e32 v14, 7, v14
	v_cndmask_b32_e32 v15, v49, v15, vcc
	v_cndmask_b32_e32 v14, v48, v14, vcc
	v_lshlrev_b32_e32 v48, 24, v38
	v_bfrev_b32_e32 v49, 60
	v_lshlrev_b32_e32 v14, 20, v14
	v_and_b32_e32 v48, 0x80000000, v48
	v_lshl_add_u32 v15, v15, 23, v49
	v_or3_b32 v15, v48, v15, v14
.LBB6_9084:                             ;   in Loop: Header=BB6_8935 Depth=2
	s_or_b64 exec, exec, s[30:31]
.LBB6_9085:                             ;   in Loop: Header=BB6_8935 Depth=2
	s_or_b64 exec, exec, s[94:95]
.LBB6_9086:                             ;   in Loop: Header=BB6_8935 Depth=2
	s_or_b64 exec, exec, s[92:93]
	v_and_b32_e32 v14, 0xff, v37
	v_cmp_ne_u16_e32 vcc, 0, v14
	s_and_saveexec_b64 s[92:93], vcc
	s_cbranch_execz .LBB6_9092
; %bb.9087:                             ;   in Loop: Header=BB6_8935 Depth=2
	v_cmp_ne_u16_e32 vcc, s49, v14
	v_bfrev_b32_e32 v16, 1
	s_and_saveexec_b64 s[94:95], vcc
	s_cbranch_execz .LBB6_9091
; %bb.9088:                             ;   in Loop: Header=BB6_8935 Depth=2
	v_and_b32_e32 v48, 0x7f, v37
	v_cmp_ne_u32_e32 vcc, s51, v48
	v_mov_b32_e32 v16, 0x7f800001
	s_and_saveexec_b64 s[30:31], vcc
	s_cbranch_execz .LBB6_9090
; %bb.9089:                             ;   in Loop: Header=BB6_8935 Depth=2
	v_and_b32_e32 v16, 7, v14
	v_lshrrev_b32_e32 v51, 3, v48
	v_cmp_gt_u32_e32 vcc, 8, v48
	v_ffbh_u32_e32 v48, v16
	v_min_u32_e32 v52, 32, v48
	v_subrev_u32_e32 v48, 28, v52
	v_lshlrev_b64 v[48:49], v48, v[14:15]
	v_sub_u32_e32 v14, 29, v52
	v_and_b32_e32 v48, 7, v48
	v_cndmask_b32_e32 v14, v51, v14, vcc
	v_cndmask_b32_e32 v16, v16, v48, vcc
	v_lshlrev_b32_e32 v48, 24, v37
	v_bfrev_b32_e32 v49, 60
	v_lshlrev_b32_e32 v16, 20, v16
	v_and_b32_e32 v48, 0x80000000, v48
	v_lshl_add_u32 v14, v14, 23, v49
	v_or3_b32 v16, v48, v14, v16
.LBB6_9090:                             ;   in Loop: Header=BB6_8935 Depth=2
	s_or_b64 exec, exec, s[30:31]
.LBB6_9091:                             ;   in Loop: Header=BB6_8935 Depth=2
	s_or_b64 exec, exec, s[94:95]
.LBB6_9092:                             ;   in Loop: Header=BB6_8935 Depth=2
	s_or_b64 exec, exec, s[92:93]
	v_max_f32_e32 v14, v16, v16
	v_max_f32_e32 v15, v15, v15
	v_max_f32_e32 v14, v15, v14
	s_mov_b64 s[92:93], 0
.LBB6_9093:                             ;   in Loop: Header=BB6_8935 Depth=2
	s_and_b64 vcc, exec, s[92:93]
	s_cbranch_vccz .LBB6_9107
; %bb.9094:                             ;   in Loop: Header=BB6_8935 Depth=2
	v_mov_b32_e32 v15, 0
	v_mov_b32_e32 v14, 0
	s_and_saveexec_b64 s[92:93], s[20:21]
	s_cbranch_execz .LBB6_9100
; %bb.9095:                             ;   in Loop: Header=BB6_8935 Depth=2
	v_cmp_ne_u16_e32 vcc, s49, v2
	v_bfrev_b32_e32 v14, 1
	s_and_saveexec_b64 s[20:21], vcc
	s_cbranch_execz .LBB6_9099
; %bb.9096:                             ;   in Loop: Header=BB6_8935 Depth=2
	v_and_b32_e32 v16, 0x7f, v38
	v_cmp_ne_u32_e32 vcc, s51, v16
	v_mov_b32_e32 v14, 0x7f800001
	s_and_saveexec_b64 s[94:95], vcc
	s_cbranch_execz .LBB6_9098
; %bb.9097:                             ;   in Loop: Header=BB6_8935 Depth=2
	v_and_b32_e32 v14, 7, v2
	v_lshrrev_b32_e32 v51, 3, v16
	v_cmp_gt_u32_e32 vcc, 8, v16
	v_ffbh_u32_e32 v16, v14
	v_min_u32_e32 v16, 32, v16
	v_subrev_u32_e32 v48, 28, v16
	v_lshlrev_b64 v[48:49], v48, v[2:3]
	v_sub_u32_e32 v2, 29, v16
	v_and_b32_e32 v16, 7, v48
	v_cndmask_b32_e32 v2, v51, v2, vcc
	v_cndmask_b32_e32 v14, v14, v16, vcc
	v_lshlrev_b32_e32 v16, 24, v38
	v_bfrev_b32_e32 v38, 60
	v_lshlrev_b32_e32 v14, 20, v14
	v_and_b32_e32 v16, 0x80000000, v16
	v_lshl_add_u32 v2, v2, 23, v38
	v_or3_b32 v14, v16, v2, v14
.LBB6_9098:                             ;   in Loop: Header=BB6_8935 Depth=2
	s_or_b64 exec, exec, s[94:95]
.LBB6_9099:                             ;   in Loop: Header=BB6_8935 Depth=2
	s_or_b64 exec, exec, s[20:21]
.LBB6_9100:                             ;   in Loop: Header=BB6_8935 Depth=2
	s_or_b64 exec, exec, s[92:93]
	v_and_b32_e32 v2, 0xff, v37
	v_cmp_ne_u16_e32 vcc, 0, v2
	s_and_saveexec_b64 s[20:21], vcc
	s_cbranch_execz .LBB6_9106
; %bb.9101:                             ;   in Loop: Header=BB6_8935 Depth=2
	v_cmp_ne_u16_e32 vcc, s49, v2
	v_bfrev_b32_e32 v15, 1
	s_and_saveexec_b64 s[92:93], vcc
	s_cbranch_execz .LBB6_9105
; %bb.9102:                             ;   in Loop: Header=BB6_8935 Depth=2
	v_and_b32_e32 v16, 0x7f, v37
	v_cmp_ne_u32_e32 vcc, s51, v16
	v_mov_b32_e32 v15, 0x7f800001
	s_and_saveexec_b64 s[94:95], vcc
	s_cbranch_execz .LBB6_9104
; %bb.9103:                             ;   in Loop: Header=BB6_8935 Depth=2
	v_and_b32_e32 v38, 7, v2
	v_ffbh_u32_e32 v15, v38
	v_min_u32_e32 v49, 32, v15
	v_subrev_u32_e32 v15, 28, v49
	v_lshrrev_b32_e32 v48, 3, v16
	v_cmp_gt_u32_e32 vcc, 8, v16
	v_lshlrev_b64 v[15:16], v15, v[2:3]
	v_sub_u32_e32 v2, 29, v49
	v_and_b32_e32 v15, 7, v15
	v_cndmask_b32_e32 v2, v48, v2, vcc
	v_cndmask_b32_e32 v15, v38, v15, vcc
	v_lshlrev_b32_e32 v16, 24, v37
	v_bfrev_b32_e32 v37, 60
	v_lshlrev_b32_e32 v15, 20, v15
	v_and_b32_e32 v16, 0x80000000, v16
	v_lshl_add_u32 v2, v2, 23, v37
	v_or3_b32 v15, v16, v2, v15
.LBB6_9104:                             ;   in Loop: Header=BB6_8935 Depth=2
	s_or_b64 exec, exec, s[94:95]
.LBB6_9105:                             ;   in Loop: Header=BB6_8935 Depth=2
	s_or_b64 exec, exec, s[92:93]
.LBB6_9106:                             ;   in Loop: Header=BB6_8935 Depth=2
	s_or_b64 exec, exec, s[20:21]
	v_max_f32_e32 v2, v15, v15
	v_max_f32_e32 v14, v14, v14
	v_min_f32_e32 v14, v14, v2
.LBB6_9107:                             ;   in Loop: Header=BB6_8935 Depth=2
	v_and_b32_e32 v2, 0x7f800000, v14
	v_cmp_ne_u64_e32 vcc, s[62:63], v[2:3]
                                        ; implicit-def: $vgpr41
	s_and_saveexec_b64 s[20:21], vcc
	s_xor_b64 s[92:93], exec, s[20:21]
	s_cbranch_execz .LBB6_9125
; %bb.9108:                             ;   in Loop: Header=BB6_8935 Depth=2
	v_and_b32_e32 v2, 0x7fffffff, v14
	v_cmp_gt_u64_e32 vcc, s[72:73], v[2:3]
	v_and_b32_sdwa v37, v14, s49 dst_sel:DWORD dst_unused:UNUSED_PAD src0_sel:BYTE_3 src1_sel:DWORD
                                        ; implicit-def: $vgpr41
	s_and_saveexec_b64 s[20:21], vcc
	s_xor_b64 s[94:95], exec, s[20:21]
	s_cbranch_execz .LBB6_9122
; %bb.9109:                             ;   in Loop: Header=BB6_8935 Depth=2
	v_cmp_ne_u32_e32 vcc, 0, v14
	v_mov_b32_e32 v41, 0
	s_and_saveexec_b64 s[30:31], vcc
	s_cbranch_execz .LBB6_9121
; %bb.9110:                             ;   in Loop: Header=BB6_8935 Depth=2
	v_bfe_u32 v38, v14, 23, 8
	v_and_b32_e32 v2, 0x7fffff, v14
	v_cmp_gt_u32_e64 s[20:21], s53, v38
	v_sub_u32_e32 v14, 0x79, v38
	v_cmp_eq_u32_e32 vcc, 0, v38
	v_cndmask_b32_e64 v14, 0, v14, s[20:21]
	v_mov_b32_e32 v16, 0x78
	v_cndmask_b32_e32 v48, v14, v16, vcc
	v_or_b32_e32 v15, 0x800000, v2
	v_add_u32_e32 v14, 20, v48
	v_cndmask_b32_e32 v2, v15, v2, vcc
	v_lshlrev_b64 v[14:15], v14, -1
	v_add_u32_e32 v16, 19, v48
	v_lshlrev_b64 v[51:52], v16, 1
	v_bfi_b32 v15, v15, 0, 0
	v_bfi_b32 v14, v14, 0, v2
	v_cmp_eq_u64_e64 s[20:21], v[14:15], v[51:52]
	v_lshrrev_b64 v[14:15], v48, v[2:3]
	v_mov_b32_e32 v16, v15
	v_mov_b32_e32 v15, v14
	s_and_saveexec_b64 s[34:35], s[20:21]
; %bb.9111:                             ;   in Loop: Header=BB6_8935 Depth=2
	v_bfe_u32 v2, v14, 20, 1
	v_add_co_u32_e64 v2, s[20:21], v14, v2
	v_add_co_u32_e64 v15, s[20:21], -1, v2
; %bb.9112:                             ;   in Loop: Header=BB6_8935 Depth=2
	s_or_b64 exec, exec, s[34:35]
	v_add_u32_e32 v2, 0xffffff81, v38
	v_cndmask_b32_e32 v2, v2, v9, vcc
	v_lshrrev_b32_e32 v16, 23, v14
	v_add3_u32 v48, v48, v2, v16
	v_add_u32_e32 v38, 6, v48
	v_and_b32_e32 v2, 0xfffff, v15
	v_add_u32_e32 v2, v2, v14
	v_cmp_ne_u32_e32 vcc, 0, v38
                                        ; implicit-def: $vgpr14_vgpr15
                                        ; implicit-def: $vgpr16
	s_and_saveexec_b64 s[20:21], vcc
	s_xor_b64 s[20:21], exec, s[20:21]
; %bb.9113:                             ;   in Loop: Header=BB6_8935 Depth=2
	v_cmp_lt_u64_e32 vcc, s[74:75], v[2:3]
	v_add_u32_e32 v14, 7, v48
	v_cndmask_b32_e32 v16, v38, v14, vcc
	v_cndmask_b32_e64 v14, 0, 1, vcc
	v_lshrrev_b64 v[14:15], v14, v[2:3]
; %bb.9114:                             ;   in Loop: Header=BB6_8935 Depth=2
	s_andn2_saveexec_b64 s[20:21], s[20:21]
; %bb.9115:                             ;   in Loop: Header=BB6_8935 Depth=2
	v_mov_b32_e32 v15, v3
	v_bfe_u32 v16, v2, 23, 1
	v_mov_b32_e32 v14, v2
; %bb.9116:                             ;   in Loop: Header=BB6_8935 Depth=2
	s_or_b64 exec, exec, s[20:21]
	v_lshrrev_b64 v[14:15], 20, v[14:15]
	v_cmp_gt_i32_e32 vcc, 16, v16
	v_cndmask_b32_e32 v15, 0, v15, vcc
	v_cndmask_b32_e32 v14, 7, v14, vcc
	v_cmp_ne_u64_e32 vcc, 0, v[14:15]
	v_cmp_ne_u32_e64 s[20:21], 0, v16
	s_or_b64 s[20:21], s[20:21], vcc
                                        ; implicit-def: $vgpr41
	s_and_saveexec_b64 vcc, s[20:21]
	s_xor_b64 s[20:21], exec, vcc
; %bb.9117:                             ;   in Loop: Header=BB6_8935 Depth=2
	v_min_i32_e32 v2, 15, v16
	v_lshl_or_b32 v2, v2, 3, v37
	v_and_or_b32 v41, v14, 7, v2
                                        ; implicit-def: $vgpr37
; %bb.9118:                             ;   in Loop: Header=BB6_8935 Depth=2
	s_andn2_saveexec_b64 s[20:21], s[20:21]
; %bb.9119:                             ;   in Loop: Header=BB6_8935 Depth=2
	v_mov_b32_e32 v41, v37
; %bb.9120:                             ;   in Loop: Header=BB6_8935 Depth=2
	s_or_b64 exec, exec, s[20:21]
.LBB6_9121:                             ;   in Loop: Header=BB6_8935 Depth=2
	s_or_b64 exec, exec, s[30:31]
                                        ; implicit-def: $vgpr37
.LBB6_9122:                             ;   in Loop: Header=BB6_8935 Depth=2
	s_andn2_saveexec_b64 s[20:21], s[94:95]
; %bb.9123:                             ;   in Loop: Header=BB6_8935 Depth=2
	v_or_b32_e32 v41, 0x7e, v37
; %bb.9124:                             ;   in Loop: Header=BB6_8935 Depth=2
	s_or_b64 exec, exec, s[20:21]
                                        ; implicit-def: $vgpr14
.LBB6_9125:                             ;   in Loop: Header=BB6_8935 Depth=2
	s_andn2_saveexec_b64 s[20:21], s[92:93]
; %bb.9126:                             ;   in Loop: Header=BB6_8935 Depth=2
	v_or_b32_sdwa v41, v14, s51 dst_sel:DWORD dst_unused:UNUSED_PAD src0_sel:BYTE_3 src1_sel:DWORD
; %bb.9127:                             ;   in Loop: Header=BB6_8935 Depth=2
	s_or_b64 exec, exec, s[20:21]
	v_and_b32_e32 v2, 0xff, v59
	v_cmp_ne_u16_e64 s[20:21], 0, v2
	s_and_b64 vcc, exec, s[18:19]
	s_mov_b64 s[92:93], -1
	v_mov_b32_e32 v54, v17
                                        ; implicit-def: $vgpr14
	s_cbranch_vccnz .LBB6_9141
; %bb.9128:                             ;   in Loop: Header=BB6_8935 Depth=2
	v_mov_b32_e32 v16, 0
	v_mov_b32_e32 v15, 0
	s_and_saveexec_b64 s[92:93], s[20:21]
	s_cbranch_execz .LBB6_9134
; %bb.9129:                             ;   in Loop: Header=BB6_8935 Depth=2
	v_cmp_ne_u16_e32 vcc, s49, v2
	v_bfrev_b32_e32 v15, 1
	s_and_saveexec_b64 s[94:95], vcc
	s_cbranch_execz .LBB6_9133
; %bb.9130:                             ;   in Loop: Header=BB6_8935 Depth=2
	v_and_b32_e32 v14, 0x7f, v59
	v_cmp_ne_u32_e32 vcc, s51, v14
	v_mov_b32_e32 v15, 0x7f800001
	s_and_saveexec_b64 s[30:31], vcc
	s_cbranch_execz .LBB6_9132
; %bb.9131:                             ;   in Loop: Header=BB6_8935 Depth=2
	v_and_b32_e32 v37, 7, v2
	v_lshrrev_b32_e32 v38, 3, v14
	v_cmp_gt_u32_e32 vcc, 8, v14
	v_ffbh_u32_e32 v14, v37
	v_min_u32_e32 v48, 32, v14
	v_subrev_u32_e32 v14, 28, v48
	v_lshlrev_b64 v[14:15], v14, v[2:3]
	v_sub_u32_e32 v15, 29, v48
	v_and_b32_e32 v14, 7, v14
	v_cndmask_b32_e32 v15, v38, v15, vcc
	v_cndmask_b32_e32 v14, v37, v14, vcc
	v_lshlrev_b32_e32 v37, 24, v59
	v_bfrev_b32_e32 v17, 60
	v_lshlrev_b32_e32 v14, 20, v14
	v_and_b32_e32 v37, 0x80000000, v37
	v_lshl_add_u32 v15, v15, 23, v17
	v_or3_b32 v15, v37, v15, v14
.LBB6_9132:                             ;   in Loop: Header=BB6_8935 Depth=2
	s_or_b64 exec, exec, s[30:31]
.LBB6_9133:                             ;   in Loop: Header=BB6_8935 Depth=2
	s_or_b64 exec, exec, s[94:95]
.LBB6_9134:                             ;   in Loop: Header=BB6_8935 Depth=2
	s_or_b64 exec, exec, s[92:93]
	v_and_b32_e32 v14, 0xff, v58
	v_cmp_ne_u16_e32 vcc, 0, v14
	s_and_saveexec_b64 s[92:93], vcc
	s_cbranch_execz .LBB6_9140
; %bb.9135:                             ;   in Loop: Header=BB6_8935 Depth=2
	v_cmp_ne_u16_e32 vcc, s49, v14
	v_bfrev_b32_e32 v16, 1
	s_and_saveexec_b64 s[94:95], vcc
	s_cbranch_execz .LBB6_9139
; %bb.9136:                             ;   in Loop: Header=BB6_8935 Depth=2
	v_and_b32_e32 v37, 0x7f, v58
	v_cmp_ne_u32_e32 vcc, s51, v37
	v_mov_b32_e32 v16, 0x7f800001
	s_and_saveexec_b64 s[30:31], vcc
	s_cbranch_execz .LBB6_9138
; %bb.9137:                             ;   in Loop: Header=BB6_8935 Depth=2
	v_and_b32_e32 v16, 7, v14
	v_lshrrev_b32_e32 v48, 3, v37
	v_cmp_gt_u32_e32 vcc, 8, v37
	v_ffbh_u32_e32 v37, v16
	v_min_u32_e32 v49, 32, v37
	v_subrev_u32_e32 v37, 28, v49
	v_lshlrev_b64 v[37:38], v37, v[14:15]
	v_sub_u32_e32 v14, 29, v49
	v_and_b32_e32 v37, 7, v37
	v_cndmask_b32_e32 v14, v48, v14, vcc
	v_cndmask_b32_e32 v16, v16, v37, vcc
	v_lshlrev_b32_e32 v37, 24, v58
	v_bfrev_b32_e32 v17, 60
	v_lshlrev_b32_e32 v16, 20, v16
	v_and_b32_e32 v37, 0x80000000, v37
	v_lshl_add_u32 v14, v14, 23, v17
	v_or3_b32 v16, v37, v14, v16
.LBB6_9138:                             ;   in Loop: Header=BB6_8935 Depth=2
	s_or_b64 exec, exec, s[30:31]
.LBB6_9139:                             ;   in Loop: Header=BB6_8935 Depth=2
	s_or_b64 exec, exec, s[94:95]
.LBB6_9140:                             ;   in Loop: Header=BB6_8935 Depth=2
	s_or_b64 exec, exec, s[92:93]
	v_max_f32_e32 v14, v16, v16
	v_max_f32_e32 v15, v15, v15
	;; [unrolled: 1-line block ×3, first 2 shown]
	s_mov_b64 s[92:93], 0
.LBB6_9141:                             ;   in Loop: Header=BB6_8935 Depth=2
	s_and_b64 vcc, exec, s[92:93]
	s_cbranch_vccz .LBB6_9155
; %bb.9142:                             ;   in Loop: Header=BB6_8935 Depth=2
	v_mov_b32_e32 v15, 0
	v_mov_b32_e32 v14, 0
	s_and_saveexec_b64 s[92:93], s[20:21]
	s_cbranch_execz .LBB6_9148
; %bb.9143:                             ;   in Loop: Header=BB6_8935 Depth=2
	v_cmp_ne_u16_e32 vcc, s49, v2
	v_bfrev_b32_e32 v14, 1
	s_and_saveexec_b64 s[20:21], vcc
	s_cbranch_execz .LBB6_9147
; %bb.9144:                             ;   in Loop: Header=BB6_8935 Depth=2
	v_and_b32_e32 v16, 0x7f, v59
	v_cmp_ne_u32_e32 vcc, s51, v16
	v_mov_b32_e32 v14, 0x7f800001
	s_and_saveexec_b64 s[94:95], vcc
	s_cbranch_execz .LBB6_9146
; %bb.9145:                             ;   in Loop: Header=BB6_8935 Depth=2
	v_and_b32_e32 v14, 7, v2
	v_lshrrev_b32_e32 v48, 3, v16
	v_cmp_gt_u32_e32 vcc, 8, v16
	v_ffbh_u32_e32 v16, v14
	v_min_u32_e32 v16, 32, v16
	v_subrev_u32_e32 v37, 28, v16
	v_lshlrev_b64 v[37:38], v37, v[2:3]
	v_sub_u32_e32 v2, 29, v16
	v_and_b32_e32 v16, 7, v37
	v_cndmask_b32_e32 v2, v48, v2, vcc
	v_cndmask_b32_e32 v14, v14, v16, vcc
	v_lshlrev_b32_e32 v16, 24, v59
	v_bfrev_b32_e32 v17, 60
	v_lshlrev_b32_e32 v14, 20, v14
	v_and_b32_e32 v16, 0x80000000, v16
	v_lshl_add_u32 v2, v2, 23, v17
	v_or3_b32 v14, v16, v2, v14
.LBB6_9146:                             ;   in Loop: Header=BB6_8935 Depth=2
	s_or_b64 exec, exec, s[94:95]
.LBB6_9147:                             ;   in Loop: Header=BB6_8935 Depth=2
	s_or_b64 exec, exec, s[20:21]
.LBB6_9148:                             ;   in Loop: Header=BB6_8935 Depth=2
	s_or_b64 exec, exec, s[92:93]
	v_and_b32_e32 v2, 0xff, v58
	v_cmp_ne_u16_e32 vcc, 0, v2
	s_and_saveexec_b64 s[20:21], vcc
	s_cbranch_execz .LBB6_9154
; %bb.9149:                             ;   in Loop: Header=BB6_8935 Depth=2
	v_cmp_ne_u16_e32 vcc, s49, v2
	v_bfrev_b32_e32 v15, 1
	s_and_saveexec_b64 s[92:93], vcc
	s_cbranch_execz .LBB6_9153
; %bb.9150:                             ;   in Loop: Header=BB6_8935 Depth=2
	v_and_b32_e32 v16, 0x7f, v58
	v_cmp_ne_u32_e32 vcc, s51, v16
	v_mov_b32_e32 v15, 0x7f800001
	s_and_saveexec_b64 s[94:95], vcc
	s_cbranch_execz .LBB6_9152
; %bb.9151:                             ;   in Loop: Header=BB6_8935 Depth=2
	v_and_b32_e32 v37, 7, v2
	v_ffbh_u32_e32 v15, v37
	v_min_u32_e32 v48, 32, v15
	v_subrev_u32_e32 v15, 28, v48
	v_lshrrev_b32_e32 v38, 3, v16
	v_cmp_gt_u32_e32 vcc, 8, v16
	v_lshlrev_b64 v[15:16], v15, v[2:3]
	v_sub_u32_e32 v2, 29, v48
	v_and_b32_e32 v15, 7, v15
	v_cndmask_b32_e32 v2, v38, v2, vcc
	v_cndmask_b32_e32 v15, v37, v15, vcc
	v_lshlrev_b32_e32 v16, 24, v58
	v_bfrev_b32_e32 v17, 60
	v_lshlrev_b32_e32 v15, 20, v15
	v_and_b32_e32 v16, 0x80000000, v16
	v_lshl_add_u32 v2, v2, 23, v17
	v_or3_b32 v15, v16, v2, v15
.LBB6_9152:                             ;   in Loop: Header=BB6_8935 Depth=2
	s_or_b64 exec, exec, s[94:95]
.LBB6_9153:                             ;   in Loop: Header=BB6_8935 Depth=2
	s_or_b64 exec, exec, s[92:93]
.LBB6_9154:                             ;   in Loop: Header=BB6_8935 Depth=2
	s_or_b64 exec, exec, s[20:21]
	v_max_f32_e32 v2, v15, v15
	v_max_f32_e32 v14, v14, v14
	v_min_f32_e32 v14, v14, v2
.LBB6_9155:                             ;   in Loop: Header=BB6_8935 Depth=2
	v_and_b32_e32 v2, 0x7f800000, v14
	v_cmp_ne_u64_e32 vcc, s[62:63], v[2:3]
                                        ; implicit-def: $vgpr51
	s_mov_b64 s[20:21], exec
	s_and_b64 s[94:95], s[20:21], vcc
	s_xor_b64 s[92:93], s[94:95], s[20:21]
	v_mov_b32_e32 v59, 0xffffff82
	s_mov_b64 exec, s[94:95]
	s_cbranch_execz .LBB6_9173
; %bb.9156:                             ;   in Loop: Header=BB6_8935 Depth=2
	v_and_b32_e32 v2, 0x7fffffff, v14
	v_cmp_gt_u64_e32 vcc, s[72:73], v[2:3]
	v_and_b32_sdwa v37, v14, s49 dst_sel:DWORD dst_unused:UNUSED_PAD src0_sel:BYTE_3 src1_sel:DWORD
                                        ; implicit-def: $vgpr51
	s_and_saveexec_b64 s[20:21], vcc
	s_xor_b64 s[94:95], exec, s[20:21]
	s_cbranch_execz .LBB6_9170
; %bb.9157:                             ;   in Loop: Header=BB6_8935 Depth=2
	v_cmp_ne_u32_e32 vcc, 0, v14
	v_mov_b32_e32 v51, 0
	s_and_saveexec_b64 s[30:31], vcc
	s_cbranch_execz .LBB6_9169
; %bb.9158:                             ;   in Loop: Header=BB6_8935 Depth=2
	v_bfe_u32 v38, v14, 23, 8
	v_and_b32_e32 v2, 0x7fffff, v14
	v_cmp_gt_u32_e64 s[20:21], s53, v38
	v_sub_u32_e32 v14, 0x79, v38
	v_cmp_eq_u32_e32 vcc, 0, v38
	v_cndmask_b32_e64 v14, 0, v14, s[20:21]
	v_mov_b32_e32 v16, 0x78
	v_cndmask_b32_e32 v48, v14, v16, vcc
	v_or_b32_e32 v15, 0x800000, v2
	v_add_u32_e32 v14, 20, v48
	v_cndmask_b32_e32 v2, v15, v2, vcc
	v_lshlrev_b64 v[14:15], v14, -1
	v_add_u32_e32 v16, 19, v48
	v_lshlrev_b64 v[51:52], v16, 1
	v_bfi_b32 v15, v15, 0, 0
	v_bfi_b32 v14, v14, 0, v2
	v_cmp_eq_u64_e64 s[20:21], v[14:15], v[51:52]
	v_lshrrev_b64 v[14:15], v48, v[2:3]
	v_mov_b32_e32 v16, v15
	v_mov_b32_e32 v15, v14
	s_and_saveexec_b64 s[34:35], s[20:21]
; %bb.9159:                             ;   in Loop: Header=BB6_8935 Depth=2
	v_bfe_u32 v2, v14, 20, 1
	v_add_co_u32_e64 v2, s[20:21], v14, v2
	v_add_co_u32_e64 v15, s[20:21], -1, v2
; %bb.9160:                             ;   in Loop: Header=BB6_8935 Depth=2
	s_or_b64 exec, exec, s[34:35]
	v_add_u32_e32 v2, 0xffffff81, v38
	v_cndmask_b32_e32 v2, v2, v59, vcc
	v_lshrrev_b32_e32 v16, 23, v14
	v_add3_u32 v48, v48, v2, v16
	v_add_u32_e32 v38, 6, v48
	v_and_b32_e32 v2, 0xfffff, v15
	v_add_u32_e32 v2, v2, v14
	v_cmp_ne_u32_e32 vcc, 0, v38
                                        ; implicit-def: $vgpr14_vgpr15
                                        ; implicit-def: $vgpr16
	s_and_saveexec_b64 s[20:21], vcc
	s_xor_b64 s[20:21], exec, s[20:21]
; %bb.9161:                             ;   in Loop: Header=BB6_8935 Depth=2
	v_cmp_lt_u64_e32 vcc, s[74:75], v[2:3]
	v_add_u32_e32 v14, 7, v48
	v_cndmask_b32_e32 v16, v38, v14, vcc
	v_cndmask_b32_e64 v14, 0, 1, vcc
	v_lshrrev_b64 v[14:15], v14, v[2:3]
; %bb.9162:                             ;   in Loop: Header=BB6_8935 Depth=2
	s_andn2_saveexec_b64 s[20:21], s[20:21]
; %bb.9163:                             ;   in Loop: Header=BB6_8935 Depth=2
	v_mov_b32_e32 v15, v3
	v_bfe_u32 v16, v2, 23, 1
	v_mov_b32_e32 v14, v2
; %bb.9164:                             ;   in Loop: Header=BB6_8935 Depth=2
	s_or_b64 exec, exec, s[20:21]
	v_lshrrev_b64 v[14:15], 20, v[14:15]
	v_cmp_gt_i32_e32 vcc, 16, v16
	v_cndmask_b32_e32 v15, 0, v15, vcc
	v_cndmask_b32_e32 v14, 7, v14, vcc
	v_cmp_ne_u64_e32 vcc, 0, v[14:15]
	v_cmp_ne_u32_e64 s[20:21], 0, v16
	s_or_b64 s[20:21], s[20:21], vcc
                                        ; implicit-def: $vgpr51
	s_and_saveexec_b64 vcc, s[20:21]
	s_xor_b64 s[20:21], exec, vcc
; %bb.9165:                             ;   in Loop: Header=BB6_8935 Depth=2
	v_min_i32_e32 v2, 15, v16
	v_lshl_or_b32 v2, v2, 3, v37
	v_and_or_b32 v51, v14, 7, v2
                                        ; implicit-def: $vgpr37
; %bb.9166:                             ;   in Loop: Header=BB6_8935 Depth=2
	s_andn2_saveexec_b64 s[20:21], s[20:21]
; %bb.9167:                             ;   in Loop: Header=BB6_8935 Depth=2
	v_mov_b32_e32 v51, v37
; %bb.9168:                             ;   in Loop: Header=BB6_8935 Depth=2
	s_or_b64 exec, exec, s[20:21]
.LBB6_9169:                             ;   in Loop: Header=BB6_8935 Depth=2
	s_or_b64 exec, exec, s[30:31]
                                        ; implicit-def: $vgpr37
.LBB6_9170:                             ;   in Loop: Header=BB6_8935 Depth=2
	s_andn2_saveexec_b64 s[20:21], s[94:95]
; %bb.9171:                             ;   in Loop: Header=BB6_8935 Depth=2
	v_or_b32_e32 v51, 0x7e, v37
; %bb.9172:                             ;   in Loop: Header=BB6_8935 Depth=2
	s_or_b64 exec, exec, s[20:21]
                                        ; implicit-def: $vgpr14
.LBB6_9173:                             ;   in Loop: Header=BB6_8935 Depth=2
	s_andn2_saveexec_b64 s[20:21], s[92:93]
; %bb.9174:                             ;   in Loop: Header=BB6_8935 Depth=2
	v_or_b32_sdwa v51, v14, s51 dst_sel:DWORD dst_unused:UNUSED_PAD src0_sel:BYTE_3 src1_sel:DWORD
; %bb.9175:                             ;   in Loop: Header=BB6_8935 Depth=2
	s_or_b64 exec, exec, s[20:21]
	v_and_b32_e32 v2, 0xff, v35
	v_cmp_ne_u16_e64 s[20:21], 0, v2
	s_and_b64 vcc, exec, s[18:19]
	s_mov_b64 s[92:93], -1
                                        ; implicit-def: $vgpr14
	s_cbranch_vccnz .LBB6_9189
; %bb.9176:                             ;   in Loop: Header=BB6_8935 Depth=2
	v_mov_b32_e32 v16, 0
	v_mov_b32_e32 v15, 0
	s_and_saveexec_b64 s[92:93], s[20:21]
	s_cbranch_execz .LBB6_9182
; %bb.9177:                             ;   in Loop: Header=BB6_8935 Depth=2
	v_cmp_ne_u16_e32 vcc, s49, v2
	v_bfrev_b32_e32 v15, 1
	s_and_saveexec_b64 s[94:95], vcc
	s_cbranch_execz .LBB6_9181
; %bb.9178:                             ;   in Loop: Header=BB6_8935 Depth=2
	v_and_b32_e32 v14, 0x7f, v35
	v_cmp_ne_u32_e32 vcc, s51, v14
	v_mov_b32_e32 v15, 0x7f800001
	s_and_saveexec_b64 s[30:31], vcc
	s_cbranch_execz .LBB6_9180
; %bb.9179:                             ;   in Loop: Header=BB6_8935 Depth=2
	v_and_b32_e32 v37, 7, v2
	v_lshrrev_b32_e32 v38, 3, v14
	v_cmp_gt_u32_e32 vcc, 8, v14
	v_ffbh_u32_e32 v14, v37
	v_min_u32_e32 v48, 32, v14
	v_subrev_u32_e32 v14, 28, v48
	v_lshlrev_b64 v[14:15], v14, v[2:3]
	v_sub_u32_e32 v15, 29, v48
	v_and_b32_e32 v14, 7, v14
	v_cndmask_b32_e32 v15, v38, v15, vcc
	v_cndmask_b32_e32 v14, v37, v14, vcc
	v_lshlrev_b32_e32 v37, 24, v35
	v_bfrev_b32_e32 v17, 60
	v_lshlrev_b32_e32 v14, 20, v14
	v_and_b32_e32 v37, 0x80000000, v37
	v_lshl_add_u32 v15, v15, 23, v17
	v_or3_b32 v15, v37, v15, v14
.LBB6_9180:                             ;   in Loop: Header=BB6_8935 Depth=2
	s_or_b64 exec, exec, s[30:31]
.LBB6_9181:                             ;   in Loop: Header=BB6_8935 Depth=2
	s_or_b64 exec, exec, s[94:95]
.LBB6_9182:                             ;   in Loop: Header=BB6_8935 Depth=2
	s_or_b64 exec, exec, s[92:93]
	v_and_b32_e32 v14, 0xff, v34
	v_cmp_ne_u16_e32 vcc, 0, v14
	s_and_saveexec_b64 s[92:93], vcc
	s_cbranch_execz .LBB6_9188
; %bb.9183:                             ;   in Loop: Header=BB6_8935 Depth=2
	v_cmp_ne_u16_e32 vcc, s49, v14
	v_bfrev_b32_e32 v16, 1
	s_and_saveexec_b64 s[94:95], vcc
	s_cbranch_execz .LBB6_9187
; %bb.9184:                             ;   in Loop: Header=BB6_8935 Depth=2
	v_and_b32_e32 v37, 0x7f, v34
	v_cmp_ne_u32_e32 vcc, s51, v37
	v_mov_b32_e32 v16, 0x7f800001
	s_and_saveexec_b64 s[30:31], vcc
	s_cbranch_execz .LBB6_9186
; %bb.9185:                             ;   in Loop: Header=BB6_8935 Depth=2
	v_and_b32_e32 v16, 7, v14
	v_lshrrev_b32_e32 v48, 3, v37
	v_cmp_gt_u32_e32 vcc, 8, v37
	v_ffbh_u32_e32 v37, v16
	v_min_u32_e32 v49, 32, v37
	v_subrev_u32_e32 v37, 28, v49
	v_lshlrev_b64 v[37:38], v37, v[14:15]
	v_sub_u32_e32 v14, 29, v49
	v_and_b32_e32 v37, 7, v37
	v_cndmask_b32_e32 v14, v48, v14, vcc
	v_cndmask_b32_e32 v16, v16, v37, vcc
	v_lshlrev_b32_e32 v37, 24, v34
	v_bfrev_b32_e32 v17, 60
	v_lshlrev_b32_e32 v16, 20, v16
	v_and_b32_e32 v37, 0x80000000, v37
	v_lshl_add_u32 v14, v14, 23, v17
	v_or3_b32 v16, v37, v14, v16
.LBB6_9186:                             ;   in Loop: Header=BB6_8935 Depth=2
	s_or_b64 exec, exec, s[30:31]
.LBB6_9187:                             ;   in Loop: Header=BB6_8935 Depth=2
	s_or_b64 exec, exec, s[94:95]
.LBB6_9188:                             ;   in Loop: Header=BB6_8935 Depth=2
	s_or_b64 exec, exec, s[92:93]
	v_max_f32_e32 v14, v16, v16
	v_max_f32_e32 v15, v15, v15
	;; [unrolled: 1-line block ×3, first 2 shown]
	s_mov_b64 s[92:93], 0
.LBB6_9189:                             ;   in Loop: Header=BB6_8935 Depth=2
	s_and_b64 vcc, exec, s[92:93]
	s_cbranch_vccz .LBB6_9203
; %bb.9190:                             ;   in Loop: Header=BB6_8935 Depth=2
	v_mov_b32_e32 v15, 0
	v_mov_b32_e32 v14, 0
	s_and_saveexec_b64 s[92:93], s[20:21]
	s_cbranch_execz .LBB6_9196
; %bb.9191:                             ;   in Loop: Header=BB6_8935 Depth=2
	v_cmp_ne_u16_e32 vcc, s49, v2
	v_bfrev_b32_e32 v14, 1
	s_and_saveexec_b64 s[20:21], vcc
	s_cbranch_execz .LBB6_9195
; %bb.9192:                             ;   in Loop: Header=BB6_8935 Depth=2
	v_and_b32_e32 v16, 0x7f, v35
	v_cmp_ne_u32_e32 vcc, s51, v16
	v_mov_b32_e32 v14, 0x7f800001
	s_and_saveexec_b64 s[94:95], vcc
	s_cbranch_execz .LBB6_9194
; %bb.9193:                             ;   in Loop: Header=BB6_8935 Depth=2
	v_and_b32_e32 v14, 7, v2
	v_lshrrev_b32_e32 v48, 3, v16
	v_cmp_gt_u32_e32 vcc, 8, v16
	v_ffbh_u32_e32 v16, v14
	v_min_u32_e32 v16, 32, v16
	v_subrev_u32_e32 v37, 28, v16
	v_lshlrev_b64 v[37:38], v37, v[2:3]
	v_sub_u32_e32 v2, 29, v16
	v_and_b32_e32 v16, 7, v37
	v_cndmask_b32_e32 v2, v48, v2, vcc
	v_cndmask_b32_e32 v14, v14, v16, vcc
	v_lshlrev_b32_e32 v16, 24, v35
	v_bfrev_b32_e32 v17, 60
	v_lshlrev_b32_e32 v14, 20, v14
	v_and_b32_e32 v16, 0x80000000, v16
	v_lshl_add_u32 v2, v2, 23, v17
	v_or3_b32 v14, v16, v2, v14
.LBB6_9194:                             ;   in Loop: Header=BB6_8935 Depth=2
	s_or_b64 exec, exec, s[94:95]
.LBB6_9195:                             ;   in Loop: Header=BB6_8935 Depth=2
	s_or_b64 exec, exec, s[20:21]
.LBB6_9196:                             ;   in Loop: Header=BB6_8935 Depth=2
	s_or_b64 exec, exec, s[92:93]
	v_and_b32_e32 v2, 0xff, v34
	v_cmp_ne_u16_e32 vcc, 0, v2
	s_and_saveexec_b64 s[20:21], vcc
	s_cbranch_execz .LBB6_9202
; %bb.9197:                             ;   in Loop: Header=BB6_8935 Depth=2
	v_cmp_ne_u16_e32 vcc, s49, v2
	v_bfrev_b32_e32 v15, 1
	s_and_saveexec_b64 s[92:93], vcc
	s_cbranch_execz .LBB6_9201
; %bb.9198:                             ;   in Loop: Header=BB6_8935 Depth=2
	v_and_b32_e32 v16, 0x7f, v34
	v_cmp_ne_u32_e32 vcc, s51, v16
	v_mov_b32_e32 v15, 0x7f800001
	s_and_saveexec_b64 s[94:95], vcc
	s_cbranch_execz .LBB6_9200
; %bb.9199:                             ;   in Loop: Header=BB6_8935 Depth=2
	v_and_b32_e32 v35, 7, v2
	v_ffbh_u32_e32 v15, v35
	v_min_u32_e32 v38, 32, v15
	v_subrev_u32_e32 v15, 28, v38
	v_lshrrev_b32_e32 v37, 3, v16
	v_cmp_gt_u32_e32 vcc, 8, v16
	v_lshlrev_b64 v[15:16], v15, v[2:3]
	v_sub_u32_e32 v2, 29, v38
	v_and_b32_e32 v15, 7, v15
	v_cndmask_b32_e32 v2, v37, v2, vcc
	v_cndmask_b32_e32 v15, v35, v15, vcc
	v_lshlrev_b32_e32 v16, 24, v34
	v_bfrev_b32_e32 v17, 60
	v_lshlrev_b32_e32 v15, 20, v15
	v_and_b32_e32 v16, 0x80000000, v16
	v_lshl_add_u32 v2, v2, 23, v17
	v_or3_b32 v15, v16, v2, v15
.LBB6_9200:                             ;   in Loop: Header=BB6_8935 Depth=2
	s_or_b64 exec, exec, s[94:95]
.LBB6_9201:                             ;   in Loop: Header=BB6_8935 Depth=2
	s_or_b64 exec, exec, s[92:93]
.LBB6_9202:                             ;   in Loop: Header=BB6_8935 Depth=2
	s_or_b64 exec, exec, s[20:21]
	v_max_f32_e32 v2, v15, v15
	v_max_f32_e32 v14, v14, v14
	v_min_f32_e32 v14, v14, v2
.LBB6_9203:                             ;   in Loop: Header=BB6_8935 Depth=2
	v_and_b32_e32 v2, 0x7f800000, v14
	v_cmp_ne_u64_e32 vcc, s[62:63], v[2:3]
                                        ; implicit-def: $vgpr48
	s_and_saveexec_b64 s[20:21], vcc
	s_xor_b64 s[92:93], exec, s[20:21]
	s_cbranch_execz .LBB6_9221
; %bb.9204:                             ;   in Loop: Header=BB6_8935 Depth=2
	v_and_b32_e32 v2, 0x7fffffff, v14
	v_cmp_gt_u64_e32 vcc, s[72:73], v[2:3]
	v_and_b32_sdwa v34, v14, s49 dst_sel:DWORD dst_unused:UNUSED_PAD src0_sel:BYTE_3 src1_sel:DWORD
                                        ; implicit-def: $vgpr48
	s_and_saveexec_b64 s[20:21], vcc
	s_xor_b64 s[94:95], exec, s[20:21]
	s_cbranch_execz .LBB6_9218
; %bb.9205:                             ;   in Loop: Header=BB6_8935 Depth=2
	v_cmp_ne_u32_e32 vcc, 0, v14
	v_mov_b32_e32 v48, 0
	s_and_saveexec_b64 s[30:31], vcc
	s_cbranch_execz .LBB6_9217
; %bb.9206:                             ;   in Loop: Header=BB6_8935 Depth=2
	v_bfe_u32 v35, v14, 23, 8
	v_and_b32_e32 v2, 0x7fffff, v14
	v_cmp_gt_u32_e64 s[20:21], s53, v35
	v_sub_u32_e32 v14, 0x79, v35
	v_cmp_eq_u32_e32 vcc, 0, v35
	v_cndmask_b32_e64 v14, 0, v14, s[20:21]
	v_mov_b32_e32 v16, 0x78
	v_cndmask_b32_e32 v37, v14, v16, vcc
	v_or_b32_e32 v15, 0x800000, v2
	v_add_u32_e32 v14, 20, v37
	v_cndmask_b32_e32 v2, v15, v2, vcc
	v_lshlrev_b64 v[14:15], v14, -1
	v_add_u32_e32 v16, 19, v37
	v_lshlrev_b64 v[48:49], v16, 1
	v_bfi_b32 v15, v15, 0, 0
	v_bfi_b32 v14, v14, 0, v2
	v_cmp_eq_u64_e64 s[20:21], v[14:15], v[48:49]
	v_lshrrev_b64 v[14:15], v37, v[2:3]
	v_mov_b32_e32 v16, v15
	v_mov_b32_e32 v15, v14
	s_and_saveexec_b64 s[34:35], s[20:21]
; %bb.9207:                             ;   in Loop: Header=BB6_8935 Depth=2
	v_bfe_u32 v2, v14, 20, 1
	v_add_co_u32_e64 v2, s[20:21], v14, v2
	v_add_co_u32_e64 v15, s[20:21], -1, v2
; %bb.9208:                             ;   in Loop: Header=BB6_8935 Depth=2
	s_or_b64 exec, exec, s[34:35]
	v_add_u32_e32 v2, 0xffffff81, v35
	v_cndmask_b32_e32 v2, v2, v59, vcc
	v_lshrrev_b32_e32 v16, 23, v14
	v_add3_u32 v37, v37, v2, v16
	v_add_u32_e32 v35, 6, v37
	v_and_b32_e32 v2, 0xfffff, v15
	v_add_u32_e32 v2, v2, v14
	v_cmp_ne_u32_e32 vcc, 0, v35
                                        ; implicit-def: $vgpr14_vgpr15
                                        ; implicit-def: $vgpr16
	s_and_saveexec_b64 s[20:21], vcc
	s_xor_b64 s[20:21], exec, s[20:21]
; %bb.9209:                             ;   in Loop: Header=BB6_8935 Depth=2
	v_cmp_lt_u64_e32 vcc, s[74:75], v[2:3]
	v_add_u32_e32 v14, 7, v37
	v_cndmask_b32_e32 v16, v35, v14, vcc
	v_cndmask_b32_e64 v14, 0, 1, vcc
	v_lshrrev_b64 v[14:15], v14, v[2:3]
; %bb.9210:                             ;   in Loop: Header=BB6_8935 Depth=2
	s_andn2_saveexec_b64 s[20:21], s[20:21]
; %bb.9211:                             ;   in Loop: Header=BB6_8935 Depth=2
	v_mov_b32_e32 v15, v3
	v_bfe_u32 v16, v2, 23, 1
	v_mov_b32_e32 v14, v2
; %bb.9212:                             ;   in Loop: Header=BB6_8935 Depth=2
	s_or_b64 exec, exec, s[20:21]
	v_lshrrev_b64 v[14:15], 20, v[14:15]
	v_cmp_gt_i32_e32 vcc, 16, v16
	v_cndmask_b32_e32 v15, 0, v15, vcc
	v_cndmask_b32_e32 v14, 7, v14, vcc
	v_cmp_ne_u64_e32 vcc, 0, v[14:15]
	v_cmp_ne_u32_e64 s[20:21], 0, v16
	s_or_b64 s[20:21], s[20:21], vcc
                                        ; implicit-def: $vgpr48
	s_and_saveexec_b64 vcc, s[20:21]
	s_xor_b64 s[20:21], exec, vcc
; %bb.9213:                             ;   in Loop: Header=BB6_8935 Depth=2
	v_min_i32_e32 v2, 15, v16
	v_lshl_or_b32 v2, v2, 3, v34
	v_and_or_b32 v48, v14, 7, v2
                                        ; implicit-def: $vgpr34
; %bb.9214:                             ;   in Loop: Header=BB6_8935 Depth=2
	s_andn2_saveexec_b64 s[20:21], s[20:21]
; %bb.9215:                             ;   in Loop: Header=BB6_8935 Depth=2
	v_mov_b32_e32 v48, v34
; %bb.9216:                             ;   in Loop: Header=BB6_8935 Depth=2
	s_or_b64 exec, exec, s[20:21]
.LBB6_9217:                             ;   in Loop: Header=BB6_8935 Depth=2
	s_or_b64 exec, exec, s[30:31]
                                        ; implicit-def: $vgpr34
.LBB6_9218:                             ;   in Loop: Header=BB6_8935 Depth=2
	s_andn2_saveexec_b64 s[20:21], s[94:95]
; %bb.9219:                             ;   in Loop: Header=BB6_8935 Depth=2
	v_or_b32_e32 v48, 0x7e, v34
; %bb.9220:                             ;   in Loop: Header=BB6_8935 Depth=2
	s_or_b64 exec, exec, s[20:21]
                                        ; implicit-def: $vgpr14
.LBB6_9221:                             ;   in Loop: Header=BB6_8935 Depth=2
	s_andn2_saveexec_b64 s[20:21], s[92:93]
; %bb.9222:                             ;   in Loop: Header=BB6_8935 Depth=2
	v_or_b32_sdwa v48, v14, s51 dst_sel:DWORD dst_unused:UNUSED_PAD src0_sel:BYTE_3 src1_sel:DWORD
; %bb.9223:                             ;   in Loop: Header=BB6_8935 Depth=2
	s_or_b64 exec, exec, s[20:21]
	v_and_b32_e32 v2, 0xff, v32
	v_cmp_ne_u16_e64 s[20:21], 0, v2
	s_and_b64 vcc, exec, s[18:19]
	s_mov_b64 s[92:93], -1
                                        ; implicit-def: $vgpr14
	s_cbranch_vccnz .LBB6_9237
; %bb.9224:                             ;   in Loop: Header=BB6_8935 Depth=2
	v_mov_b32_e32 v16, 0
	v_mov_b32_e32 v15, 0
	s_and_saveexec_b64 s[92:93], s[20:21]
	s_cbranch_execz .LBB6_9230
; %bb.9225:                             ;   in Loop: Header=BB6_8935 Depth=2
	v_cmp_ne_u16_e32 vcc, s49, v2
	v_bfrev_b32_e32 v15, 1
	s_and_saveexec_b64 s[94:95], vcc
	s_cbranch_execz .LBB6_9229
; %bb.9226:                             ;   in Loop: Header=BB6_8935 Depth=2
	v_and_b32_e32 v14, 0x7f, v32
	v_cmp_ne_u32_e32 vcc, s51, v14
	v_mov_b32_e32 v15, 0x7f800001
	s_and_saveexec_b64 s[30:31], vcc
	s_cbranch_execz .LBB6_9228
; %bb.9227:                             ;   in Loop: Header=BB6_8935 Depth=2
	v_and_b32_e32 v34, 7, v2
	v_lshrrev_b32_e32 v35, 3, v14
	v_cmp_gt_u32_e32 vcc, 8, v14
	v_ffbh_u32_e32 v14, v34
	v_min_u32_e32 v37, 32, v14
	v_subrev_u32_e32 v14, 28, v37
	v_lshlrev_b64 v[14:15], v14, v[2:3]
	v_sub_u32_e32 v15, 29, v37
	v_and_b32_e32 v14, 7, v14
	v_cndmask_b32_e32 v15, v35, v15, vcc
	v_cndmask_b32_e32 v14, v34, v14, vcc
	v_lshlrev_b32_e32 v34, 24, v32
	v_bfrev_b32_e32 v17, 60
	v_lshlrev_b32_e32 v14, 20, v14
	v_and_b32_e32 v34, 0x80000000, v34
	v_lshl_add_u32 v15, v15, 23, v17
	v_or3_b32 v15, v34, v15, v14
.LBB6_9228:                             ;   in Loop: Header=BB6_8935 Depth=2
	s_or_b64 exec, exec, s[30:31]
.LBB6_9229:                             ;   in Loop: Header=BB6_8935 Depth=2
	s_or_b64 exec, exec, s[94:95]
.LBB6_9230:                             ;   in Loop: Header=BB6_8935 Depth=2
	s_or_b64 exec, exec, s[92:93]
	v_and_b32_e32 v14, 0xff, v50
	v_cmp_ne_u16_e32 vcc, 0, v14
	s_and_saveexec_b64 s[92:93], vcc
	s_cbranch_execz .LBB6_9236
; %bb.9231:                             ;   in Loop: Header=BB6_8935 Depth=2
	v_cmp_ne_u16_e32 vcc, s49, v14
	v_bfrev_b32_e32 v16, 1
	s_and_saveexec_b64 s[94:95], vcc
	s_cbranch_execz .LBB6_9235
; %bb.9232:                             ;   in Loop: Header=BB6_8935 Depth=2
	v_and_b32_e32 v34, 0x7f, v50
	v_cmp_ne_u32_e32 vcc, s51, v34
	v_mov_b32_e32 v16, 0x7f800001
	s_and_saveexec_b64 s[30:31], vcc
	s_cbranch_execz .LBB6_9234
; %bb.9233:                             ;   in Loop: Header=BB6_8935 Depth=2
	v_and_b32_e32 v16, 7, v14
	v_lshrrev_b32_e32 v37, 3, v34
	v_cmp_gt_u32_e32 vcc, 8, v34
	v_ffbh_u32_e32 v34, v16
	v_min_u32_e32 v38, 32, v34
	v_subrev_u32_e32 v34, 28, v38
	v_lshlrev_b64 v[34:35], v34, v[14:15]
	v_sub_u32_e32 v14, 29, v38
	v_and_b32_e32 v34, 7, v34
	v_cndmask_b32_e32 v14, v37, v14, vcc
	v_cndmask_b32_e32 v16, v16, v34, vcc
	v_lshlrev_b32_e32 v34, 24, v50
	v_bfrev_b32_e32 v17, 60
	v_lshlrev_b32_e32 v16, 20, v16
	v_and_b32_e32 v34, 0x80000000, v34
	v_lshl_add_u32 v14, v14, 23, v17
	v_or3_b32 v16, v34, v14, v16
.LBB6_9234:                             ;   in Loop: Header=BB6_8935 Depth=2
	s_or_b64 exec, exec, s[30:31]
.LBB6_9235:                             ;   in Loop: Header=BB6_8935 Depth=2
	s_or_b64 exec, exec, s[94:95]
.LBB6_9236:                             ;   in Loop: Header=BB6_8935 Depth=2
	s_or_b64 exec, exec, s[92:93]
	v_max_f32_e32 v14, v16, v16
	v_max_f32_e32 v15, v15, v15
	;; [unrolled: 1-line block ×3, first 2 shown]
	s_mov_b64 s[92:93], 0
.LBB6_9237:                             ;   in Loop: Header=BB6_8935 Depth=2
	s_and_b64 vcc, exec, s[92:93]
	s_cbranch_vccz .LBB6_9251
; %bb.9238:                             ;   in Loop: Header=BB6_8935 Depth=2
	v_mov_b32_e32 v15, 0
	v_mov_b32_e32 v14, 0
	s_and_saveexec_b64 s[92:93], s[20:21]
	s_cbranch_execz .LBB6_9244
; %bb.9239:                             ;   in Loop: Header=BB6_8935 Depth=2
	v_cmp_ne_u16_e32 vcc, s49, v2
	v_bfrev_b32_e32 v14, 1
	s_and_saveexec_b64 s[20:21], vcc
	s_cbranch_execz .LBB6_9243
; %bb.9240:                             ;   in Loop: Header=BB6_8935 Depth=2
	v_and_b32_e32 v16, 0x7f, v32
	v_cmp_ne_u32_e32 vcc, s51, v16
	v_mov_b32_e32 v14, 0x7f800001
	s_and_saveexec_b64 s[94:95], vcc
	s_cbranch_execz .LBB6_9242
; %bb.9241:                             ;   in Loop: Header=BB6_8935 Depth=2
	v_and_b32_e32 v14, 7, v2
	v_lshrrev_b32_e32 v37, 3, v16
	v_cmp_gt_u32_e32 vcc, 8, v16
	v_ffbh_u32_e32 v16, v14
	v_min_u32_e32 v16, 32, v16
	v_subrev_u32_e32 v34, 28, v16
	v_lshlrev_b64 v[34:35], v34, v[2:3]
	v_sub_u32_e32 v2, 29, v16
	v_and_b32_e32 v16, 7, v34
	v_cndmask_b32_e32 v2, v37, v2, vcc
	v_cndmask_b32_e32 v14, v14, v16, vcc
	v_lshlrev_b32_e32 v16, 24, v32
	v_bfrev_b32_e32 v17, 60
	v_lshlrev_b32_e32 v14, 20, v14
	v_and_b32_e32 v16, 0x80000000, v16
	v_lshl_add_u32 v2, v2, 23, v17
	v_or3_b32 v14, v16, v2, v14
.LBB6_9242:                             ;   in Loop: Header=BB6_8935 Depth=2
	s_or_b64 exec, exec, s[94:95]
.LBB6_9243:                             ;   in Loop: Header=BB6_8935 Depth=2
	s_or_b64 exec, exec, s[20:21]
.LBB6_9244:                             ;   in Loop: Header=BB6_8935 Depth=2
	s_or_b64 exec, exec, s[92:93]
	v_and_b32_e32 v2, 0xff, v50
	v_cmp_ne_u16_e32 vcc, 0, v2
	s_and_saveexec_b64 s[20:21], vcc
	s_cbranch_execz .LBB6_9250
; %bb.9245:                             ;   in Loop: Header=BB6_8935 Depth=2
	v_cmp_ne_u16_e32 vcc, s49, v2
	v_bfrev_b32_e32 v15, 1
	s_and_saveexec_b64 s[92:93], vcc
	s_cbranch_execz .LBB6_9249
; %bb.9246:                             ;   in Loop: Header=BB6_8935 Depth=2
	v_and_b32_e32 v16, 0x7f, v50
	v_cmp_ne_u32_e32 vcc, s51, v16
	v_mov_b32_e32 v15, 0x7f800001
	s_and_saveexec_b64 s[94:95], vcc
	s_cbranch_execz .LBB6_9248
; %bb.9247:                             ;   in Loop: Header=BB6_8935 Depth=2
	v_and_b32_e32 v32, 7, v2
	v_ffbh_u32_e32 v15, v32
	v_min_u32_e32 v35, 32, v15
	v_subrev_u32_e32 v15, 28, v35
	v_lshrrev_b32_e32 v34, 3, v16
	v_cmp_gt_u32_e32 vcc, 8, v16
	v_lshlrev_b64 v[15:16], v15, v[2:3]
	v_sub_u32_e32 v2, 29, v35
	v_and_b32_e32 v15, 7, v15
	v_cndmask_b32_e32 v2, v34, v2, vcc
	v_cndmask_b32_e32 v15, v32, v15, vcc
	v_lshlrev_b32_e32 v16, 24, v50
	v_bfrev_b32_e32 v17, 60
	v_lshlrev_b32_e32 v15, 20, v15
	v_and_b32_e32 v16, 0x80000000, v16
	v_lshl_add_u32 v2, v2, 23, v17
	v_or3_b32 v15, v16, v2, v15
.LBB6_9248:                             ;   in Loop: Header=BB6_8935 Depth=2
	s_or_b64 exec, exec, s[94:95]
.LBB6_9249:                             ;   in Loop: Header=BB6_8935 Depth=2
	s_or_b64 exec, exec, s[92:93]
.LBB6_9250:                             ;   in Loop: Header=BB6_8935 Depth=2
	s_or_b64 exec, exec, s[20:21]
	v_max_f32_e32 v2, v15, v15
	v_max_f32_e32 v14, v14, v14
	v_min_f32_e32 v14, v14, v2
.LBB6_9251:                             ;   in Loop: Header=BB6_8935 Depth=2
	v_and_b32_e32 v2, 0x7f800000, v14
	v_cmp_ne_u64_e32 vcc, s[62:63], v[2:3]
                                        ; implicit-def: $vgpr50
	s_and_saveexec_b64 s[20:21], vcc
	s_xor_b64 s[92:93], exec, s[20:21]
	s_cbranch_execz .LBB6_9269
; %bb.9252:                             ;   in Loop: Header=BB6_8935 Depth=2
	v_and_b32_e32 v2, 0x7fffffff, v14
	v_cmp_gt_u64_e32 vcc, s[72:73], v[2:3]
	v_and_b32_sdwa v32, v14, s49 dst_sel:DWORD dst_unused:UNUSED_PAD src0_sel:BYTE_3 src1_sel:DWORD
                                        ; implicit-def: $vgpr50
	s_and_saveexec_b64 s[20:21], vcc
	s_xor_b64 s[94:95], exec, s[20:21]
	s_cbranch_execz .LBB6_9266
; %bb.9253:                             ;   in Loop: Header=BB6_8935 Depth=2
	v_cmp_ne_u32_e32 vcc, 0, v14
	v_mov_b32_e32 v50, 0
	s_and_saveexec_b64 s[30:31], vcc
	s_cbranch_execz .LBB6_9265
; %bb.9254:                             ;   in Loop: Header=BB6_8935 Depth=2
	v_bfe_u32 v34, v14, 23, 8
	v_and_b32_e32 v2, 0x7fffff, v14
	v_cmp_gt_u32_e64 s[20:21], s53, v34
	v_sub_u32_e32 v14, 0x79, v34
	v_cmp_eq_u32_e32 vcc, 0, v34
	v_cndmask_b32_e64 v14, 0, v14, s[20:21]
	v_mov_b32_e32 v16, 0x78
	v_cndmask_b32_e32 v35, v14, v16, vcc
	v_or_b32_e32 v15, 0x800000, v2
	v_add_u32_e32 v14, 20, v35
	v_cndmask_b32_e32 v2, v15, v2, vcc
	v_lshlrev_b64 v[14:15], v14, -1
	v_add_u32_e32 v16, 19, v35
	v_lshlrev_b64 v[37:38], v16, 1
	v_bfi_b32 v15, v15, 0, 0
	v_bfi_b32 v14, v14, 0, v2
	v_cmp_eq_u64_e64 s[20:21], v[14:15], v[37:38]
	v_lshrrev_b64 v[14:15], v35, v[2:3]
	v_mov_b32_e32 v16, v15
	v_mov_b32_e32 v15, v14
	s_and_saveexec_b64 s[34:35], s[20:21]
; %bb.9255:                             ;   in Loop: Header=BB6_8935 Depth=2
	v_bfe_u32 v2, v14, 20, 1
	v_add_co_u32_e64 v2, s[20:21], v14, v2
	v_add_co_u32_e64 v15, s[20:21], -1, v2
; %bb.9256:                             ;   in Loop: Header=BB6_8935 Depth=2
	s_or_b64 exec, exec, s[34:35]
	v_add_u32_e32 v2, 0xffffff81, v34
	v_cndmask_b32_e32 v2, v2, v59, vcc
	v_lshrrev_b32_e32 v16, 23, v14
	v_add3_u32 v35, v35, v2, v16
	v_add_u32_e32 v34, 6, v35
	v_and_b32_e32 v2, 0xfffff, v15
	v_add_u32_e32 v2, v2, v14
	v_cmp_ne_u32_e32 vcc, 0, v34
                                        ; implicit-def: $vgpr14_vgpr15
                                        ; implicit-def: $vgpr16
	s_and_saveexec_b64 s[20:21], vcc
	s_xor_b64 s[20:21], exec, s[20:21]
; %bb.9257:                             ;   in Loop: Header=BB6_8935 Depth=2
	v_cmp_lt_u64_e32 vcc, s[74:75], v[2:3]
	v_add_u32_e32 v14, 7, v35
	v_cndmask_b32_e32 v16, v34, v14, vcc
	v_cndmask_b32_e64 v14, 0, 1, vcc
	v_lshrrev_b64 v[14:15], v14, v[2:3]
; %bb.9258:                             ;   in Loop: Header=BB6_8935 Depth=2
	s_andn2_saveexec_b64 s[20:21], s[20:21]
; %bb.9259:                             ;   in Loop: Header=BB6_8935 Depth=2
	v_mov_b32_e32 v15, v3
	v_bfe_u32 v16, v2, 23, 1
	v_mov_b32_e32 v14, v2
; %bb.9260:                             ;   in Loop: Header=BB6_8935 Depth=2
	s_or_b64 exec, exec, s[20:21]
	v_lshrrev_b64 v[14:15], 20, v[14:15]
	v_cmp_gt_i32_e32 vcc, 16, v16
	v_cndmask_b32_e32 v15, 0, v15, vcc
	v_cndmask_b32_e32 v14, 7, v14, vcc
	v_cmp_ne_u64_e32 vcc, 0, v[14:15]
	v_cmp_ne_u32_e64 s[20:21], 0, v16
	s_or_b64 s[20:21], s[20:21], vcc
                                        ; implicit-def: $vgpr50
	s_and_saveexec_b64 vcc, s[20:21]
	s_xor_b64 s[20:21], exec, vcc
; %bb.9261:                             ;   in Loop: Header=BB6_8935 Depth=2
	v_min_i32_e32 v2, 15, v16
	v_lshl_or_b32 v2, v2, 3, v32
	v_and_or_b32 v50, v14, 7, v2
                                        ; implicit-def: $vgpr32
; %bb.9262:                             ;   in Loop: Header=BB6_8935 Depth=2
	s_andn2_saveexec_b64 s[20:21], s[20:21]
; %bb.9263:                             ;   in Loop: Header=BB6_8935 Depth=2
	v_mov_b32_e32 v50, v32
; %bb.9264:                             ;   in Loop: Header=BB6_8935 Depth=2
	s_or_b64 exec, exec, s[20:21]
.LBB6_9265:                             ;   in Loop: Header=BB6_8935 Depth=2
	s_or_b64 exec, exec, s[30:31]
                                        ; implicit-def: $vgpr32
.LBB6_9266:                             ;   in Loop: Header=BB6_8935 Depth=2
	s_andn2_saveexec_b64 s[20:21], s[94:95]
; %bb.9267:                             ;   in Loop: Header=BB6_8935 Depth=2
	v_or_b32_e32 v50, 0x7e, v32
; %bb.9268:                             ;   in Loop: Header=BB6_8935 Depth=2
	s_or_b64 exec, exec, s[20:21]
                                        ; implicit-def: $vgpr14
.LBB6_9269:                             ;   in Loop: Header=BB6_8935 Depth=2
	s_andn2_saveexec_b64 s[20:21], s[92:93]
; %bb.9270:                             ;   in Loop: Header=BB6_8935 Depth=2
	v_or_b32_sdwa v50, v14, s51 dst_sel:DWORD dst_unused:UNUSED_PAD src0_sel:BYTE_3 src1_sel:DWORD
; %bb.9271:                             ;   in Loop: Header=BB6_8935 Depth=2
	s_or_b64 exec, exec, s[20:21]
	v_and_b32_e32 v2, 0xff, v31
	v_cmp_ne_u16_e64 s[20:21], 0, v2
	s_and_b64 vcc, exec, s[18:19]
	s_mov_b64 s[92:93], -1
                                        ; implicit-def: $vgpr14
	s_cbranch_vccnz .LBB6_9285
; %bb.9272:                             ;   in Loop: Header=BB6_8935 Depth=2
	v_mov_b32_e32 v16, 0
	v_mov_b32_e32 v15, 0
	s_and_saveexec_b64 s[92:93], s[20:21]
	s_cbranch_execz .LBB6_9278
; %bb.9273:                             ;   in Loop: Header=BB6_8935 Depth=2
	v_cmp_ne_u16_e32 vcc, s49, v2
	v_bfrev_b32_e32 v15, 1
	s_and_saveexec_b64 s[94:95], vcc
	s_cbranch_execz .LBB6_9277
; %bb.9274:                             ;   in Loop: Header=BB6_8935 Depth=2
	v_and_b32_e32 v14, 0x7f, v31
	v_cmp_ne_u32_e32 vcc, s51, v14
	v_mov_b32_e32 v15, 0x7f800001
	s_and_saveexec_b64 s[30:31], vcc
	s_cbranch_execz .LBB6_9276
; %bb.9275:                             ;   in Loop: Header=BB6_8935 Depth=2
	v_and_b32_e32 v32, 7, v2
	v_lshrrev_b32_e32 v34, 3, v14
	v_cmp_gt_u32_e32 vcc, 8, v14
	v_ffbh_u32_e32 v14, v32
	v_min_u32_e32 v35, 32, v14
	v_subrev_u32_e32 v14, 28, v35
	v_lshlrev_b64 v[14:15], v14, v[2:3]
	v_sub_u32_e32 v15, 29, v35
	v_and_b32_e32 v14, 7, v14
	v_cndmask_b32_e32 v15, v34, v15, vcc
	v_cndmask_b32_e32 v14, v32, v14, vcc
	v_lshlrev_b32_e32 v32, 24, v31
	v_bfrev_b32_e32 v17, 60
	v_lshlrev_b32_e32 v14, 20, v14
	v_and_b32_e32 v32, 0x80000000, v32
	v_lshl_add_u32 v15, v15, 23, v17
	v_or3_b32 v15, v32, v15, v14
.LBB6_9276:                             ;   in Loop: Header=BB6_8935 Depth=2
	s_or_b64 exec, exec, s[30:31]
.LBB6_9277:                             ;   in Loop: Header=BB6_8935 Depth=2
	s_or_b64 exec, exec, s[94:95]
.LBB6_9278:                             ;   in Loop: Header=BB6_8935 Depth=2
	s_or_b64 exec, exec, s[92:93]
	v_and_b32_e32 v14, 0xff, v53
	v_cmp_ne_u16_e32 vcc, 0, v14
	s_and_saveexec_b64 s[92:93], vcc
	s_cbranch_execz .LBB6_9284
; %bb.9279:                             ;   in Loop: Header=BB6_8935 Depth=2
	v_cmp_ne_u16_e32 vcc, s49, v14
	v_bfrev_b32_e32 v16, 1
	s_and_saveexec_b64 s[94:95], vcc
	s_cbranch_execz .LBB6_9283
; %bb.9280:                             ;   in Loop: Header=BB6_8935 Depth=2
	v_and_b32_e32 v32, 0x7f, v53
	v_cmp_ne_u32_e32 vcc, s51, v32
	v_mov_b32_e32 v16, 0x7f800001
	s_and_saveexec_b64 s[30:31], vcc
	s_cbranch_execz .LBB6_9282
; %bb.9281:                             ;   in Loop: Header=BB6_8935 Depth=2
	v_and_b32_e32 v16, 7, v14
	v_lshrrev_b32_e32 v37, 3, v32
	v_cmp_gt_u32_e32 vcc, 8, v32
	v_ffbh_u32_e32 v32, v16
	v_min_u32_e32 v32, 32, v32
	v_subrev_u32_e32 v34, 28, v32
	v_lshlrev_b64 v[34:35], v34, v[14:15]
	v_sub_u32_e32 v14, 29, v32
	v_and_b32_e32 v32, 7, v34
	v_cndmask_b32_e32 v14, v37, v14, vcc
	v_cndmask_b32_e32 v16, v16, v32, vcc
	v_lshlrev_b32_e32 v32, 24, v53
	v_bfrev_b32_e32 v17, 60
	v_lshlrev_b32_e32 v16, 20, v16
	v_and_b32_e32 v32, 0x80000000, v32
	v_lshl_add_u32 v14, v14, 23, v17
	v_or3_b32 v16, v32, v14, v16
.LBB6_9282:                             ;   in Loop: Header=BB6_8935 Depth=2
	s_or_b64 exec, exec, s[30:31]
.LBB6_9283:                             ;   in Loop: Header=BB6_8935 Depth=2
	s_or_b64 exec, exec, s[94:95]
.LBB6_9284:                             ;   in Loop: Header=BB6_8935 Depth=2
	s_or_b64 exec, exec, s[92:93]
	v_max_f32_e32 v14, v16, v16
	v_max_f32_e32 v15, v15, v15
	;; [unrolled: 1-line block ×3, first 2 shown]
	s_mov_b64 s[92:93], 0
.LBB6_9285:                             ;   in Loop: Header=BB6_8935 Depth=2
	s_and_b64 vcc, exec, s[92:93]
	s_cbranch_vccz .LBB6_9299
; %bb.9286:                             ;   in Loop: Header=BB6_8935 Depth=2
	v_mov_b32_e32 v15, 0
	v_mov_b32_e32 v14, 0
	s_and_saveexec_b64 s[92:93], s[20:21]
	s_cbranch_execz .LBB6_9292
; %bb.9287:                             ;   in Loop: Header=BB6_8935 Depth=2
	v_cmp_ne_u16_e32 vcc, s49, v2
	v_bfrev_b32_e32 v14, 1
	s_and_saveexec_b64 s[20:21], vcc
	s_cbranch_execz .LBB6_9291
; %bb.9288:                             ;   in Loop: Header=BB6_8935 Depth=2
	v_and_b32_e32 v16, 0x7f, v31
	v_cmp_ne_u32_e32 vcc, s51, v16
	v_mov_b32_e32 v14, 0x7f800001
	s_and_saveexec_b64 s[94:95], vcc
	s_cbranch_execz .LBB6_9290
; %bb.9289:                             ;   in Loop: Header=BB6_8935 Depth=2
	v_and_b32_e32 v14, 7, v2
	v_lshrrev_b32_e32 v32, 3, v16
	v_cmp_gt_u32_e32 vcc, 8, v16
	v_ffbh_u32_e32 v16, v14
	v_min_u32_e32 v16, 32, v16
	v_subrev_u32_e32 v34, 28, v16
	v_lshlrev_b64 v[34:35], v34, v[2:3]
	v_sub_u32_e32 v2, 29, v16
	v_and_b32_e32 v16, 7, v34
	v_cndmask_b32_e32 v2, v32, v2, vcc
	v_cndmask_b32_e32 v14, v14, v16, vcc
	v_lshlrev_b32_e32 v16, 24, v31
	v_bfrev_b32_e32 v17, 60
	v_lshlrev_b32_e32 v14, 20, v14
	v_and_b32_e32 v16, 0x80000000, v16
	v_lshl_add_u32 v2, v2, 23, v17
	v_or3_b32 v14, v16, v2, v14
.LBB6_9290:                             ;   in Loop: Header=BB6_8935 Depth=2
	s_or_b64 exec, exec, s[94:95]
.LBB6_9291:                             ;   in Loop: Header=BB6_8935 Depth=2
	s_or_b64 exec, exec, s[20:21]
.LBB6_9292:                             ;   in Loop: Header=BB6_8935 Depth=2
	s_or_b64 exec, exec, s[92:93]
	v_and_b32_e32 v2, 0xff, v53
	v_cmp_ne_u16_e32 vcc, 0, v2
	s_and_saveexec_b64 s[20:21], vcc
	s_cbranch_execz .LBB6_9298
; %bb.9293:                             ;   in Loop: Header=BB6_8935 Depth=2
	v_cmp_ne_u16_e32 vcc, s49, v2
	v_bfrev_b32_e32 v15, 1
	s_and_saveexec_b64 s[92:93], vcc
	s_cbranch_execz .LBB6_9297
; %bb.9294:                             ;   in Loop: Header=BB6_8935 Depth=2
	v_and_b32_e32 v16, 0x7f, v53
	v_cmp_ne_u32_e32 vcc, s51, v16
	v_mov_b32_e32 v15, 0x7f800001
	s_and_saveexec_b64 s[94:95], vcc
	s_cbranch_execz .LBB6_9296
; %bb.9295:                             ;   in Loop: Header=BB6_8935 Depth=2
	v_and_b32_e32 v31, 7, v2
	v_ffbh_u32_e32 v15, v31
	v_min_u32_e32 v34, 32, v15
	v_subrev_u32_e32 v15, 28, v34
	v_lshrrev_b32_e32 v32, 3, v16
	v_cmp_gt_u32_e32 vcc, 8, v16
	v_lshlrev_b64 v[15:16], v15, v[2:3]
	v_sub_u32_e32 v2, 29, v34
	v_and_b32_e32 v15, 7, v15
	v_cndmask_b32_e32 v2, v32, v2, vcc
	v_cndmask_b32_e32 v15, v31, v15, vcc
	v_lshlrev_b32_e32 v16, 24, v53
	v_bfrev_b32_e32 v17, 60
	v_lshlrev_b32_e32 v15, 20, v15
	v_and_b32_e32 v16, 0x80000000, v16
	v_lshl_add_u32 v2, v2, 23, v17
	v_or3_b32 v15, v16, v2, v15
.LBB6_9296:                             ;   in Loop: Header=BB6_8935 Depth=2
	s_or_b64 exec, exec, s[94:95]
.LBB6_9297:                             ;   in Loop: Header=BB6_8935 Depth=2
	s_or_b64 exec, exec, s[92:93]
.LBB6_9298:                             ;   in Loop: Header=BB6_8935 Depth=2
	s_or_b64 exec, exec, s[20:21]
	v_max_f32_e32 v2, v15, v15
	v_max_f32_e32 v14, v14, v14
	v_min_f32_e32 v14, v14, v2
.LBB6_9299:                             ;   in Loop: Header=BB6_8935 Depth=2
	v_and_b32_e32 v2, 0x7f800000, v14
	v_cmp_ne_u64_e32 vcc, s[62:63], v[2:3]
                                        ; implicit-def: $vgpr53
	s_and_saveexec_b64 s[20:21], vcc
	s_xor_b64 s[92:93], exec, s[20:21]
	s_cbranch_execz .LBB6_9317
; %bb.9300:                             ;   in Loop: Header=BB6_8935 Depth=2
	v_and_b32_e32 v2, 0x7fffffff, v14
	v_cmp_gt_u64_e32 vcc, s[72:73], v[2:3]
	v_and_b32_sdwa v31, v14, s49 dst_sel:DWORD dst_unused:UNUSED_PAD src0_sel:BYTE_3 src1_sel:DWORD
                                        ; implicit-def: $vgpr53
	s_and_saveexec_b64 s[20:21], vcc
	s_xor_b64 s[94:95], exec, s[20:21]
	s_cbranch_execz .LBB6_9314
; %bb.9301:                             ;   in Loop: Header=BB6_8935 Depth=2
	v_cmp_ne_u32_e32 vcc, 0, v14
	v_mov_b32_e32 v53, 0
	s_and_saveexec_b64 s[30:31], vcc
	s_cbranch_execz .LBB6_9313
; %bb.9302:                             ;   in Loop: Header=BB6_8935 Depth=2
	v_bfe_u32 v32, v14, 23, 8
	v_and_b32_e32 v2, 0x7fffff, v14
	v_cmp_gt_u32_e64 s[20:21], s53, v32
	v_sub_u32_e32 v14, 0x79, v32
	v_cmp_eq_u32_e32 vcc, 0, v32
	v_cndmask_b32_e64 v14, 0, v14, s[20:21]
	v_mov_b32_e32 v16, 0x78
	v_cndmask_b32_e32 v34, v14, v16, vcc
	v_or_b32_e32 v15, 0x800000, v2
	v_add_u32_e32 v14, 20, v34
	v_cndmask_b32_e32 v2, v15, v2, vcc
	v_lshlrev_b64 v[14:15], v14, -1
	v_add_u32_e32 v16, 19, v34
	v_lshlrev_b64 v[37:38], v16, 1
	v_bfi_b32 v15, v15, 0, 0
	v_bfi_b32 v14, v14, 0, v2
	v_cmp_eq_u64_e64 s[20:21], v[14:15], v[37:38]
	v_lshrrev_b64 v[14:15], v34, v[2:3]
	v_mov_b32_e32 v16, v15
	v_mov_b32_e32 v15, v14
	s_and_saveexec_b64 s[34:35], s[20:21]
; %bb.9303:                             ;   in Loop: Header=BB6_8935 Depth=2
	v_bfe_u32 v2, v14, 20, 1
	v_add_co_u32_e64 v2, s[20:21], v14, v2
	v_add_co_u32_e64 v15, s[20:21], -1, v2
; %bb.9304:                             ;   in Loop: Header=BB6_8935 Depth=2
	s_or_b64 exec, exec, s[34:35]
	v_add_u32_e32 v2, 0xffffff81, v32
	v_cndmask_b32_e32 v2, v2, v59, vcc
	v_lshrrev_b32_e32 v16, 23, v14
	v_add3_u32 v34, v34, v2, v16
	v_add_u32_e32 v32, 6, v34
	v_and_b32_e32 v2, 0xfffff, v15
	v_add_u32_e32 v2, v2, v14
	v_cmp_ne_u32_e32 vcc, 0, v32
                                        ; implicit-def: $vgpr14_vgpr15
                                        ; implicit-def: $vgpr16
	s_and_saveexec_b64 s[20:21], vcc
	s_xor_b64 s[20:21], exec, s[20:21]
; %bb.9305:                             ;   in Loop: Header=BB6_8935 Depth=2
	v_cmp_lt_u64_e32 vcc, s[74:75], v[2:3]
	v_add_u32_e32 v14, 7, v34
	v_cndmask_b32_e32 v16, v32, v14, vcc
	v_cndmask_b32_e64 v14, 0, 1, vcc
	v_lshrrev_b64 v[14:15], v14, v[2:3]
; %bb.9306:                             ;   in Loop: Header=BB6_8935 Depth=2
	s_andn2_saveexec_b64 s[20:21], s[20:21]
; %bb.9307:                             ;   in Loop: Header=BB6_8935 Depth=2
	v_mov_b32_e32 v15, v3
	v_bfe_u32 v16, v2, 23, 1
	v_mov_b32_e32 v14, v2
; %bb.9308:                             ;   in Loop: Header=BB6_8935 Depth=2
	s_or_b64 exec, exec, s[20:21]
	v_lshrrev_b64 v[14:15], 20, v[14:15]
	v_cmp_gt_i32_e32 vcc, 16, v16
	v_cndmask_b32_e32 v15, 0, v15, vcc
	v_cndmask_b32_e32 v14, 7, v14, vcc
	v_cmp_ne_u64_e32 vcc, 0, v[14:15]
	v_cmp_ne_u32_e64 s[20:21], 0, v16
	s_or_b64 s[20:21], s[20:21], vcc
                                        ; implicit-def: $vgpr53
	s_and_saveexec_b64 vcc, s[20:21]
	s_xor_b64 s[20:21], exec, vcc
; %bb.9309:                             ;   in Loop: Header=BB6_8935 Depth=2
	v_min_i32_e32 v2, 15, v16
	v_lshl_or_b32 v2, v2, 3, v31
	v_and_or_b32 v53, v14, 7, v2
                                        ; implicit-def: $vgpr31
; %bb.9310:                             ;   in Loop: Header=BB6_8935 Depth=2
	s_andn2_saveexec_b64 s[20:21], s[20:21]
; %bb.9311:                             ;   in Loop: Header=BB6_8935 Depth=2
	v_mov_b32_e32 v53, v31
; %bb.9312:                             ;   in Loop: Header=BB6_8935 Depth=2
	s_or_b64 exec, exec, s[20:21]
.LBB6_9313:                             ;   in Loop: Header=BB6_8935 Depth=2
	s_or_b64 exec, exec, s[30:31]
                                        ; implicit-def: $vgpr31
.LBB6_9314:                             ;   in Loop: Header=BB6_8935 Depth=2
	s_andn2_saveexec_b64 s[20:21], s[94:95]
; %bb.9315:                             ;   in Loop: Header=BB6_8935 Depth=2
	v_or_b32_e32 v53, 0x7e, v31
; %bb.9316:                             ;   in Loop: Header=BB6_8935 Depth=2
	s_or_b64 exec, exec, s[20:21]
                                        ; implicit-def: $vgpr14
.LBB6_9317:                             ;   in Loop: Header=BB6_8935 Depth=2
	s_andn2_saveexec_b64 s[20:21], s[92:93]
; %bb.9318:                             ;   in Loop: Header=BB6_8935 Depth=2
	v_or_b32_sdwa v53, v14, s51 dst_sel:DWORD dst_unused:UNUSED_PAD src0_sel:BYTE_3 src1_sel:DWORD
; %bb.9319:                             ;   in Loop: Header=BB6_8935 Depth=2
	s_or_b64 exec, exec, s[20:21]
	v_and_b32_e32 v2, 0xff, v39
	v_cmp_ne_u16_e64 s[20:21], 0, v2
	s_and_b64 vcc, exec, s[18:19]
	s_mov_b64 s[92:93], -1
                                        ; implicit-def: $vgpr14
	s_cbranch_vccnz .LBB6_9333
; %bb.9320:                             ;   in Loop: Header=BB6_8935 Depth=2
	v_mov_b32_e32 v16, 0
	v_mov_b32_e32 v15, 0
	s_and_saveexec_b64 s[92:93], s[20:21]
	s_cbranch_execz .LBB6_9326
; %bb.9321:                             ;   in Loop: Header=BB6_8935 Depth=2
	v_cmp_ne_u16_e32 vcc, s49, v2
	v_bfrev_b32_e32 v15, 1
	s_and_saveexec_b64 s[94:95], vcc
	s_cbranch_execz .LBB6_9325
; %bb.9322:                             ;   in Loop: Header=BB6_8935 Depth=2
	v_and_b32_e32 v14, 0x7f, v39
	v_cmp_ne_u32_e32 vcc, s51, v14
	v_mov_b32_e32 v15, 0x7f800001
	s_and_saveexec_b64 s[30:31], vcc
	s_cbranch_execz .LBB6_9324
; %bb.9323:                             ;   in Loop: Header=BB6_8935 Depth=2
	v_and_b32_e32 v31, 7, v2
	v_lshrrev_b32_e32 v32, 3, v14
	v_cmp_gt_u32_e32 vcc, 8, v14
	v_ffbh_u32_e32 v14, v31
	v_min_u32_e32 v34, 32, v14
	v_subrev_u32_e32 v14, 28, v34
	v_lshlrev_b64 v[14:15], v14, v[2:3]
	v_sub_u32_e32 v15, 29, v34
	v_and_b32_e32 v14, 7, v14
	v_cndmask_b32_e32 v15, v32, v15, vcc
	v_cndmask_b32_e32 v14, v31, v14, vcc
	v_lshlrev_b32_e32 v31, 24, v39
	v_bfrev_b32_e32 v17, 60
	v_lshlrev_b32_e32 v14, 20, v14
	v_and_b32_e32 v31, 0x80000000, v31
	v_lshl_add_u32 v15, v15, 23, v17
	v_or3_b32 v15, v31, v15, v14
.LBB6_9324:                             ;   in Loop: Header=BB6_8935 Depth=2
	s_or_b64 exec, exec, s[30:31]
.LBB6_9325:                             ;   in Loop: Header=BB6_8935 Depth=2
	s_or_b64 exec, exec, s[94:95]
.LBB6_9326:                             ;   in Loop: Header=BB6_8935 Depth=2
	s_or_b64 exec, exec, s[92:93]
	v_and_b32_e32 v14, 0xff, v42
	v_cmp_ne_u16_e32 vcc, 0, v14
	s_and_saveexec_b64 s[92:93], vcc
	s_cbranch_execz .LBB6_9332
; %bb.9327:                             ;   in Loop: Header=BB6_8935 Depth=2
	v_cmp_ne_u16_e32 vcc, s49, v14
	v_bfrev_b32_e32 v16, 1
	s_and_saveexec_b64 s[94:95], vcc
	s_cbranch_execz .LBB6_9331
; %bb.9328:                             ;   in Loop: Header=BB6_8935 Depth=2
	v_and_b32_e32 v31, 0x7f, v42
	v_cmp_ne_u32_e32 vcc, s51, v31
	v_mov_b32_e32 v16, 0x7f800001
	s_and_saveexec_b64 s[30:31], vcc
	s_cbranch_execz .LBB6_9330
; %bb.9329:                             ;   in Loop: Header=BB6_8935 Depth=2
	v_and_b32_e32 v16, 7, v14
	v_lshrrev_b32_e32 v34, 3, v31
	v_cmp_gt_u32_e32 vcc, 8, v31
	v_ffbh_u32_e32 v31, v16
	v_min_u32_e32 v35, 32, v31
	v_subrev_u32_e32 v31, 28, v35
	v_lshlrev_b64 v[31:32], v31, v[14:15]
	v_sub_u32_e32 v14, 29, v35
	v_and_b32_e32 v31, 7, v31
	v_cndmask_b32_e32 v14, v34, v14, vcc
	v_cndmask_b32_e32 v16, v16, v31, vcc
	v_lshlrev_b32_e32 v31, 24, v42
	v_bfrev_b32_e32 v17, 60
	v_lshlrev_b32_e32 v16, 20, v16
	v_and_b32_e32 v31, 0x80000000, v31
	v_lshl_add_u32 v14, v14, 23, v17
	v_or3_b32 v16, v31, v14, v16
.LBB6_9330:                             ;   in Loop: Header=BB6_8935 Depth=2
	s_or_b64 exec, exec, s[30:31]
.LBB6_9331:                             ;   in Loop: Header=BB6_8935 Depth=2
	s_or_b64 exec, exec, s[94:95]
.LBB6_9332:                             ;   in Loop: Header=BB6_8935 Depth=2
	s_or_b64 exec, exec, s[92:93]
	v_max_f32_e32 v14, v16, v16
	v_max_f32_e32 v15, v15, v15
	;; [unrolled: 1-line block ×3, first 2 shown]
	s_mov_b64 s[92:93], 0
.LBB6_9333:                             ;   in Loop: Header=BB6_8935 Depth=2
	s_and_b64 vcc, exec, s[92:93]
	s_cbranch_vccz .LBB6_9347
; %bb.9334:                             ;   in Loop: Header=BB6_8935 Depth=2
	v_mov_b32_e32 v15, 0
	v_mov_b32_e32 v14, 0
	s_and_saveexec_b64 s[92:93], s[20:21]
	s_cbranch_execz .LBB6_9340
; %bb.9335:                             ;   in Loop: Header=BB6_8935 Depth=2
	v_cmp_ne_u16_e32 vcc, s49, v2
	v_bfrev_b32_e32 v14, 1
	s_and_saveexec_b64 s[20:21], vcc
	s_cbranch_execz .LBB6_9339
; %bb.9336:                             ;   in Loop: Header=BB6_8935 Depth=2
	v_and_b32_e32 v16, 0x7f, v39
	v_cmp_ne_u32_e32 vcc, s51, v16
	v_mov_b32_e32 v14, 0x7f800001
	s_and_saveexec_b64 s[94:95], vcc
	s_cbranch_execz .LBB6_9338
; %bb.9337:                             ;   in Loop: Header=BB6_8935 Depth=2
	v_and_b32_e32 v14, 7, v2
	v_lshrrev_b32_e32 v34, 3, v16
	v_cmp_gt_u32_e32 vcc, 8, v16
	v_ffbh_u32_e32 v16, v14
	v_min_u32_e32 v16, 32, v16
	v_subrev_u32_e32 v31, 28, v16
	v_lshlrev_b64 v[31:32], v31, v[2:3]
	v_sub_u32_e32 v2, 29, v16
	v_and_b32_e32 v16, 7, v31
	v_cndmask_b32_e32 v2, v34, v2, vcc
	v_cndmask_b32_e32 v14, v14, v16, vcc
	v_lshlrev_b32_e32 v16, 24, v39
	v_bfrev_b32_e32 v17, 60
	v_lshlrev_b32_e32 v14, 20, v14
	v_and_b32_e32 v16, 0x80000000, v16
	v_lshl_add_u32 v2, v2, 23, v17
	v_or3_b32 v14, v16, v2, v14
.LBB6_9338:                             ;   in Loop: Header=BB6_8935 Depth=2
	s_or_b64 exec, exec, s[94:95]
.LBB6_9339:                             ;   in Loop: Header=BB6_8935 Depth=2
	s_or_b64 exec, exec, s[20:21]
.LBB6_9340:                             ;   in Loop: Header=BB6_8935 Depth=2
	s_or_b64 exec, exec, s[92:93]
	v_and_b32_e32 v2, 0xff, v42
	v_cmp_ne_u16_e32 vcc, 0, v2
	s_and_saveexec_b64 s[20:21], vcc
	s_cbranch_execz .LBB6_9346
; %bb.9341:                             ;   in Loop: Header=BB6_8935 Depth=2
	v_cmp_ne_u16_e32 vcc, s49, v2
	v_bfrev_b32_e32 v15, 1
	s_and_saveexec_b64 s[92:93], vcc
	s_cbranch_execz .LBB6_9345
; %bb.9342:                             ;   in Loop: Header=BB6_8935 Depth=2
	v_and_b32_e32 v16, 0x7f, v42
	v_cmp_ne_u32_e32 vcc, s51, v16
	v_mov_b32_e32 v15, 0x7f800001
	s_and_saveexec_b64 s[94:95], vcc
	s_cbranch_execz .LBB6_9344
; %bb.9343:                             ;   in Loop: Header=BB6_8935 Depth=2
	v_and_b32_e32 v31, 7, v2
	v_ffbh_u32_e32 v15, v31
	v_min_u32_e32 v34, 32, v15
	v_subrev_u32_e32 v15, 28, v34
	v_lshrrev_b32_e32 v32, 3, v16
	v_cmp_gt_u32_e32 vcc, 8, v16
	v_lshlrev_b64 v[15:16], v15, v[2:3]
	v_sub_u32_e32 v2, 29, v34
	v_and_b32_e32 v15, 7, v15
	v_cndmask_b32_e32 v2, v32, v2, vcc
	v_cndmask_b32_e32 v15, v31, v15, vcc
	v_lshlrev_b32_e32 v16, 24, v42
	v_bfrev_b32_e32 v17, 60
	v_lshlrev_b32_e32 v15, 20, v15
	v_and_b32_e32 v16, 0x80000000, v16
	v_lshl_add_u32 v2, v2, 23, v17
	v_or3_b32 v15, v16, v2, v15
.LBB6_9344:                             ;   in Loop: Header=BB6_8935 Depth=2
	s_or_b64 exec, exec, s[94:95]
.LBB6_9345:                             ;   in Loop: Header=BB6_8935 Depth=2
	s_or_b64 exec, exec, s[92:93]
.LBB6_9346:                             ;   in Loop: Header=BB6_8935 Depth=2
	s_or_b64 exec, exec, s[20:21]
	v_max_f32_e32 v2, v15, v15
	v_max_f32_e32 v14, v14, v14
	v_min_f32_e32 v14, v14, v2
.LBB6_9347:                             ;   in Loop: Header=BB6_8935 Depth=2
	v_and_b32_e32 v2, 0x7f800000, v14
	v_cmp_ne_u64_e32 vcc, s[62:63], v[2:3]
                                        ; implicit-def: $vgpr42
	s_mov_b64 s[20:21], exec
	s_waitcnt vmcnt(0) lgkmcnt(0)
	v_mov_b32_e32 v39, v20
	buffer_load_dword v20, off, s[0:3], s33 offset:120 ; 4-byte Folded Reload
	s_and_b64 s[94:95], s[20:21], vcc
	s_xor_b64 s[92:93], s[94:95], s[20:21]
	s_mov_b64 exec, s[94:95]
	s_cbranch_execz .LBB6_9365
; %bb.9348:                             ;   in Loop: Header=BB6_8935 Depth=2
	v_and_b32_e32 v2, 0x7fffffff, v14
	v_cmp_gt_u64_e32 vcc, s[72:73], v[2:3]
	v_and_b32_sdwa v31, v14, s49 dst_sel:DWORD dst_unused:UNUSED_PAD src0_sel:BYTE_3 src1_sel:DWORD
                                        ; implicit-def: $vgpr42
	s_and_saveexec_b64 s[20:21], vcc
	s_xor_b64 s[94:95], exec, s[20:21]
	s_cbranch_execz .LBB6_9362
; %bb.9349:                             ;   in Loop: Header=BB6_8935 Depth=2
	v_cmp_ne_u32_e32 vcc, 0, v14
	v_mov_b32_e32 v42, 0
	s_and_saveexec_b64 s[30:31], vcc
	s_cbranch_execz .LBB6_9361
; %bb.9350:                             ;   in Loop: Header=BB6_8935 Depth=2
	v_bfe_u32 v32, v14, 23, 8
	v_and_b32_e32 v2, 0x7fffff, v14
	v_cmp_gt_u32_e64 s[20:21], s53, v32
	v_sub_u32_e32 v14, 0x79, v32
	v_cmp_eq_u32_e32 vcc, 0, v32
	v_cndmask_b32_e64 v14, 0, v14, s[20:21]
	v_mov_b32_e32 v16, 0x78
	v_cndmask_b32_e32 v34, v14, v16, vcc
	v_or_b32_e32 v15, 0x800000, v2
	v_add_u32_e32 v14, 20, v34
	v_cndmask_b32_e32 v2, v15, v2, vcc
	v_lshlrev_b64 v[14:15], v14, -1
	v_add_u32_e32 v16, 19, v34
	v_lshlrev_b64 v[37:38], v16, 1
	v_bfi_b32 v15, v15, 0, 0
	v_bfi_b32 v14, v14, 0, v2
	v_cmp_eq_u64_e64 s[20:21], v[14:15], v[37:38]
	v_lshrrev_b64 v[14:15], v34, v[2:3]
	v_mov_b32_e32 v16, v15
	v_mov_b32_e32 v15, v14
	s_and_saveexec_b64 s[34:35], s[20:21]
; %bb.9351:                             ;   in Loop: Header=BB6_8935 Depth=2
	v_bfe_u32 v2, v14, 20, 1
	v_add_co_u32_e64 v2, s[20:21], v14, v2
	v_add_co_u32_e64 v15, s[20:21], -1, v2
; %bb.9352:                             ;   in Loop: Header=BB6_8935 Depth=2
	s_or_b64 exec, exec, s[34:35]
	v_add_u32_e32 v2, 0xffffff81, v32
	v_cndmask_b32_e32 v2, v2, v59, vcc
	v_lshrrev_b32_e32 v16, 23, v14
	v_add3_u32 v34, v34, v2, v16
	v_add_u32_e32 v32, 6, v34
	v_and_b32_e32 v2, 0xfffff, v15
	v_add_u32_e32 v2, v2, v14
	v_cmp_ne_u32_e32 vcc, 0, v32
                                        ; implicit-def: $vgpr14_vgpr15
                                        ; implicit-def: $vgpr16
	s_and_saveexec_b64 s[20:21], vcc
	s_xor_b64 s[20:21], exec, s[20:21]
; %bb.9353:                             ;   in Loop: Header=BB6_8935 Depth=2
	v_cmp_lt_u64_e32 vcc, s[74:75], v[2:3]
	v_add_u32_e32 v14, 7, v34
	v_cndmask_b32_e32 v16, v32, v14, vcc
	v_cndmask_b32_e64 v14, 0, 1, vcc
	v_lshrrev_b64 v[14:15], v14, v[2:3]
; %bb.9354:                             ;   in Loop: Header=BB6_8935 Depth=2
	s_andn2_saveexec_b64 s[20:21], s[20:21]
; %bb.9355:                             ;   in Loop: Header=BB6_8935 Depth=2
	v_mov_b32_e32 v15, v3
	v_bfe_u32 v16, v2, 23, 1
	v_mov_b32_e32 v14, v2
; %bb.9356:                             ;   in Loop: Header=BB6_8935 Depth=2
	s_or_b64 exec, exec, s[20:21]
	v_lshrrev_b64 v[14:15], 20, v[14:15]
	v_cmp_gt_i32_e32 vcc, 16, v16
	v_cndmask_b32_e32 v15, 0, v15, vcc
	v_cndmask_b32_e32 v14, 7, v14, vcc
	v_cmp_ne_u64_e32 vcc, 0, v[14:15]
	v_cmp_ne_u32_e64 s[20:21], 0, v16
	s_or_b64 s[20:21], s[20:21], vcc
                                        ; implicit-def: $vgpr42
	s_and_saveexec_b64 vcc, s[20:21]
	s_xor_b64 s[20:21], exec, vcc
; %bb.9357:                             ;   in Loop: Header=BB6_8935 Depth=2
	v_min_i32_e32 v2, 15, v16
	v_lshl_or_b32 v2, v2, 3, v31
	v_and_or_b32 v42, v14, 7, v2
                                        ; implicit-def: $vgpr31
; %bb.9358:                             ;   in Loop: Header=BB6_8935 Depth=2
	s_andn2_saveexec_b64 s[20:21], s[20:21]
; %bb.9359:                             ;   in Loop: Header=BB6_8935 Depth=2
	v_mov_b32_e32 v42, v31
; %bb.9360:                             ;   in Loop: Header=BB6_8935 Depth=2
	s_or_b64 exec, exec, s[20:21]
.LBB6_9361:                             ;   in Loop: Header=BB6_8935 Depth=2
	s_or_b64 exec, exec, s[30:31]
                                        ; implicit-def: $vgpr31
.LBB6_9362:                             ;   in Loop: Header=BB6_8935 Depth=2
	s_andn2_saveexec_b64 s[20:21], s[94:95]
; %bb.9363:                             ;   in Loop: Header=BB6_8935 Depth=2
	v_or_b32_e32 v42, 0x7e, v31
; %bb.9364:                             ;   in Loop: Header=BB6_8935 Depth=2
	s_or_b64 exec, exec, s[20:21]
                                        ; implicit-def: $vgpr14
.LBB6_9365:                             ;   in Loop: Header=BB6_8935 Depth=2
	s_andn2_saveexec_b64 s[20:21], s[92:93]
; %bb.9366:                             ;   in Loop: Header=BB6_8935 Depth=2
	v_or_b32_sdwa v42, v14, s51 dst_sel:DWORD dst_unused:UNUSED_PAD src0_sel:BYTE_3 src1_sel:DWORD
; %bb.9367:                             ;   in Loop: Header=BB6_8935 Depth=2
	s_or_b64 exec, exec, s[20:21]
	v_and_b32_e32 v2, 0xff, v29
	v_cmp_ne_u16_e64 s[20:21], 0, v2
	s_and_b64 vcc, exec, s[18:19]
	s_mov_b64 s[92:93], -1
                                        ; implicit-def: $vgpr14
	s_cbranch_vccnz .LBB6_9381
; %bb.9368:                             ;   in Loop: Header=BB6_8935 Depth=2
	v_mov_b32_e32 v16, 0
	v_mov_b32_e32 v15, 0
	s_and_saveexec_b64 s[92:93], s[20:21]
	s_cbranch_execz .LBB6_9374
; %bb.9369:                             ;   in Loop: Header=BB6_8935 Depth=2
	v_cmp_ne_u16_e32 vcc, s49, v2
	v_bfrev_b32_e32 v15, 1
	s_and_saveexec_b64 s[94:95], vcc
	s_cbranch_execz .LBB6_9373
; %bb.9370:                             ;   in Loop: Header=BB6_8935 Depth=2
	v_and_b32_e32 v14, 0x7f, v29
	v_cmp_ne_u32_e32 vcc, s51, v14
	v_mov_b32_e32 v15, 0x7f800001
	s_and_saveexec_b64 s[30:31], vcc
	s_cbranch_execz .LBB6_9372
; %bb.9371:                             ;   in Loop: Header=BB6_8935 Depth=2
	v_and_b32_e32 v31, 7, v2
	v_lshrrev_b32_e32 v32, 3, v14
	v_cmp_gt_u32_e32 vcc, 8, v14
	v_ffbh_u32_e32 v14, v31
	v_min_u32_e32 v34, 32, v14
	v_subrev_u32_e32 v14, 28, v34
	v_lshlrev_b64 v[14:15], v14, v[2:3]
	v_sub_u32_e32 v15, 29, v34
	v_and_b32_e32 v14, 7, v14
	v_cndmask_b32_e32 v15, v32, v15, vcc
	v_cndmask_b32_e32 v14, v31, v14, vcc
	v_lshlrev_b32_e32 v31, 24, v29
	v_bfrev_b32_e32 v17, 60
	v_lshlrev_b32_e32 v14, 20, v14
	v_and_b32_e32 v31, 0x80000000, v31
	v_lshl_add_u32 v15, v15, 23, v17
	v_or3_b32 v15, v31, v15, v14
.LBB6_9372:                             ;   in Loop: Header=BB6_8935 Depth=2
	s_or_b64 exec, exec, s[30:31]
.LBB6_9373:                             ;   in Loop: Header=BB6_8935 Depth=2
	s_or_b64 exec, exec, s[94:95]
.LBB6_9374:                             ;   in Loop: Header=BB6_8935 Depth=2
	s_or_b64 exec, exec, s[92:93]
	v_and_b32_e32 v14, 0xff, v45
	v_cmp_ne_u16_e32 vcc, 0, v14
	s_and_saveexec_b64 s[92:93], vcc
	s_cbranch_execz .LBB6_9380
; %bb.9375:                             ;   in Loop: Header=BB6_8935 Depth=2
	v_cmp_ne_u16_e32 vcc, s49, v14
	v_bfrev_b32_e32 v16, 1
	s_and_saveexec_b64 s[94:95], vcc
	s_cbranch_execz .LBB6_9379
; %bb.9376:                             ;   in Loop: Header=BB6_8935 Depth=2
	v_and_b32_e32 v31, 0x7f, v45
	v_cmp_ne_u32_e32 vcc, s51, v31
	v_mov_b32_e32 v16, 0x7f800001
	s_and_saveexec_b64 s[30:31], vcc
	s_cbranch_execz .LBB6_9378
; %bb.9377:                             ;   in Loop: Header=BB6_8935 Depth=2
	v_and_b32_e32 v16, 7, v14
	v_lshrrev_b32_e32 v34, 3, v31
	v_cmp_gt_u32_e32 vcc, 8, v31
	v_ffbh_u32_e32 v31, v16
	v_min_u32_e32 v35, 32, v31
	v_subrev_u32_e32 v31, 28, v35
	v_lshlrev_b64 v[31:32], v31, v[14:15]
	v_sub_u32_e32 v14, 29, v35
	v_and_b32_e32 v31, 7, v31
	v_cndmask_b32_e32 v14, v34, v14, vcc
	v_cndmask_b32_e32 v16, v16, v31, vcc
	v_lshlrev_b32_e32 v31, 24, v45
	v_bfrev_b32_e32 v17, 60
	v_lshlrev_b32_e32 v16, 20, v16
	v_and_b32_e32 v31, 0x80000000, v31
	v_lshl_add_u32 v14, v14, 23, v17
	v_or3_b32 v16, v31, v14, v16
.LBB6_9378:                             ;   in Loop: Header=BB6_8935 Depth=2
	s_or_b64 exec, exec, s[30:31]
.LBB6_9379:                             ;   in Loop: Header=BB6_8935 Depth=2
	s_or_b64 exec, exec, s[94:95]
.LBB6_9380:                             ;   in Loop: Header=BB6_8935 Depth=2
	s_or_b64 exec, exec, s[92:93]
	v_max_f32_e32 v14, v16, v16
	v_max_f32_e32 v15, v15, v15
	;; [unrolled: 1-line block ×3, first 2 shown]
	s_mov_b64 s[92:93], 0
.LBB6_9381:                             ;   in Loop: Header=BB6_8935 Depth=2
	s_and_b64 vcc, exec, s[92:93]
	s_cbranch_vccz .LBB6_9395
; %bb.9382:                             ;   in Loop: Header=BB6_8935 Depth=2
	v_mov_b32_e32 v15, 0
	v_mov_b32_e32 v14, 0
	s_and_saveexec_b64 s[92:93], s[20:21]
	s_cbranch_execz .LBB6_9388
; %bb.9383:                             ;   in Loop: Header=BB6_8935 Depth=2
	v_cmp_ne_u16_e32 vcc, s49, v2
	v_bfrev_b32_e32 v14, 1
	s_and_saveexec_b64 s[20:21], vcc
	s_cbranch_execz .LBB6_9387
; %bb.9384:                             ;   in Loop: Header=BB6_8935 Depth=2
	v_and_b32_e32 v16, 0x7f, v29
	v_cmp_ne_u32_e32 vcc, s51, v16
	v_mov_b32_e32 v14, 0x7f800001
	s_and_saveexec_b64 s[94:95], vcc
	s_cbranch_execz .LBB6_9386
; %bb.9385:                             ;   in Loop: Header=BB6_8935 Depth=2
	v_and_b32_e32 v14, 7, v2
	v_lshrrev_b32_e32 v34, 3, v16
	v_cmp_gt_u32_e32 vcc, 8, v16
	v_ffbh_u32_e32 v16, v14
	v_min_u32_e32 v16, 32, v16
	v_subrev_u32_e32 v31, 28, v16
	v_lshlrev_b64 v[31:32], v31, v[2:3]
	v_sub_u32_e32 v2, 29, v16
	v_and_b32_e32 v16, 7, v31
	v_cndmask_b32_e32 v2, v34, v2, vcc
	v_cndmask_b32_e32 v14, v14, v16, vcc
	v_lshlrev_b32_e32 v16, 24, v29
	v_bfrev_b32_e32 v17, 60
	v_lshlrev_b32_e32 v14, 20, v14
	v_and_b32_e32 v16, 0x80000000, v16
	v_lshl_add_u32 v2, v2, 23, v17
	v_or3_b32 v14, v16, v2, v14
.LBB6_9386:                             ;   in Loop: Header=BB6_8935 Depth=2
	s_or_b64 exec, exec, s[94:95]
.LBB6_9387:                             ;   in Loop: Header=BB6_8935 Depth=2
	s_or_b64 exec, exec, s[20:21]
.LBB6_9388:                             ;   in Loop: Header=BB6_8935 Depth=2
	s_or_b64 exec, exec, s[92:93]
	v_and_b32_e32 v2, 0xff, v45
	v_cmp_ne_u16_e32 vcc, 0, v2
	s_and_saveexec_b64 s[20:21], vcc
	s_cbranch_execz .LBB6_9394
; %bb.9389:                             ;   in Loop: Header=BB6_8935 Depth=2
	v_cmp_ne_u16_e32 vcc, s49, v2
	v_bfrev_b32_e32 v15, 1
	s_and_saveexec_b64 s[92:93], vcc
	s_cbranch_execz .LBB6_9393
; %bb.9390:                             ;   in Loop: Header=BB6_8935 Depth=2
	v_and_b32_e32 v16, 0x7f, v45
	v_cmp_ne_u32_e32 vcc, s51, v16
	v_mov_b32_e32 v15, 0x7f800001
	s_and_saveexec_b64 s[94:95], vcc
	s_cbranch_execz .LBB6_9392
; %bb.9391:                             ;   in Loop: Header=BB6_8935 Depth=2
	v_and_b32_e32 v29, 7, v2
	v_ffbh_u32_e32 v15, v29
	v_min_u32_e32 v32, 32, v15
	v_subrev_u32_e32 v15, 28, v32
	v_lshrrev_b32_e32 v31, 3, v16
	v_cmp_gt_u32_e32 vcc, 8, v16
	v_lshlrev_b64 v[15:16], v15, v[2:3]
	v_sub_u32_e32 v2, 29, v32
	v_and_b32_e32 v15, 7, v15
	v_cndmask_b32_e32 v2, v31, v2, vcc
	v_cndmask_b32_e32 v15, v29, v15, vcc
	v_lshlrev_b32_e32 v16, 24, v45
	v_bfrev_b32_e32 v17, 60
	v_lshlrev_b32_e32 v15, 20, v15
	v_and_b32_e32 v16, 0x80000000, v16
	v_lshl_add_u32 v2, v2, 23, v17
	v_or3_b32 v15, v16, v2, v15
.LBB6_9392:                             ;   in Loop: Header=BB6_8935 Depth=2
	s_or_b64 exec, exec, s[94:95]
.LBB6_9393:                             ;   in Loop: Header=BB6_8935 Depth=2
	s_or_b64 exec, exec, s[92:93]
.LBB6_9394:                             ;   in Loop: Header=BB6_8935 Depth=2
	s_or_b64 exec, exec, s[20:21]
	v_max_f32_e32 v2, v15, v15
	v_max_f32_e32 v14, v14, v14
	v_min_f32_e32 v14, v14, v2
.LBB6_9395:                             ;   in Loop: Header=BB6_8935 Depth=2
	v_and_b32_e32 v2, 0x7f800000, v14
	v_cmp_ne_u64_e32 vcc, s[62:63], v[2:3]
                                        ; implicit-def: $vgpr45
	s_and_saveexec_b64 s[20:21], vcc
	s_xor_b64 s[92:93], exec, s[20:21]
	s_cbranch_execz .LBB6_9413
; %bb.9396:                             ;   in Loop: Header=BB6_8935 Depth=2
	v_and_b32_e32 v2, 0x7fffffff, v14
	v_cmp_gt_u64_e32 vcc, s[72:73], v[2:3]
	v_and_b32_sdwa v29, v14, s49 dst_sel:DWORD dst_unused:UNUSED_PAD src0_sel:BYTE_3 src1_sel:DWORD
                                        ; implicit-def: $vgpr45
	s_and_saveexec_b64 s[20:21], vcc
	s_xor_b64 s[94:95], exec, s[20:21]
	s_cbranch_execz .LBB6_9410
; %bb.9397:                             ;   in Loop: Header=BB6_8935 Depth=2
	v_cmp_ne_u32_e32 vcc, 0, v14
	v_mov_b32_e32 v45, 0
	s_and_saveexec_b64 s[30:31], vcc
	s_cbranch_execz .LBB6_9409
; %bb.9398:                             ;   in Loop: Header=BB6_8935 Depth=2
	v_bfe_u32 v31, v14, 23, 8
	v_and_b32_e32 v2, 0x7fffff, v14
	v_cmp_gt_u32_e64 s[20:21], s53, v31
	v_sub_u32_e32 v14, 0x79, v31
	v_cmp_eq_u32_e32 vcc, 0, v31
	v_cndmask_b32_e64 v14, 0, v14, s[20:21]
	v_mov_b32_e32 v16, 0x78
	v_cndmask_b32_e32 v32, v14, v16, vcc
	v_or_b32_e32 v15, 0x800000, v2
	v_add_u32_e32 v14, 20, v32
	v_cndmask_b32_e32 v2, v15, v2, vcc
	v_lshlrev_b64 v[14:15], v14, -1
	v_add_u32_e32 v16, 19, v32
	v_lshlrev_b64 v[34:35], v16, 1
	v_bfi_b32 v15, v15, 0, 0
	v_bfi_b32 v14, v14, 0, v2
	v_cmp_eq_u64_e64 s[20:21], v[14:15], v[34:35]
	v_lshrrev_b64 v[14:15], v32, v[2:3]
	v_mov_b32_e32 v16, v15
	v_mov_b32_e32 v15, v14
	s_and_saveexec_b64 s[34:35], s[20:21]
; %bb.9399:                             ;   in Loop: Header=BB6_8935 Depth=2
	v_bfe_u32 v2, v14, 20, 1
	v_add_co_u32_e64 v2, s[20:21], v14, v2
	v_add_co_u32_e64 v15, s[20:21], -1, v2
; %bb.9400:                             ;   in Loop: Header=BB6_8935 Depth=2
	s_or_b64 exec, exec, s[34:35]
	v_add_u32_e32 v2, 0xffffff81, v31
	v_cndmask_b32_e32 v2, v2, v59, vcc
	v_lshrrev_b32_e32 v16, 23, v14
	v_add3_u32 v32, v32, v2, v16
	v_add_u32_e32 v31, 6, v32
	v_and_b32_e32 v2, 0xfffff, v15
	v_add_u32_e32 v2, v2, v14
	v_cmp_ne_u32_e32 vcc, 0, v31
                                        ; implicit-def: $vgpr14_vgpr15
                                        ; implicit-def: $vgpr16
	s_and_saveexec_b64 s[20:21], vcc
	s_xor_b64 s[20:21], exec, s[20:21]
; %bb.9401:                             ;   in Loop: Header=BB6_8935 Depth=2
	v_cmp_lt_u64_e32 vcc, s[74:75], v[2:3]
	v_add_u32_e32 v14, 7, v32
	v_cndmask_b32_e32 v16, v31, v14, vcc
	v_cndmask_b32_e64 v14, 0, 1, vcc
	v_lshrrev_b64 v[14:15], v14, v[2:3]
; %bb.9402:                             ;   in Loop: Header=BB6_8935 Depth=2
	s_andn2_saveexec_b64 s[20:21], s[20:21]
; %bb.9403:                             ;   in Loop: Header=BB6_8935 Depth=2
	v_mov_b32_e32 v15, v3
	v_bfe_u32 v16, v2, 23, 1
	v_mov_b32_e32 v14, v2
; %bb.9404:                             ;   in Loop: Header=BB6_8935 Depth=2
	s_or_b64 exec, exec, s[20:21]
	v_lshrrev_b64 v[14:15], 20, v[14:15]
	v_cmp_gt_i32_e32 vcc, 16, v16
	v_cndmask_b32_e32 v15, 0, v15, vcc
	v_cndmask_b32_e32 v14, 7, v14, vcc
	v_cmp_ne_u64_e32 vcc, 0, v[14:15]
	v_cmp_ne_u32_e64 s[20:21], 0, v16
	s_or_b64 s[20:21], s[20:21], vcc
                                        ; implicit-def: $vgpr45
	s_and_saveexec_b64 vcc, s[20:21]
	s_xor_b64 s[20:21], exec, vcc
; %bb.9405:                             ;   in Loop: Header=BB6_8935 Depth=2
	v_min_i32_e32 v2, 15, v16
	v_lshl_or_b32 v2, v2, 3, v29
	v_and_or_b32 v45, v14, 7, v2
                                        ; implicit-def: $vgpr29
; %bb.9406:                             ;   in Loop: Header=BB6_8935 Depth=2
	s_andn2_saveexec_b64 s[20:21], s[20:21]
; %bb.9407:                             ;   in Loop: Header=BB6_8935 Depth=2
	v_mov_b32_e32 v45, v29
; %bb.9408:                             ;   in Loop: Header=BB6_8935 Depth=2
	s_or_b64 exec, exec, s[20:21]
.LBB6_9409:                             ;   in Loop: Header=BB6_8935 Depth=2
	s_or_b64 exec, exec, s[30:31]
                                        ; implicit-def: $vgpr29
.LBB6_9410:                             ;   in Loop: Header=BB6_8935 Depth=2
	s_andn2_saveexec_b64 s[20:21], s[94:95]
; %bb.9411:                             ;   in Loop: Header=BB6_8935 Depth=2
	v_or_b32_e32 v45, 0x7e, v29
; %bb.9412:                             ;   in Loop: Header=BB6_8935 Depth=2
	s_or_b64 exec, exec, s[20:21]
                                        ; implicit-def: $vgpr14
.LBB6_9413:                             ;   in Loop: Header=BB6_8935 Depth=2
	s_andn2_saveexec_b64 s[20:21], s[92:93]
; %bb.9414:                             ;   in Loop: Header=BB6_8935 Depth=2
	v_or_b32_sdwa v45, v14, s51 dst_sel:DWORD dst_unused:UNUSED_PAD src0_sel:BYTE_3 src1_sel:DWORD
; %bb.9415:                             ;   in Loop: Header=BB6_8935 Depth=2
	s_or_b64 exec, exec, s[20:21]
	v_and_b32_e32 v2, 0xff, v28
	v_cmp_ne_u16_e64 s[20:21], 0, v2
	s_and_b64 vcc, exec, s[18:19]
	s_mov_b64 s[92:93], -1
                                        ; implicit-def: $vgpr14
	s_cbranch_vccnz .LBB6_9429
; %bb.9416:                             ;   in Loop: Header=BB6_8935 Depth=2
	v_mov_b32_e32 v16, 0
	v_mov_b32_e32 v15, 0
	s_and_saveexec_b64 s[92:93], s[20:21]
	s_cbranch_execz .LBB6_9422
; %bb.9417:                             ;   in Loop: Header=BB6_8935 Depth=2
	v_cmp_ne_u16_e32 vcc, s49, v2
	v_bfrev_b32_e32 v15, 1
	s_and_saveexec_b64 s[94:95], vcc
	s_cbranch_execz .LBB6_9421
; %bb.9418:                             ;   in Loop: Header=BB6_8935 Depth=2
	v_and_b32_e32 v14, 0x7f, v28
	v_cmp_ne_u32_e32 vcc, s51, v14
	v_mov_b32_e32 v15, 0x7f800001
	s_and_saveexec_b64 s[30:31], vcc
	s_cbranch_execz .LBB6_9420
; %bb.9419:                             ;   in Loop: Header=BB6_8935 Depth=2
	v_and_b32_e32 v29, 7, v2
	v_lshrrev_b32_e32 v31, 3, v14
	v_cmp_gt_u32_e32 vcc, 8, v14
	v_ffbh_u32_e32 v14, v29
	v_min_u32_e32 v32, 32, v14
	v_subrev_u32_e32 v14, 28, v32
	v_lshlrev_b64 v[14:15], v14, v[2:3]
	v_sub_u32_e32 v15, 29, v32
	v_and_b32_e32 v14, 7, v14
	v_cndmask_b32_e32 v15, v31, v15, vcc
	v_cndmask_b32_e32 v14, v29, v14, vcc
	v_lshlrev_b32_e32 v29, 24, v28
	v_bfrev_b32_e32 v17, 60
	v_lshlrev_b32_e32 v14, 20, v14
	v_and_b32_e32 v29, 0x80000000, v29
	v_lshl_add_u32 v15, v15, 23, v17
	v_or3_b32 v15, v29, v15, v14
.LBB6_9420:                             ;   in Loop: Header=BB6_8935 Depth=2
	s_or_b64 exec, exec, s[30:31]
.LBB6_9421:                             ;   in Loop: Header=BB6_8935 Depth=2
	s_or_b64 exec, exec, s[94:95]
.LBB6_9422:                             ;   in Loop: Header=BB6_8935 Depth=2
	s_or_b64 exec, exec, s[92:93]
	v_and_b32_e32 v14, 0xff, v62
	v_cmp_ne_u16_e32 vcc, 0, v14
	s_and_saveexec_b64 s[92:93], vcc
	s_cbranch_execz .LBB6_9428
; %bb.9423:                             ;   in Loop: Header=BB6_8935 Depth=2
	v_cmp_ne_u16_e32 vcc, s49, v14
	v_bfrev_b32_e32 v16, 1
	s_and_saveexec_b64 s[94:95], vcc
	s_cbranch_execz .LBB6_9427
; %bb.9424:                             ;   in Loop: Header=BB6_8935 Depth=2
	v_and_b32_e32 v29, 0x7f, v62
	v_cmp_ne_u32_e32 vcc, s51, v29
	v_mov_b32_e32 v16, 0x7f800001
	s_and_saveexec_b64 s[30:31], vcc
	s_cbranch_execz .LBB6_9426
; %bb.9425:                             ;   in Loop: Header=BB6_8935 Depth=2
	v_and_b32_e32 v16, 7, v14
	v_lshrrev_b32_e32 v34, 3, v29
	v_cmp_gt_u32_e32 vcc, 8, v29
	v_ffbh_u32_e32 v29, v16
	v_min_u32_e32 v29, 32, v29
	v_subrev_u32_e32 v31, 28, v29
	v_lshlrev_b64 v[31:32], v31, v[14:15]
	v_sub_u32_e32 v14, 29, v29
	v_and_b32_e32 v29, 7, v31
	v_cndmask_b32_e32 v14, v34, v14, vcc
	v_cndmask_b32_e32 v16, v16, v29, vcc
	v_lshlrev_b32_e32 v29, 24, v62
	v_bfrev_b32_e32 v17, 60
	v_lshlrev_b32_e32 v16, 20, v16
	v_and_b32_e32 v29, 0x80000000, v29
	v_lshl_add_u32 v14, v14, 23, v17
	v_or3_b32 v16, v29, v14, v16
.LBB6_9426:                             ;   in Loop: Header=BB6_8935 Depth=2
	s_or_b64 exec, exec, s[30:31]
.LBB6_9427:                             ;   in Loop: Header=BB6_8935 Depth=2
	s_or_b64 exec, exec, s[94:95]
.LBB6_9428:                             ;   in Loop: Header=BB6_8935 Depth=2
	s_or_b64 exec, exec, s[92:93]
	v_max_f32_e32 v14, v16, v16
	v_max_f32_e32 v15, v15, v15
	;; [unrolled: 1-line block ×3, first 2 shown]
	s_mov_b64 s[92:93], 0
.LBB6_9429:                             ;   in Loop: Header=BB6_8935 Depth=2
	s_and_b64 vcc, exec, s[92:93]
	s_cbranch_vccz .LBB6_9443
; %bb.9430:                             ;   in Loop: Header=BB6_8935 Depth=2
	v_mov_b32_e32 v15, 0
	v_mov_b32_e32 v14, 0
	s_and_saveexec_b64 s[92:93], s[20:21]
	s_cbranch_execz .LBB6_9436
; %bb.9431:                             ;   in Loop: Header=BB6_8935 Depth=2
	v_cmp_ne_u16_e32 vcc, s49, v2
	v_bfrev_b32_e32 v14, 1
	s_and_saveexec_b64 s[20:21], vcc
	s_cbranch_execz .LBB6_9435
; %bb.9432:                             ;   in Loop: Header=BB6_8935 Depth=2
	v_and_b32_e32 v16, 0x7f, v28
	v_cmp_ne_u32_e32 vcc, s51, v16
	v_mov_b32_e32 v14, 0x7f800001
	s_and_saveexec_b64 s[94:95], vcc
	s_cbranch_execz .LBB6_9434
; %bb.9433:                             ;   in Loop: Header=BB6_8935 Depth=2
	v_and_b32_e32 v14, 7, v2
	v_lshrrev_b32_e32 v29, 3, v16
	v_cmp_gt_u32_e32 vcc, 8, v16
	v_ffbh_u32_e32 v16, v14
	v_min_u32_e32 v16, 32, v16
	v_subrev_u32_e32 v31, 28, v16
	v_lshlrev_b64 v[31:32], v31, v[2:3]
	v_sub_u32_e32 v2, 29, v16
	v_and_b32_e32 v16, 7, v31
	v_cndmask_b32_e32 v2, v29, v2, vcc
	v_cndmask_b32_e32 v14, v14, v16, vcc
	v_lshlrev_b32_e32 v16, 24, v28
	v_bfrev_b32_e32 v17, 60
	v_lshlrev_b32_e32 v14, 20, v14
	v_and_b32_e32 v16, 0x80000000, v16
	v_lshl_add_u32 v2, v2, 23, v17
	v_or3_b32 v14, v16, v2, v14
.LBB6_9434:                             ;   in Loop: Header=BB6_8935 Depth=2
	s_or_b64 exec, exec, s[94:95]
.LBB6_9435:                             ;   in Loop: Header=BB6_8935 Depth=2
	s_or_b64 exec, exec, s[20:21]
.LBB6_9436:                             ;   in Loop: Header=BB6_8935 Depth=2
	s_or_b64 exec, exec, s[92:93]
	v_and_b32_e32 v2, 0xff, v62
	v_cmp_ne_u16_e32 vcc, 0, v2
	s_and_saveexec_b64 s[20:21], vcc
	s_cbranch_execz .LBB6_9442
; %bb.9437:                             ;   in Loop: Header=BB6_8935 Depth=2
	v_cmp_ne_u16_e32 vcc, s49, v2
	v_bfrev_b32_e32 v15, 1
	s_and_saveexec_b64 s[92:93], vcc
	s_cbranch_execz .LBB6_9441
; %bb.9438:                             ;   in Loop: Header=BB6_8935 Depth=2
	v_and_b32_e32 v16, 0x7f, v62
	v_cmp_ne_u32_e32 vcc, s51, v16
	v_mov_b32_e32 v15, 0x7f800001
	s_and_saveexec_b64 s[94:95], vcc
	s_cbranch_execz .LBB6_9440
; %bb.9439:                             ;   in Loop: Header=BB6_8935 Depth=2
	v_and_b32_e32 v28, 7, v2
	v_ffbh_u32_e32 v15, v28
	v_min_u32_e32 v31, 32, v15
	v_subrev_u32_e32 v15, 28, v31
	v_lshrrev_b32_e32 v29, 3, v16
	v_cmp_gt_u32_e32 vcc, 8, v16
	v_lshlrev_b64 v[15:16], v15, v[2:3]
	v_sub_u32_e32 v2, 29, v31
	v_and_b32_e32 v15, 7, v15
	v_cndmask_b32_e32 v2, v29, v2, vcc
	v_cndmask_b32_e32 v15, v28, v15, vcc
	v_lshlrev_b32_e32 v16, 24, v62
	v_bfrev_b32_e32 v17, 60
	v_lshlrev_b32_e32 v15, 20, v15
	v_and_b32_e32 v16, 0x80000000, v16
	v_lshl_add_u32 v2, v2, 23, v17
	v_or3_b32 v15, v16, v2, v15
.LBB6_9440:                             ;   in Loop: Header=BB6_8935 Depth=2
	s_or_b64 exec, exec, s[94:95]
.LBB6_9441:                             ;   in Loop: Header=BB6_8935 Depth=2
	s_or_b64 exec, exec, s[92:93]
.LBB6_9442:                             ;   in Loop: Header=BB6_8935 Depth=2
	s_or_b64 exec, exec, s[20:21]
	v_max_f32_e32 v2, v15, v15
	v_max_f32_e32 v14, v14, v14
	v_min_f32_e32 v14, v14, v2
.LBB6_9443:                             ;   in Loop: Header=BB6_8935 Depth=2
	v_and_b32_e32 v2, 0x7f800000, v14
	v_cmp_ne_u64_e32 vcc, s[62:63], v[2:3]
                                        ; implicit-def: $vgpr62
	s_and_saveexec_b64 s[20:21], vcc
	s_xor_b64 s[92:93], exec, s[20:21]
	s_cbranch_execz .LBB6_9461
; %bb.9444:                             ;   in Loop: Header=BB6_8935 Depth=2
	v_and_b32_e32 v2, 0x7fffffff, v14
	v_cmp_gt_u64_e32 vcc, s[72:73], v[2:3]
	v_and_b32_sdwa v28, v14, s49 dst_sel:DWORD dst_unused:UNUSED_PAD src0_sel:BYTE_3 src1_sel:DWORD
                                        ; implicit-def: $vgpr62
	s_and_saveexec_b64 s[20:21], vcc
	s_xor_b64 s[94:95], exec, s[20:21]
	s_cbranch_execz .LBB6_9458
; %bb.9445:                             ;   in Loop: Header=BB6_8935 Depth=2
	v_cmp_ne_u32_e32 vcc, 0, v14
	v_mov_b32_e32 v62, 0
	s_and_saveexec_b64 s[30:31], vcc
	s_cbranch_execz .LBB6_9457
; %bb.9446:                             ;   in Loop: Header=BB6_8935 Depth=2
	v_bfe_u32 v29, v14, 23, 8
	v_and_b32_e32 v2, 0x7fffff, v14
	v_cmp_gt_u32_e64 s[20:21], s53, v29
	v_sub_u32_e32 v14, 0x79, v29
	v_cmp_eq_u32_e32 vcc, 0, v29
	v_cndmask_b32_e64 v14, 0, v14, s[20:21]
	v_mov_b32_e32 v16, 0x78
	v_cndmask_b32_e32 v31, v14, v16, vcc
	v_or_b32_e32 v15, 0x800000, v2
	v_add_u32_e32 v14, 20, v31
	v_cndmask_b32_e32 v2, v15, v2, vcc
	v_lshlrev_b64 v[14:15], v14, -1
	v_add_u32_e32 v16, 19, v31
	v_lshlrev_b64 v[34:35], v16, 1
	v_bfi_b32 v15, v15, 0, 0
	v_bfi_b32 v14, v14, 0, v2
	v_cmp_eq_u64_e64 s[20:21], v[14:15], v[34:35]
	v_lshrrev_b64 v[14:15], v31, v[2:3]
	v_mov_b32_e32 v16, v15
	v_mov_b32_e32 v15, v14
	s_and_saveexec_b64 s[34:35], s[20:21]
; %bb.9447:                             ;   in Loop: Header=BB6_8935 Depth=2
	v_bfe_u32 v2, v14, 20, 1
	v_add_co_u32_e64 v2, s[20:21], v14, v2
	v_add_co_u32_e64 v15, s[20:21], -1, v2
; %bb.9448:                             ;   in Loop: Header=BB6_8935 Depth=2
	s_or_b64 exec, exec, s[34:35]
	v_add_u32_e32 v2, 0xffffff81, v29
	v_cndmask_b32_e32 v2, v2, v59, vcc
	v_lshrrev_b32_e32 v16, 23, v14
	v_add3_u32 v31, v31, v2, v16
	v_add_u32_e32 v29, 6, v31
	v_and_b32_e32 v2, 0xfffff, v15
	v_add_u32_e32 v2, v2, v14
	v_cmp_ne_u32_e32 vcc, 0, v29
                                        ; implicit-def: $vgpr14_vgpr15
                                        ; implicit-def: $vgpr16
	s_and_saveexec_b64 s[20:21], vcc
	s_xor_b64 s[20:21], exec, s[20:21]
; %bb.9449:                             ;   in Loop: Header=BB6_8935 Depth=2
	v_cmp_lt_u64_e32 vcc, s[74:75], v[2:3]
	v_add_u32_e32 v14, 7, v31
	v_cndmask_b32_e32 v16, v29, v14, vcc
	v_cndmask_b32_e64 v14, 0, 1, vcc
	v_lshrrev_b64 v[14:15], v14, v[2:3]
; %bb.9450:                             ;   in Loop: Header=BB6_8935 Depth=2
	s_andn2_saveexec_b64 s[20:21], s[20:21]
; %bb.9451:                             ;   in Loop: Header=BB6_8935 Depth=2
	v_mov_b32_e32 v15, v3
	v_bfe_u32 v16, v2, 23, 1
	v_mov_b32_e32 v14, v2
; %bb.9452:                             ;   in Loop: Header=BB6_8935 Depth=2
	s_or_b64 exec, exec, s[20:21]
	v_lshrrev_b64 v[14:15], 20, v[14:15]
	v_cmp_gt_i32_e32 vcc, 16, v16
	v_cndmask_b32_e32 v15, 0, v15, vcc
	v_cndmask_b32_e32 v14, 7, v14, vcc
	v_cmp_ne_u64_e32 vcc, 0, v[14:15]
	v_cmp_ne_u32_e64 s[20:21], 0, v16
	s_or_b64 s[20:21], s[20:21], vcc
                                        ; implicit-def: $vgpr62
	s_and_saveexec_b64 vcc, s[20:21]
	s_xor_b64 s[20:21], exec, vcc
; %bb.9453:                             ;   in Loop: Header=BB6_8935 Depth=2
	v_min_i32_e32 v2, 15, v16
	v_lshl_or_b32 v2, v2, 3, v28
	v_and_or_b32 v62, v14, 7, v2
                                        ; implicit-def: $vgpr28
; %bb.9454:                             ;   in Loop: Header=BB6_8935 Depth=2
	s_andn2_saveexec_b64 s[20:21], s[20:21]
; %bb.9455:                             ;   in Loop: Header=BB6_8935 Depth=2
	v_mov_b32_e32 v62, v28
; %bb.9456:                             ;   in Loop: Header=BB6_8935 Depth=2
	s_or_b64 exec, exec, s[20:21]
.LBB6_9457:                             ;   in Loop: Header=BB6_8935 Depth=2
	s_or_b64 exec, exec, s[30:31]
                                        ; implicit-def: $vgpr28
.LBB6_9458:                             ;   in Loop: Header=BB6_8935 Depth=2
	s_andn2_saveexec_b64 s[20:21], s[94:95]
; %bb.9459:                             ;   in Loop: Header=BB6_8935 Depth=2
	v_or_b32_e32 v62, 0x7e, v28
; %bb.9460:                             ;   in Loop: Header=BB6_8935 Depth=2
	s_or_b64 exec, exec, s[20:21]
                                        ; implicit-def: $vgpr14
.LBB6_9461:                             ;   in Loop: Header=BB6_8935 Depth=2
	s_andn2_saveexec_b64 s[20:21], s[92:93]
; %bb.9462:                             ;   in Loop: Header=BB6_8935 Depth=2
	v_or_b32_sdwa v62, v14, s51 dst_sel:DWORD dst_unused:UNUSED_PAD src0_sel:BYTE_3 src1_sel:DWORD
; %bb.9463:                             ;   in Loop: Header=BB6_8935 Depth=2
	s_or_b64 exec, exec, s[20:21]
	v_and_b32_e32 v2, 0xff, v36
	v_cmp_ne_u16_e64 s[20:21], 0, v2
	s_and_b64 vcc, exec, s[18:19]
	s_mov_b64 s[92:93], -1
                                        ; implicit-def: $vgpr14
	s_cbranch_vccnz .LBB6_9477
; %bb.9464:                             ;   in Loop: Header=BB6_8935 Depth=2
	v_mov_b32_e32 v16, 0
	v_mov_b32_e32 v15, 0
	s_and_saveexec_b64 s[92:93], s[20:21]
	s_cbranch_execz .LBB6_9470
; %bb.9465:                             ;   in Loop: Header=BB6_8935 Depth=2
	v_cmp_ne_u16_e32 vcc, s49, v2
	v_bfrev_b32_e32 v15, 1
	s_and_saveexec_b64 s[94:95], vcc
	s_cbranch_execz .LBB6_9469
; %bb.9466:                             ;   in Loop: Header=BB6_8935 Depth=2
	v_and_b32_e32 v14, 0x7f, v36
	v_cmp_ne_u32_e32 vcc, s51, v14
	v_mov_b32_e32 v15, 0x7f800001
	s_and_saveexec_b64 s[30:31], vcc
	s_cbranch_execz .LBB6_9468
; %bb.9467:                             ;   in Loop: Header=BB6_8935 Depth=2
	v_and_b32_e32 v28, 7, v2
	v_lshrrev_b32_e32 v29, 3, v14
	v_cmp_gt_u32_e32 vcc, 8, v14
	v_ffbh_u32_e32 v14, v28
	v_min_u32_e32 v31, 32, v14
	v_subrev_u32_e32 v14, 28, v31
	v_lshlrev_b64 v[14:15], v14, v[2:3]
	v_sub_u32_e32 v15, 29, v31
	v_and_b32_e32 v14, 7, v14
	v_cndmask_b32_e32 v15, v29, v15, vcc
	v_cndmask_b32_e32 v14, v28, v14, vcc
	v_lshlrev_b32_e32 v28, 24, v36
	v_bfrev_b32_e32 v17, 60
	v_lshlrev_b32_e32 v14, 20, v14
	v_and_b32_e32 v28, 0x80000000, v28
	v_lshl_add_u32 v15, v15, 23, v17
	v_or3_b32 v15, v28, v15, v14
.LBB6_9468:                             ;   in Loop: Header=BB6_8935 Depth=2
	s_or_b64 exec, exec, s[30:31]
.LBB6_9469:                             ;   in Loop: Header=BB6_8935 Depth=2
	s_or_b64 exec, exec, s[94:95]
.LBB6_9470:                             ;   in Loop: Header=BB6_8935 Depth=2
	s_or_b64 exec, exec, s[92:93]
	v_and_b32_e32 v14, 0xff, v19
	v_cmp_ne_u16_e32 vcc, 0, v14
	s_and_saveexec_b64 s[92:93], vcc
	s_cbranch_execz .LBB6_9476
; %bb.9471:                             ;   in Loop: Header=BB6_8935 Depth=2
	v_cmp_ne_u16_e32 vcc, s49, v14
	v_bfrev_b32_e32 v16, 1
	s_and_saveexec_b64 s[94:95], vcc
	s_cbranch_execz .LBB6_9475
; %bb.9472:                             ;   in Loop: Header=BB6_8935 Depth=2
	v_and_b32_e32 v28, 0x7f, v19
	v_cmp_ne_u32_e32 vcc, s51, v28
	v_mov_b32_e32 v16, 0x7f800001
	s_and_saveexec_b64 s[30:31], vcc
	s_cbranch_execz .LBB6_9474
; %bb.9473:                             ;   in Loop: Header=BB6_8935 Depth=2
	v_and_b32_e32 v16, 7, v14
	v_lshrrev_b32_e32 v31, 3, v28
	v_cmp_gt_u32_e32 vcc, 8, v28
	v_ffbh_u32_e32 v28, v16
	v_min_u32_e32 v32, 32, v28
	v_subrev_u32_e32 v28, 28, v32
	v_lshlrev_b64 v[28:29], v28, v[14:15]
	v_sub_u32_e32 v14, 29, v32
	v_and_b32_e32 v28, 7, v28
	v_cndmask_b32_e32 v14, v31, v14, vcc
	v_cndmask_b32_e32 v16, v16, v28, vcc
	v_lshlrev_b32_e32 v28, 24, v19
	v_bfrev_b32_e32 v17, 60
	v_lshlrev_b32_e32 v16, 20, v16
	v_and_b32_e32 v28, 0x80000000, v28
	v_lshl_add_u32 v14, v14, 23, v17
	v_or3_b32 v16, v28, v14, v16
.LBB6_9474:                             ;   in Loop: Header=BB6_8935 Depth=2
	s_or_b64 exec, exec, s[30:31]
.LBB6_9475:                             ;   in Loop: Header=BB6_8935 Depth=2
	s_or_b64 exec, exec, s[94:95]
.LBB6_9476:                             ;   in Loop: Header=BB6_8935 Depth=2
	s_or_b64 exec, exec, s[92:93]
	v_max_f32_e32 v14, v16, v16
	v_max_f32_e32 v15, v15, v15
	;; [unrolled: 1-line block ×3, first 2 shown]
	s_mov_b64 s[92:93], 0
.LBB6_9477:                             ;   in Loop: Header=BB6_8935 Depth=2
	s_and_b64 vcc, exec, s[92:93]
	s_cbranch_vccz .LBB6_9491
; %bb.9478:                             ;   in Loop: Header=BB6_8935 Depth=2
	v_mov_b32_e32 v15, 0
	v_mov_b32_e32 v14, 0
	s_and_saveexec_b64 s[92:93], s[20:21]
	s_cbranch_execz .LBB6_9484
; %bb.9479:                             ;   in Loop: Header=BB6_8935 Depth=2
	v_cmp_ne_u16_e32 vcc, s49, v2
	v_bfrev_b32_e32 v14, 1
	s_and_saveexec_b64 s[20:21], vcc
	s_cbranch_execz .LBB6_9483
; %bb.9480:                             ;   in Loop: Header=BB6_8935 Depth=2
	v_and_b32_e32 v16, 0x7f, v36
	v_cmp_ne_u32_e32 vcc, s51, v16
	v_mov_b32_e32 v14, 0x7f800001
	s_and_saveexec_b64 s[94:95], vcc
	s_cbranch_execz .LBB6_9482
; %bb.9481:                             ;   in Loop: Header=BB6_8935 Depth=2
	v_and_b32_e32 v14, 7, v2
	v_lshrrev_b32_e32 v31, 3, v16
	v_cmp_gt_u32_e32 vcc, 8, v16
	v_ffbh_u32_e32 v16, v14
	v_min_u32_e32 v16, 32, v16
	v_subrev_u32_e32 v28, 28, v16
	v_lshlrev_b64 v[28:29], v28, v[2:3]
	v_sub_u32_e32 v2, 29, v16
	v_and_b32_e32 v16, 7, v28
	v_cndmask_b32_e32 v2, v31, v2, vcc
	v_cndmask_b32_e32 v14, v14, v16, vcc
	v_lshlrev_b32_e32 v16, 24, v36
	v_bfrev_b32_e32 v17, 60
	v_lshlrev_b32_e32 v14, 20, v14
	v_and_b32_e32 v16, 0x80000000, v16
	v_lshl_add_u32 v2, v2, 23, v17
	v_or3_b32 v14, v16, v2, v14
.LBB6_9482:                             ;   in Loop: Header=BB6_8935 Depth=2
	s_or_b64 exec, exec, s[94:95]
.LBB6_9483:                             ;   in Loop: Header=BB6_8935 Depth=2
	s_or_b64 exec, exec, s[20:21]
.LBB6_9484:                             ;   in Loop: Header=BB6_8935 Depth=2
	s_or_b64 exec, exec, s[92:93]
	v_and_b32_e32 v2, 0xff, v19
	v_cmp_ne_u16_e32 vcc, 0, v2
	s_and_saveexec_b64 s[20:21], vcc
	s_cbranch_execz .LBB6_9490
; %bb.9485:                             ;   in Loop: Header=BB6_8935 Depth=2
	v_cmp_ne_u16_e32 vcc, s49, v2
	v_bfrev_b32_e32 v15, 1
	s_and_saveexec_b64 s[92:93], vcc
	s_cbranch_execz .LBB6_9489
; %bb.9486:                             ;   in Loop: Header=BB6_8935 Depth=2
	v_and_b32_e32 v16, 0x7f, v19
	v_cmp_ne_u32_e32 vcc, s51, v16
	v_mov_b32_e32 v15, 0x7f800001
	s_and_saveexec_b64 s[94:95], vcc
	s_cbranch_execz .LBB6_9488
; %bb.9487:                             ;   in Loop: Header=BB6_8935 Depth=2
	v_and_b32_e32 v28, 7, v2
	v_ffbh_u32_e32 v15, v28
	v_min_u32_e32 v31, 32, v15
	v_subrev_u32_e32 v15, 28, v31
	v_lshrrev_b32_e32 v29, 3, v16
	v_cmp_gt_u32_e32 vcc, 8, v16
	v_lshlrev_b64 v[15:16], v15, v[2:3]
	v_sub_u32_e32 v2, 29, v31
	v_and_b32_e32 v15, 7, v15
	v_cndmask_b32_e32 v2, v29, v2, vcc
	v_cndmask_b32_e32 v15, v28, v15, vcc
	v_lshlrev_b32_e32 v16, 24, v19
	v_bfrev_b32_e32 v17, 60
	v_lshlrev_b32_e32 v15, 20, v15
	v_and_b32_e32 v16, 0x80000000, v16
	v_lshl_add_u32 v2, v2, 23, v17
	v_or3_b32 v15, v16, v2, v15
.LBB6_9488:                             ;   in Loop: Header=BB6_8935 Depth=2
	s_or_b64 exec, exec, s[94:95]
.LBB6_9489:                             ;   in Loop: Header=BB6_8935 Depth=2
	s_or_b64 exec, exec, s[92:93]
.LBB6_9490:                             ;   in Loop: Header=BB6_8935 Depth=2
	s_or_b64 exec, exec, s[20:21]
	v_max_f32_e32 v2, v15, v15
	v_max_f32_e32 v14, v14, v14
	v_min_f32_e32 v14, v14, v2
.LBB6_9491:                             ;   in Loop: Header=BB6_8935 Depth=2
	v_and_b32_e32 v2, 0x7f800000, v14
	v_cmp_ne_u64_e32 vcc, s[62:63], v[2:3]
                                        ; implicit-def: $vgpr19
	s_mov_b64 s[20:21], exec
	v_mov_b32_e32 v35, v60
	v_mov_b32_e32 v36, v61
	;; [unrolled: 1-line block ×3, first 2 shown]
	buffer_load_dword v38, off, s[0:3], s33 offset:164 ; 4-byte Folded Reload
	buffer_load_dword v49, off, s[0:3], s33 offset:160 ; 4-byte Folded Reload
	v_mov_b32_e32 v52, v27
	buffer_load_dword v58, off, s[0:3], s33 offset:152 ; 4-byte Folded Reload
	v_mov_b32_e32 v60, v56
	buffer_load_dword v56, off, s[0:3], s33 offset:144 ; 4-byte Folded Reload
	v_mov_b32_e32 v61, v23
	buffer_load_dword v27, off, s[0:3], s33 offset:88 ; 4-byte Folded Reload
	buffer_load_dword v6, off, s[0:3], s33 offset:124 ; 4-byte Folded Reload
	;; [unrolled: 1-line block ×5, first 2 shown]
	s_and_b64 s[94:95], s[20:21], vcc
	s_xor_b64 s[92:93], s[94:95], s[20:21]
	v_mov_b32_e32 v37, v8
	v_mov_b32_e32 v8, v33
	;; [unrolled: 1-line block ×4, first 2 shown]
	s_mov_b64 exec, s[94:95]
	s_cbranch_execz .LBB6_9509
; %bb.9492:                             ;   in Loop: Header=BB6_8935 Depth=2
	v_and_b32_e32 v2, 0x7fffffff, v14
	v_cmp_gt_u64_e32 vcc, s[72:73], v[2:3]
	v_and_b32_sdwa v28, v14, s49 dst_sel:DWORD dst_unused:UNUSED_PAD src0_sel:BYTE_3 src1_sel:DWORD
                                        ; implicit-def: $vgpr19
	s_and_saveexec_b64 s[20:21], vcc
	s_xor_b64 s[94:95], exec, s[20:21]
	s_cbranch_execz .LBB6_9506
; %bb.9493:                             ;   in Loop: Header=BB6_8935 Depth=2
	v_cmp_ne_u32_e32 vcc, 0, v14
	v_mov_b32_e32 v19, 0
	s_and_saveexec_b64 s[30:31], vcc
	s_cbranch_execz .LBB6_9505
; %bb.9494:                             ;   in Loop: Header=BB6_8935 Depth=2
	v_bfe_u32 v19, v14, 23, 8
	v_and_b32_e32 v2, 0x7fffff, v14
	v_cmp_gt_u32_e64 s[20:21], s53, v19
	v_sub_u32_e32 v14, 0x79, v19
	v_cmp_eq_u32_e32 vcc, 0, v19
	v_cndmask_b32_e64 v14, 0, v14, s[20:21]
	v_mov_b32_e32 v16, 0x78
	v_cndmask_b32_e32 v29, v14, v16, vcc
	v_or_b32_e32 v15, 0x800000, v2
	v_add_u32_e32 v14, 20, v29
	v_cndmask_b32_e32 v2, v15, v2, vcc
	v_lshlrev_b64 v[14:15], v14, -1
	v_add_u32_e32 v16, 19, v29
	v_lshlrev_b64 v[31:32], v16, 1
	v_bfi_b32 v15, v15, 0, 0
	v_bfi_b32 v14, v14, 0, v2
	v_cmp_eq_u64_e64 s[20:21], v[14:15], v[31:32]
	v_lshrrev_b64 v[14:15], v29, v[2:3]
	v_mov_b32_e32 v16, v15
	v_mov_b32_e32 v15, v14
	s_and_saveexec_b64 s[34:35], s[20:21]
; %bb.9495:                             ;   in Loop: Header=BB6_8935 Depth=2
	v_bfe_u32 v2, v14, 20, 1
	v_add_co_u32_e64 v2, s[20:21], v14, v2
	v_add_co_u32_e64 v15, s[20:21], -1, v2
; %bb.9496:                             ;   in Loop: Header=BB6_8935 Depth=2
	s_or_b64 exec, exec, s[34:35]
	v_add_u32_e32 v2, 0xffffff81, v19
	v_cndmask_b32_e32 v2, v2, v59, vcc
	v_lshrrev_b32_e32 v16, 23, v14
	v_add3_u32 v29, v29, v2, v16
	v_add_u32_e32 v19, 6, v29
	v_and_b32_e32 v2, 0xfffff, v15
	v_add_u32_e32 v2, v2, v14
	v_cmp_ne_u32_e32 vcc, 0, v19
                                        ; implicit-def: $vgpr14_vgpr15
                                        ; implicit-def: $vgpr16
	s_and_saveexec_b64 s[20:21], vcc
	s_xor_b64 s[20:21], exec, s[20:21]
; %bb.9497:                             ;   in Loop: Header=BB6_8935 Depth=2
	v_cmp_lt_u64_e32 vcc, s[74:75], v[2:3]
	v_add_u32_e32 v14, 7, v29
	v_cndmask_b32_e32 v16, v19, v14, vcc
	v_cndmask_b32_e64 v14, 0, 1, vcc
	v_lshrrev_b64 v[14:15], v14, v[2:3]
; %bb.9498:                             ;   in Loop: Header=BB6_8935 Depth=2
	s_andn2_saveexec_b64 s[20:21], s[20:21]
; %bb.9499:                             ;   in Loop: Header=BB6_8935 Depth=2
	v_mov_b32_e32 v15, v3
	v_bfe_u32 v16, v2, 23, 1
	v_mov_b32_e32 v14, v2
; %bb.9500:                             ;   in Loop: Header=BB6_8935 Depth=2
	s_or_b64 exec, exec, s[20:21]
	v_lshrrev_b64 v[14:15], 20, v[14:15]
	v_cmp_gt_i32_e32 vcc, 16, v16
	v_cndmask_b32_e32 v15, 0, v15, vcc
	v_cndmask_b32_e32 v14, 7, v14, vcc
	v_cmp_ne_u64_e32 vcc, 0, v[14:15]
	v_cmp_ne_u32_e64 s[20:21], 0, v16
	s_or_b64 s[20:21], s[20:21], vcc
                                        ; implicit-def: $vgpr19
	s_and_saveexec_b64 vcc, s[20:21]
	s_xor_b64 s[20:21], exec, vcc
; %bb.9501:                             ;   in Loop: Header=BB6_8935 Depth=2
	v_min_i32_e32 v2, 15, v16
	v_lshl_or_b32 v2, v2, 3, v28
	v_and_or_b32 v19, v14, 7, v2
                                        ; implicit-def: $vgpr28
; %bb.9502:                             ;   in Loop: Header=BB6_8935 Depth=2
	s_andn2_saveexec_b64 s[20:21], s[20:21]
; %bb.9503:                             ;   in Loop: Header=BB6_8935 Depth=2
	v_mov_b32_e32 v19, v28
; %bb.9504:                             ;   in Loop: Header=BB6_8935 Depth=2
	s_or_b64 exec, exec, s[20:21]
.LBB6_9505:                             ;   in Loop: Header=BB6_8935 Depth=2
	s_or_b64 exec, exec, s[30:31]
                                        ; implicit-def: $vgpr28
.LBB6_9506:                             ;   in Loop: Header=BB6_8935 Depth=2
	s_andn2_saveexec_b64 s[20:21], s[94:95]
; %bb.9507:                             ;   in Loop: Header=BB6_8935 Depth=2
	v_or_b32_e32 v19, 0x7e, v28
; %bb.9508:                             ;   in Loop: Header=BB6_8935 Depth=2
	s_or_b64 exec, exec, s[20:21]
                                        ; implicit-def: $vgpr14
.LBB6_9509:                             ;   in Loop: Header=BB6_8935 Depth=2
	s_andn2_saveexec_b64 s[20:21], s[92:93]
; %bb.9510:                             ;   in Loop: Header=BB6_8935 Depth=2
	v_or_b32_sdwa v19, v14, s51 dst_sel:DWORD dst_unused:UNUSED_PAD src0_sel:BYTE_3 src1_sel:DWORD
; %bb.9511:                             ;   in Loop: Header=BB6_8935 Depth=2
	s_or_b64 exec, exec, s[20:21]
	v_and_b32_e32 v2, 0xff, v26
	v_cmp_ne_u16_e64 s[20:21], 0, v2
	s_and_b64 vcc, exec, s[18:19]
	s_mov_b64 s[92:93], -1
                                        ; implicit-def: $vgpr14
	s_cbranch_vccnz .LBB6_9525
; %bb.9512:                             ;   in Loop: Header=BB6_8935 Depth=2
	v_mov_b32_e32 v16, 0
	v_mov_b32_e32 v15, 0
	s_and_saveexec_b64 s[92:93], s[20:21]
	s_cbranch_execz .LBB6_9518
; %bb.9513:                             ;   in Loop: Header=BB6_8935 Depth=2
	v_cmp_ne_u16_e32 vcc, s49, v2
	v_bfrev_b32_e32 v15, 1
	s_and_saveexec_b64 s[94:95], vcc
	s_cbranch_execz .LBB6_9517
; %bb.9514:                             ;   in Loop: Header=BB6_8935 Depth=2
	v_and_b32_e32 v14, 0x7f, v26
	v_cmp_ne_u32_e32 vcc, s51, v14
	v_mov_b32_e32 v15, 0x7f800001
	s_and_saveexec_b64 s[30:31], vcc
	s_cbranch_execz .LBB6_9516
; %bb.9515:                             ;   in Loop: Header=BB6_8935 Depth=2
	v_and_b32_e32 v28, 7, v2
	v_lshrrev_b32_e32 v29, 3, v14
	v_cmp_gt_u32_e32 vcc, 8, v14
	v_ffbh_u32_e32 v14, v28
	v_min_u32_e32 v31, 32, v14
	v_subrev_u32_e32 v14, 28, v31
	v_lshlrev_b64 v[14:15], v14, v[2:3]
	v_sub_u32_e32 v15, 29, v31
	v_and_b32_e32 v14, 7, v14
	v_cndmask_b32_e32 v15, v29, v15, vcc
	v_cndmask_b32_e32 v14, v28, v14, vcc
	v_lshlrev_b32_e32 v28, 24, v26
	v_bfrev_b32_e32 v4, 60
	v_lshlrev_b32_e32 v14, 20, v14
	v_and_b32_e32 v28, 0x80000000, v28
	v_lshl_add_u32 v15, v15, 23, v4
	v_or3_b32 v15, v28, v15, v14
.LBB6_9516:                             ;   in Loop: Header=BB6_8935 Depth=2
	s_or_b64 exec, exec, s[30:31]
.LBB6_9517:                             ;   in Loop: Header=BB6_8935 Depth=2
	s_or_b64 exec, exec, s[94:95]
.LBB6_9518:                             ;   in Loop: Header=BB6_8935 Depth=2
	s_or_b64 exec, exec, s[92:93]
	v_and_b32_e32 v14, 0xff, v57
	v_cmp_ne_u16_e32 vcc, 0, v14
	s_and_saveexec_b64 s[92:93], vcc
	s_cbranch_execz .LBB6_9524
; %bb.9519:                             ;   in Loop: Header=BB6_8935 Depth=2
	v_cmp_ne_u16_e32 vcc, s49, v14
	v_bfrev_b32_e32 v16, 1
	s_and_saveexec_b64 s[94:95], vcc
	s_cbranch_execz .LBB6_9523
; %bb.9520:                             ;   in Loop: Header=BB6_8935 Depth=2
	v_and_b32_e32 v28, 0x7f, v57
	v_cmp_ne_u32_e32 vcc, s51, v28
	v_mov_b32_e32 v16, 0x7f800001
	s_and_saveexec_b64 s[30:31], vcc
	s_cbranch_execz .LBB6_9522
; %bb.9521:                             ;   in Loop: Header=BB6_8935 Depth=2
	v_and_b32_e32 v16, 7, v14
	v_lshrrev_b32_e32 v31, 3, v28
	v_cmp_gt_u32_e32 vcc, 8, v28
	v_ffbh_u32_e32 v28, v16
	v_min_u32_e32 v32, 32, v28
	v_subrev_u32_e32 v28, 28, v32
	v_lshlrev_b64 v[28:29], v28, v[14:15]
	v_sub_u32_e32 v14, 29, v32
	v_and_b32_e32 v28, 7, v28
	v_cndmask_b32_e32 v14, v31, v14, vcc
	v_cndmask_b32_e32 v16, v16, v28, vcc
	v_lshlrev_b32_e32 v28, 24, v57
	v_bfrev_b32_e32 v4, 60
	v_lshlrev_b32_e32 v16, 20, v16
	v_and_b32_e32 v28, 0x80000000, v28
	v_lshl_add_u32 v14, v14, 23, v4
	v_or3_b32 v16, v28, v14, v16
.LBB6_9522:                             ;   in Loop: Header=BB6_8935 Depth=2
	s_or_b64 exec, exec, s[30:31]
.LBB6_9523:                             ;   in Loop: Header=BB6_8935 Depth=2
	s_or_b64 exec, exec, s[94:95]
.LBB6_9524:                             ;   in Loop: Header=BB6_8935 Depth=2
	s_or_b64 exec, exec, s[92:93]
	v_max_f32_e32 v14, v16, v16
	v_max_f32_e32 v15, v15, v15
	;; [unrolled: 1-line block ×3, first 2 shown]
	s_mov_b64 s[92:93], 0
.LBB6_9525:                             ;   in Loop: Header=BB6_8935 Depth=2
	s_and_b64 vcc, exec, s[92:93]
	s_cbranch_vccz .LBB6_9539
; %bb.9526:                             ;   in Loop: Header=BB6_8935 Depth=2
	v_mov_b32_e32 v15, 0
	v_mov_b32_e32 v14, 0
	s_and_saveexec_b64 s[92:93], s[20:21]
	s_cbranch_execz .LBB6_9532
; %bb.9527:                             ;   in Loop: Header=BB6_8935 Depth=2
	v_cmp_ne_u16_e32 vcc, s49, v2
	v_bfrev_b32_e32 v14, 1
	s_and_saveexec_b64 s[20:21], vcc
	s_cbranch_execz .LBB6_9531
; %bb.9528:                             ;   in Loop: Header=BB6_8935 Depth=2
	v_and_b32_e32 v16, 0x7f, v26
	v_cmp_ne_u32_e32 vcc, s51, v16
	v_mov_b32_e32 v14, 0x7f800001
	s_and_saveexec_b64 s[94:95], vcc
	s_cbranch_execz .LBB6_9530
; %bb.9529:                             ;   in Loop: Header=BB6_8935 Depth=2
	v_and_b32_e32 v14, 7, v2
	v_lshrrev_b32_e32 v31, 3, v16
	v_cmp_gt_u32_e32 vcc, 8, v16
	v_ffbh_u32_e32 v16, v14
	v_min_u32_e32 v16, 32, v16
	v_subrev_u32_e32 v28, 28, v16
	v_lshlrev_b64 v[28:29], v28, v[2:3]
	v_sub_u32_e32 v2, 29, v16
	v_and_b32_e32 v16, 7, v28
	v_cndmask_b32_e32 v2, v31, v2, vcc
	v_cndmask_b32_e32 v14, v14, v16, vcc
	v_lshlrev_b32_e32 v16, 24, v26
	v_bfrev_b32_e32 v4, 60
	v_lshlrev_b32_e32 v14, 20, v14
	v_and_b32_e32 v16, 0x80000000, v16
	v_lshl_add_u32 v2, v2, 23, v4
	v_or3_b32 v14, v16, v2, v14
.LBB6_9530:                             ;   in Loop: Header=BB6_8935 Depth=2
	s_or_b64 exec, exec, s[94:95]
.LBB6_9531:                             ;   in Loop: Header=BB6_8935 Depth=2
	s_or_b64 exec, exec, s[20:21]
.LBB6_9532:                             ;   in Loop: Header=BB6_8935 Depth=2
	s_or_b64 exec, exec, s[92:93]
	v_and_b32_e32 v2, 0xff, v57
	v_cmp_ne_u16_e32 vcc, 0, v2
	s_and_saveexec_b64 s[20:21], vcc
	s_cbranch_execz .LBB6_9538
; %bb.9533:                             ;   in Loop: Header=BB6_8935 Depth=2
	v_cmp_ne_u16_e32 vcc, s49, v2
	v_bfrev_b32_e32 v15, 1
	s_and_saveexec_b64 s[92:93], vcc
	s_cbranch_execz .LBB6_9537
; %bb.9534:                             ;   in Loop: Header=BB6_8935 Depth=2
	v_and_b32_e32 v16, 0x7f, v57
	v_cmp_ne_u32_e32 vcc, s51, v16
	v_mov_b32_e32 v15, 0x7f800001
	s_and_saveexec_b64 s[94:95], vcc
	s_cbranch_execz .LBB6_9536
; %bb.9535:                             ;   in Loop: Header=BB6_8935 Depth=2
	v_and_b32_e32 v26, 7, v2
	v_ffbh_u32_e32 v15, v26
	v_min_u32_e32 v29, 32, v15
	v_subrev_u32_e32 v15, 28, v29
	v_lshrrev_b32_e32 v28, 3, v16
	v_cmp_gt_u32_e32 vcc, 8, v16
	v_lshlrev_b64 v[15:16], v15, v[2:3]
	v_sub_u32_e32 v2, 29, v29
	v_and_b32_e32 v15, 7, v15
	v_cndmask_b32_e32 v2, v28, v2, vcc
	v_cndmask_b32_e32 v15, v26, v15, vcc
	v_lshlrev_b32_e32 v16, 24, v57
	v_bfrev_b32_e32 v4, 60
	v_lshlrev_b32_e32 v15, 20, v15
	v_and_b32_e32 v16, 0x80000000, v16
	v_lshl_add_u32 v2, v2, 23, v4
	v_or3_b32 v15, v16, v2, v15
.LBB6_9536:                             ;   in Loop: Header=BB6_8935 Depth=2
	s_or_b64 exec, exec, s[94:95]
.LBB6_9537:                             ;   in Loop: Header=BB6_8935 Depth=2
	s_or_b64 exec, exec, s[92:93]
.LBB6_9538:                             ;   in Loop: Header=BB6_8935 Depth=2
	s_or_b64 exec, exec, s[20:21]
	v_max_f32_e32 v2, v15, v15
	v_max_f32_e32 v14, v14, v14
	v_min_f32_e32 v14, v14, v2
.LBB6_9539:                             ;   in Loop: Header=BB6_8935 Depth=2
	v_and_b32_e32 v2, 0x7f800000, v14
	v_cmp_ne_u64_e32 vcc, s[62:63], v[2:3]
                                        ; implicit-def: $vgpr57
	s_and_saveexec_b64 s[20:21], vcc
	s_xor_b64 s[92:93], exec, s[20:21]
	s_cbranch_execz .LBB6_9557
; %bb.9540:                             ;   in Loop: Header=BB6_8935 Depth=2
	v_and_b32_e32 v2, 0x7fffffff, v14
	v_cmp_gt_u64_e32 vcc, s[72:73], v[2:3]
	v_and_b32_sdwa v26, v14, s49 dst_sel:DWORD dst_unused:UNUSED_PAD src0_sel:BYTE_3 src1_sel:DWORD
                                        ; implicit-def: $vgpr57
	s_and_saveexec_b64 s[20:21], vcc
	s_xor_b64 s[94:95], exec, s[20:21]
	s_cbranch_execz .LBB6_9554
; %bb.9541:                             ;   in Loop: Header=BB6_8935 Depth=2
	v_cmp_ne_u32_e32 vcc, 0, v14
	v_mov_b32_e32 v57, 0
	s_and_saveexec_b64 s[30:31], vcc
	s_cbranch_execz .LBB6_9553
; %bb.9542:                             ;   in Loop: Header=BB6_8935 Depth=2
	v_bfe_u32 v28, v14, 23, 8
	v_and_b32_e32 v2, 0x7fffff, v14
	v_cmp_gt_u32_e64 s[20:21], s53, v28
	v_sub_u32_e32 v14, 0x79, v28
	v_cmp_eq_u32_e32 vcc, 0, v28
	v_cndmask_b32_e64 v14, 0, v14, s[20:21]
	v_mov_b32_e32 v16, 0x78
	v_cndmask_b32_e32 v29, v14, v16, vcc
	v_or_b32_e32 v15, 0x800000, v2
	v_add_u32_e32 v14, 20, v29
	v_cndmask_b32_e32 v2, v15, v2, vcc
	v_lshlrev_b64 v[14:15], v14, -1
	v_add_u32_e32 v16, 19, v29
	v_lshlrev_b64 v[31:32], v16, 1
	v_bfi_b32 v15, v15, 0, 0
	v_bfi_b32 v14, v14, 0, v2
	v_cmp_eq_u64_e64 s[20:21], v[14:15], v[31:32]
	v_lshrrev_b64 v[14:15], v29, v[2:3]
	v_mov_b32_e32 v16, v15
	v_mov_b32_e32 v15, v14
	s_and_saveexec_b64 s[34:35], s[20:21]
; %bb.9543:                             ;   in Loop: Header=BB6_8935 Depth=2
	v_bfe_u32 v2, v14, 20, 1
	v_add_co_u32_e64 v2, s[20:21], v14, v2
	v_add_co_u32_e64 v15, s[20:21], -1, v2
; %bb.9544:                             ;   in Loop: Header=BB6_8935 Depth=2
	s_or_b64 exec, exec, s[34:35]
	v_add_u32_e32 v2, 0xffffff81, v28
	v_cndmask_b32_e32 v2, v2, v59, vcc
	v_lshrrev_b32_e32 v16, 23, v14
	v_add3_u32 v29, v29, v2, v16
	v_add_u32_e32 v28, 6, v29
	v_and_b32_e32 v2, 0xfffff, v15
	v_add_u32_e32 v2, v2, v14
	v_cmp_ne_u32_e32 vcc, 0, v28
                                        ; implicit-def: $vgpr14_vgpr15
                                        ; implicit-def: $vgpr16
	s_and_saveexec_b64 s[20:21], vcc
	s_xor_b64 s[20:21], exec, s[20:21]
; %bb.9545:                             ;   in Loop: Header=BB6_8935 Depth=2
	v_cmp_lt_u64_e32 vcc, s[74:75], v[2:3]
	v_add_u32_e32 v14, 7, v29
	v_cndmask_b32_e32 v16, v28, v14, vcc
	v_cndmask_b32_e64 v14, 0, 1, vcc
	v_lshrrev_b64 v[14:15], v14, v[2:3]
; %bb.9546:                             ;   in Loop: Header=BB6_8935 Depth=2
	s_andn2_saveexec_b64 s[20:21], s[20:21]
; %bb.9547:                             ;   in Loop: Header=BB6_8935 Depth=2
	v_mov_b32_e32 v15, v3
	v_bfe_u32 v16, v2, 23, 1
	v_mov_b32_e32 v14, v2
; %bb.9548:                             ;   in Loop: Header=BB6_8935 Depth=2
	s_or_b64 exec, exec, s[20:21]
	v_lshrrev_b64 v[14:15], 20, v[14:15]
	v_cmp_gt_i32_e32 vcc, 16, v16
	v_cndmask_b32_e32 v15, 0, v15, vcc
	v_cndmask_b32_e32 v14, 7, v14, vcc
	v_cmp_ne_u64_e32 vcc, 0, v[14:15]
	v_cmp_ne_u32_e64 s[20:21], 0, v16
	s_or_b64 s[20:21], s[20:21], vcc
                                        ; implicit-def: $vgpr57
	s_and_saveexec_b64 vcc, s[20:21]
	s_xor_b64 s[20:21], exec, vcc
; %bb.9549:                             ;   in Loop: Header=BB6_8935 Depth=2
	v_min_i32_e32 v2, 15, v16
	v_lshl_or_b32 v2, v2, 3, v26
	v_and_or_b32 v57, v14, 7, v2
                                        ; implicit-def: $vgpr26
; %bb.9550:                             ;   in Loop: Header=BB6_8935 Depth=2
	s_andn2_saveexec_b64 s[20:21], s[20:21]
; %bb.9551:                             ;   in Loop: Header=BB6_8935 Depth=2
	v_mov_b32_e32 v57, v26
; %bb.9552:                             ;   in Loop: Header=BB6_8935 Depth=2
	s_or_b64 exec, exec, s[20:21]
.LBB6_9553:                             ;   in Loop: Header=BB6_8935 Depth=2
	s_or_b64 exec, exec, s[30:31]
                                        ; implicit-def: $vgpr26
.LBB6_9554:                             ;   in Loop: Header=BB6_8935 Depth=2
	s_andn2_saveexec_b64 s[20:21], s[94:95]
; %bb.9555:                             ;   in Loop: Header=BB6_8935 Depth=2
	v_or_b32_e32 v57, 0x7e, v26
; %bb.9556:                             ;   in Loop: Header=BB6_8935 Depth=2
	s_or_b64 exec, exec, s[20:21]
                                        ; implicit-def: $vgpr14
.LBB6_9557:                             ;   in Loop: Header=BB6_8935 Depth=2
	s_andn2_saveexec_b64 s[20:21], s[92:93]
; %bb.9558:                             ;   in Loop: Header=BB6_8935 Depth=2
	v_or_b32_sdwa v57, v14, s51 dst_sel:DWORD dst_unused:UNUSED_PAD src0_sel:BYTE_3 src1_sel:DWORD
; %bb.9559:                             ;   in Loop: Header=BB6_8935 Depth=2
	s_or_b64 exec, exec, s[20:21]
	v_and_b32_e32 v2, 0xff, v25
	v_cmp_ne_u16_e64 s[20:21], 0, v2
	s_and_b64 vcc, exec, s[18:19]
	s_mov_b64 s[92:93], -1
                                        ; implicit-def: $vgpr14
	s_cbranch_vccnz .LBB6_9573
; %bb.9560:                             ;   in Loop: Header=BB6_8935 Depth=2
	v_mov_b32_e32 v16, 0
	v_mov_b32_e32 v15, 0
	s_and_saveexec_b64 s[92:93], s[20:21]
	s_cbranch_execz .LBB6_9566
; %bb.9561:                             ;   in Loop: Header=BB6_8935 Depth=2
	v_cmp_ne_u16_e32 vcc, s49, v2
	v_bfrev_b32_e32 v15, 1
	s_and_saveexec_b64 s[94:95], vcc
	s_cbranch_execz .LBB6_9565
; %bb.9562:                             ;   in Loop: Header=BB6_8935 Depth=2
	v_and_b32_e32 v14, 0x7f, v25
	v_cmp_ne_u32_e32 vcc, s51, v14
	v_mov_b32_e32 v15, 0x7f800001
	s_and_saveexec_b64 s[30:31], vcc
	s_cbranch_execz .LBB6_9564
; %bb.9563:                             ;   in Loop: Header=BB6_8935 Depth=2
	v_and_b32_e32 v26, 7, v2
	v_lshrrev_b32_e32 v28, 3, v14
	v_cmp_gt_u32_e32 vcc, 8, v14
	v_ffbh_u32_e32 v14, v26
	v_min_u32_e32 v29, 32, v14
	v_subrev_u32_e32 v14, 28, v29
	v_lshlrev_b64 v[14:15], v14, v[2:3]
	v_sub_u32_e32 v15, 29, v29
	v_and_b32_e32 v14, 7, v14
	v_cndmask_b32_e32 v15, v28, v15, vcc
	v_cndmask_b32_e32 v14, v26, v14, vcc
	v_lshlrev_b32_e32 v26, 24, v25
	v_bfrev_b32_e32 v4, 60
	v_lshlrev_b32_e32 v14, 20, v14
	v_and_b32_e32 v26, 0x80000000, v26
	v_lshl_add_u32 v15, v15, 23, v4
	v_or3_b32 v15, v26, v15, v14
.LBB6_9564:                             ;   in Loop: Header=BB6_8935 Depth=2
	s_or_b64 exec, exec, s[30:31]
.LBB6_9565:                             ;   in Loop: Header=BB6_8935 Depth=2
	s_or_b64 exec, exec, s[94:95]
.LBB6_9566:                             ;   in Loop: Header=BB6_8935 Depth=2
	s_or_b64 exec, exec, s[92:93]
	v_and_b32_e32 v14, 0xff, v7
	v_cmp_ne_u16_e32 vcc, 0, v14
	s_and_saveexec_b64 s[92:93], vcc
	s_cbranch_execz .LBB6_9572
; %bb.9567:                             ;   in Loop: Header=BB6_8935 Depth=2
	v_cmp_ne_u16_e32 vcc, s49, v14
	v_bfrev_b32_e32 v16, 1
	s_and_saveexec_b64 s[94:95], vcc
	s_cbranch_execz .LBB6_9571
; %bb.9568:                             ;   in Loop: Header=BB6_8935 Depth=2
	v_and_b32_e32 v26, 0x7f, v7
	v_cmp_ne_u32_e32 vcc, s51, v26
	v_mov_b32_e32 v16, 0x7f800001
	s_and_saveexec_b64 s[30:31], vcc
	s_cbranch_execz .LBB6_9570
; %bb.9569:                             ;   in Loop: Header=BB6_8935 Depth=2
	v_and_b32_e32 v16, 7, v14
	v_lshrrev_b32_e32 v31, 3, v26
	v_cmp_gt_u32_e32 vcc, 8, v26
	v_ffbh_u32_e32 v26, v16
	v_min_u32_e32 v26, 32, v26
	v_subrev_u32_e32 v28, 28, v26
	v_lshlrev_b64 v[28:29], v28, v[14:15]
	v_sub_u32_e32 v14, 29, v26
	v_and_b32_e32 v26, 7, v28
	v_cndmask_b32_e32 v14, v31, v14, vcc
	v_cndmask_b32_e32 v16, v16, v26, vcc
	v_lshlrev_b32_e32 v26, 24, v7
	v_bfrev_b32_e32 v4, 60
	v_lshlrev_b32_e32 v16, 20, v16
	v_and_b32_e32 v26, 0x80000000, v26
	v_lshl_add_u32 v14, v14, 23, v4
	v_or3_b32 v16, v26, v14, v16
.LBB6_9570:                             ;   in Loop: Header=BB6_8935 Depth=2
	s_or_b64 exec, exec, s[30:31]
.LBB6_9571:                             ;   in Loop: Header=BB6_8935 Depth=2
	s_or_b64 exec, exec, s[94:95]
.LBB6_9572:                             ;   in Loop: Header=BB6_8935 Depth=2
	s_or_b64 exec, exec, s[92:93]
	v_max_f32_e32 v14, v16, v16
	v_max_f32_e32 v15, v15, v15
	v_max_f32_e32 v14, v15, v14
	s_mov_b64 s[92:93], 0
.LBB6_9573:                             ;   in Loop: Header=BB6_8935 Depth=2
	s_and_b64 vcc, exec, s[92:93]
	s_cbranch_vccz .LBB6_9587
; %bb.9574:                             ;   in Loop: Header=BB6_8935 Depth=2
	v_mov_b32_e32 v15, 0
	v_mov_b32_e32 v14, 0
	s_and_saveexec_b64 s[92:93], s[20:21]
	s_cbranch_execz .LBB6_9580
; %bb.9575:                             ;   in Loop: Header=BB6_8935 Depth=2
	v_cmp_ne_u16_e32 vcc, s49, v2
	v_bfrev_b32_e32 v14, 1
	s_and_saveexec_b64 s[20:21], vcc
	s_cbranch_execz .LBB6_9579
; %bb.9576:                             ;   in Loop: Header=BB6_8935 Depth=2
	v_and_b32_e32 v16, 0x7f, v25
	v_cmp_ne_u32_e32 vcc, s51, v16
	v_mov_b32_e32 v14, 0x7f800001
	s_and_saveexec_b64 s[94:95], vcc
	s_cbranch_execz .LBB6_9578
; %bb.9577:                             ;   in Loop: Header=BB6_8935 Depth=2
	v_and_b32_e32 v14, 7, v2
	v_lshrrev_b32_e32 v26, 3, v16
	v_cmp_gt_u32_e32 vcc, 8, v16
	v_ffbh_u32_e32 v16, v14
	v_min_u32_e32 v16, 32, v16
	v_subrev_u32_e32 v28, 28, v16
	v_lshlrev_b64 v[28:29], v28, v[2:3]
	v_sub_u32_e32 v2, 29, v16
	v_and_b32_e32 v16, 7, v28
	v_cndmask_b32_e32 v2, v26, v2, vcc
	v_cndmask_b32_e32 v14, v14, v16, vcc
	v_lshlrev_b32_e32 v16, 24, v25
	v_bfrev_b32_e32 v4, 60
	v_lshlrev_b32_e32 v14, 20, v14
	v_and_b32_e32 v16, 0x80000000, v16
	v_lshl_add_u32 v2, v2, 23, v4
	v_or3_b32 v14, v16, v2, v14
.LBB6_9578:                             ;   in Loop: Header=BB6_8935 Depth=2
	s_or_b64 exec, exec, s[94:95]
.LBB6_9579:                             ;   in Loop: Header=BB6_8935 Depth=2
	s_or_b64 exec, exec, s[20:21]
.LBB6_9580:                             ;   in Loop: Header=BB6_8935 Depth=2
	s_or_b64 exec, exec, s[92:93]
	v_and_b32_e32 v2, 0xff, v7
	v_cmp_ne_u16_e32 vcc, 0, v2
	s_and_saveexec_b64 s[20:21], vcc
	s_cbranch_execz .LBB6_9586
; %bb.9581:                             ;   in Loop: Header=BB6_8935 Depth=2
	v_cmp_ne_u16_e32 vcc, s49, v2
	v_bfrev_b32_e32 v15, 1
	s_and_saveexec_b64 s[92:93], vcc
	s_cbranch_execz .LBB6_9585
; %bb.9582:                             ;   in Loop: Header=BB6_8935 Depth=2
	v_and_b32_e32 v16, 0x7f, v7
	v_cmp_ne_u32_e32 vcc, s51, v16
	v_mov_b32_e32 v15, 0x7f800001
	s_and_saveexec_b64 s[94:95], vcc
	s_cbranch_execz .LBB6_9584
; %bb.9583:                             ;   in Loop: Header=BB6_8935 Depth=2
	v_and_b32_e32 v25, 7, v2
	v_ffbh_u32_e32 v15, v25
	v_min_u32_e32 v28, 32, v15
	v_subrev_u32_e32 v15, 28, v28
	v_lshrrev_b32_e32 v26, 3, v16
	v_cmp_gt_u32_e32 vcc, 8, v16
	v_lshlrev_b64 v[15:16], v15, v[2:3]
	v_sub_u32_e32 v2, 29, v28
	v_and_b32_e32 v15, 7, v15
	v_cndmask_b32_e32 v2, v26, v2, vcc
	v_cndmask_b32_e32 v15, v25, v15, vcc
	v_lshlrev_b32_e32 v7, 24, v7
	v_bfrev_b32_e32 v4, 60
	v_lshlrev_b32_e32 v15, 20, v15
	v_and_b32_e32 v7, 0x80000000, v7
	v_lshl_add_u32 v2, v2, 23, v4
	v_or3_b32 v15, v7, v2, v15
.LBB6_9584:                             ;   in Loop: Header=BB6_8935 Depth=2
	s_or_b64 exec, exec, s[94:95]
.LBB6_9585:                             ;   in Loop: Header=BB6_8935 Depth=2
	s_or_b64 exec, exec, s[92:93]
.LBB6_9586:                             ;   in Loop: Header=BB6_8935 Depth=2
	s_or_b64 exec, exec, s[20:21]
	v_max_f32_e32 v2, v15, v15
	v_max_f32_e32 v7, v14, v14
	v_min_f32_e32 v14, v7, v2
.LBB6_9587:                             ;   in Loop: Header=BB6_8935 Depth=2
	v_and_b32_e32 v2, 0x7f800000, v14
	v_cmp_ne_u64_e32 vcc, s[62:63], v[2:3]
                                        ; implicit-def: $vgpr7
	s_and_saveexec_b64 s[20:21], vcc
	s_xor_b64 s[92:93], exec, s[20:21]
	s_cbranch_execz .LBB6_9605
; %bb.9588:                             ;   in Loop: Header=BB6_8935 Depth=2
	v_and_b32_e32 v2, 0x7fffffff, v14
	v_cmp_gt_u64_e32 vcc, s[72:73], v[2:3]
	v_and_b32_sdwa v25, v14, s49 dst_sel:DWORD dst_unused:UNUSED_PAD src0_sel:BYTE_3 src1_sel:DWORD
                                        ; implicit-def: $vgpr7
	s_and_saveexec_b64 s[20:21], vcc
	s_xor_b64 s[94:95], exec, s[20:21]
	s_cbranch_execz .LBB6_9602
; %bb.9589:                             ;   in Loop: Header=BB6_8935 Depth=2
	v_cmp_ne_u32_e32 vcc, 0, v14
	v_mov_b32_e32 v7, 0
	s_and_saveexec_b64 s[30:31], vcc
	s_cbranch_execz .LBB6_9601
; %bb.9590:                             ;   in Loop: Header=BB6_8935 Depth=2
	v_bfe_u32 v7, v14, 23, 8
	v_and_b32_e32 v2, 0x7fffff, v14
	v_cmp_gt_u32_e64 s[20:21], s53, v7
	v_sub_u32_e32 v14, 0x79, v7
	v_cmp_eq_u32_e32 vcc, 0, v7
	v_cndmask_b32_e64 v14, 0, v14, s[20:21]
	v_mov_b32_e32 v16, 0x78
	v_cndmask_b32_e32 v26, v14, v16, vcc
	v_or_b32_e32 v15, 0x800000, v2
	v_add_u32_e32 v14, 20, v26
	v_cndmask_b32_e32 v2, v15, v2, vcc
	v_lshlrev_b64 v[14:15], v14, -1
	v_add_u32_e32 v16, 19, v26
	v_lshlrev_b64 v[28:29], v16, 1
	v_bfi_b32 v15, v15, 0, 0
	v_bfi_b32 v14, v14, 0, v2
	v_cmp_eq_u64_e64 s[20:21], v[14:15], v[28:29]
	v_lshrrev_b64 v[14:15], v26, v[2:3]
	v_mov_b32_e32 v16, v15
	v_mov_b32_e32 v15, v14
	s_and_saveexec_b64 s[34:35], s[20:21]
; %bb.9591:                             ;   in Loop: Header=BB6_8935 Depth=2
	v_bfe_u32 v2, v14, 20, 1
	v_add_co_u32_e64 v2, s[20:21], v14, v2
	v_add_co_u32_e64 v15, s[20:21], -1, v2
; %bb.9592:                             ;   in Loop: Header=BB6_8935 Depth=2
	s_or_b64 exec, exec, s[34:35]
	v_add_u32_e32 v2, 0xffffff81, v7
	v_cndmask_b32_e32 v2, v2, v59, vcc
	v_lshrrev_b32_e32 v7, 23, v14
	v_add3_u32 v26, v26, v2, v7
	v_add_u32_e32 v7, 6, v26
	v_and_b32_e32 v2, 0xfffff, v15
	v_add_u32_e32 v2, v2, v14
	v_cmp_ne_u32_e32 vcc, 0, v7
                                        ; implicit-def: $vgpr14_vgpr15
                                        ; implicit-def: $vgpr16
	s_and_saveexec_b64 s[20:21], vcc
	s_xor_b64 s[20:21], exec, s[20:21]
; %bb.9593:                             ;   in Loop: Header=BB6_8935 Depth=2
	v_cmp_lt_u64_e32 vcc, s[74:75], v[2:3]
	v_add_u32_e32 v14, 7, v26
	v_cndmask_b32_e32 v16, v7, v14, vcc
	v_cndmask_b32_e64 v7, 0, 1, vcc
	v_lshrrev_b64 v[14:15], v7, v[2:3]
; %bb.9594:                             ;   in Loop: Header=BB6_8935 Depth=2
	s_andn2_saveexec_b64 s[20:21], s[20:21]
; %bb.9595:                             ;   in Loop: Header=BB6_8935 Depth=2
	v_mov_b32_e32 v15, v3
	v_bfe_u32 v16, v2, 23, 1
	v_mov_b32_e32 v14, v2
; %bb.9596:                             ;   in Loop: Header=BB6_8935 Depth=2
	s_or_b64 exec, exec, s[20:21]
	v_lshrrev_b64 v[14:15], 20, v[14:15]
	v_cmp_gt_i32_e32 vcc, 16, v16
	v_cndmask_b32_e32 v15, 0, v15, vcc
	v_cndmask_b32_e32 v14, 7, v14, vcc
	v_cmp_ne_u64_e32 vcc, 0, v[14:15]
	v_cmp_ne_u32_e64 s[20:21], 0, v16
	s_or_b64 s[20:21], s[20:21], vcc
                                        ; implicit-def: $vgpr7
	s_and_saveexec_b64 vcc, s[20:21]
	s_xor_b64 s[20:21], exec, vcc
; %bb.9597:                             ;   in Loop: Header=BB6_8935 Depth=2
	v_min_i32_e32 v2, 15, v16
	v_lshl_or_b32 v2, v2, 3, v25
	v_and_or_b32 v7, v14, 7, v2
                                        ; implicit-def: $vgpr25
; %bb.9598:                             ;   in Loop: Header=BB6_8935 Depth=2
	s_andn2_saveexec_b64 s[20:21], s[20:21]
; %bb.9599:                             ;   in Loop: Header=BB6_8935 Depth=2
	v_mov_b32_e32 v7, v25
; %bb.9600:                             ;   in Loop: Header=BB6_8935 Depth=2
	s_or_b64 exec, exec, s[20:21]
.LBB6_9601:                             ;   in Loop: Header=BB6_8935 Depth=2
	s_or_b64 exec, exec, s[30:31]
                                        ; implicit-def: $vgpr25
.LBB6_9602:                             ;   in Loop: Header=BB6_8935 Depth=2
	s_andn2_saveexec_b64 s[20:21], s[94:95]
; %bb.9603:                             ;   in Loop: Header=BB6_8935 Depth=2
	v_or_b32_e32 v7, 0x7e, v25
; %bb.9604:                             ;   in Loop: Header=BB6_8935 Depth=2
	s_or_b64 exec, exec, s[20:21]
                                        ; implicit-def: $vgpr14
.LBB6_9605:                             ;   in Loop: Header=BB6_8935 Depth=2
	s_andn2_saveexec_b64 s[20:21], s[92:93]
; %bb.9606:                             ;   in Loop: Header=BB6_8935 Depth=2
	v_or_b32_sdwa v7, v14, s51 dst_sel:DWORD dst_unused:UNUSED_PAD src0_sel:BYTE_3 src1_sel:DWORD
; %bb.9607:                             ;   in Loop: Header=BB6_8935 Depth=2
	s_or_b64 exec, exec, s[20:21]
	v_and_b32_e32 v2, 0xff, v5
	v_cmp_ne_u16_e64 s[20:21], 0, v2
	s_and_b64 vcc, exec, s[18:19]
	s_mov_b64 s[92:93], -1
                                        ; implicit-def: $vgpr14
	s_cbranch_vccnz .LBB6_9621
; %bb.9608:                             ;   in Loop: Header=BB6_8935 Depth=2
	v_mov_b32_e32 v16, 0
	v_mov_b32_e32 v15, 0
	s_and_saveexec_b64 s[92:93], s[20:21]
	s_cbranch_execz .LBB6_9614
; %bb.9609:                             ;   in Loop: Header=BB6_8935 Depth=2
	v_cmp_ne_u16_e32 vcc, s49, v2
	v_bfrev_b32_e32 v15, 1
	s_and_saveexec_b64 s[94:95], vcc
	s_cbranch_execz .LBB6_9613
; %bb.9610:                             ;   in Loop: Header=BB6_8935 Depth=2
	v_and_b32_e32 v14, 0x7f, v5
	v_cmp_ne_u32_e32 vcc, s51, v14
	v_mov_b32_e32 v15, 0x7f800001
	s_and_saveexec_b64 s[30:31], vcc
	s_cbranch_execz .LBB6_9612
; %bb.9611:                             ;   in Loop: Header=BB6_8935 Depth=2
	v_and_b32_e32 v25, 7, v2
	v_lshrrev_b32_e32 v26, 3, v14
	v_cmp_gt_u32_e32 vcc, 8, v14
	v_ffbh_u32_e32 v14, v25
	v_min_u32_e32 v28, 32, v14
	v_subrev_u32_e32 v14, 28, v28
	v_lshlrev_b64 v[14:15], v14, v[2:3]
	v_sub_u32_e32 v15, 29, v28
	v_and_b32_e32 v14, 7, v14
	v_cndmask_b32_e32 v15, v26, v15, vcc
	v_cndmask_b32_e32 v14, v25, v14, vcc
	v_lshlrev_b32_e32 v25, 24, v5
	v_bfrev_b32_e32 v4, 60
	v_lshlrev_b32_e32 v14, 20, v14
	v_and_b32_e32 v25, 0x80000000, v25
	v_lshl_add_u32 v15, v15, 23, v4
	v_or3_b32 v15, v25, v15, v14
.LBB6_9612:                             ;   in Loop: Header=BB6_8935 Depth=2
	s_or_b64 exec, exec, s[30:31]
.LBB6_9613:                             ;   in Loop: Header=BB6_8935 Depth=2
	s_or_b64 exec, exec, s[94:95]
.LBB6_9614:                             ;   in Loop: Header=BB6_8935 Depth=2
	s_or_b64 exec, exec, s[92:93]
	v_and_b32_e32 v14, 0xff, v24
	v_cmp_ne_u16_e32 vcc, 0, v14
	s_and_saveexec_b64 s[92:93], vcc
	s_cbranch_execz .LBB6_9620
; %bb.9615:                             ;   in Loop: Header=BB6_8935 Depth=2
	v_cmp_ne_u16_e32 vcc, s49, v14
	v_bfrev_b32_e32 v16, 1
	s_and_saveexec_b64 s[94:95], vcc
	s_cbranch_execz .LBB6_9619
; %bb.9616:                             ;   in Loop: Header=BB6_8935 Depth=2
	v_and_b32_e32 v25, 0x7f, v24
	v_cmp_ne_u32_e32 vcc, s51, v25
	v_mov_b32_e32 v16, 0x7f800001
	s_and_saveexec_b64 s[30:31], vcc
	s_cbranch_execz .LBB6_9618
; %bb.9617:                             ;   in Loop: Header=BB6_8935 Depth=2
	v_and_b32_e32 v16, 7, v14
	v_lshrrev_b32_e32 v28, 3, v25
	v_cmp_gt_u32_e32 vcc, 8, v25
	v_ffbh_u32_e32 v25, v16
	v_min_u32_e32 v29, 32, v25
	v_subrev_u32_e32 v25, 28, v29
	v_lshlrev_b64 v[25:26], v25, v[14:15]
	v_sub_u32_e32 v14, 29, v29
	v_and_b32_e32 v25, 7, v25
	v_cndmask_b32_e32 v14, v28, v14, vcc
	v_cndmask_b32_e32 v16, v16, v25, vcc
	v_lshlrev_b32_e32 v25, 24, v24
	v_bfrev_b32_e32 v4, 60
	v_lshlrev_b32_e32 v16, 20, v16
	v_and_b32_e32 v25, 0x80000000, v25
	v_lshl_add_u32 v14, v14, 23, v4
	v_or3_b32 v16, v25, v14, v16
.LBB6_9618:                             ;   in Loop: Header=BB6_8935 Depth=2
	s_or_b64 exec, exec, s[30:31]
.LBB6_9619:                             ;   in Loop: Header=BB6_8935 Depth=2
	s_or_b64 exec, exec, s[94:95]
.LBB6_9620:                             ;   in Loop: Header=BB6_8935 Depth=2
	s_or_b64 exec, exec, s[92:93]
	v_max_f32_e32 v14, v16, v16
	v_max_f32_e32 v15, v15, v15
	;; [unrolled: 1-line block ×3, first 2 shown]
	s_mov_b64 s[92:93], 0
.LBB6_9621:                             ;   in Loop: Header=BB6_8935 Depth=2
	s_and_b64 vcc, exec, s[92:93]
	s_cbranch_vccz .LBB6_9635
; %bb.9622:                             ;   in Loop: Header=BB6_8935 Depth=2
	v_mov_b32_e32 v15, 0
	v_mov_b32_e32 v14, 0
	s_and_saveexec_b64 s[92:93], s[20:21]
	s_cbranch_execz .LBB6_9628
; %bb.9623:                             ;   in Loop: Header=BB6_8935 Depth=2
	v_cmp_ne_u16_e32 vcc, s49, v2
	v_bfrev_b32_e32 v14, 1
	s_and_saveexec_b64 s[20:21], vcc
	s_cbranch_execz .LBB6_9627
; %bb.9624:                             ;   in Loop: Header=BB6_8935 Depth=2
	v_and_b32_e32 v16, 0x7f, v5
	v_cmp_ne_u32_e32 vcc, s51, v16
	v_mov_b32_e32 v14, 0x7f800001
	s_and_saveexec_b64 s[94:95], vcc
	s_cbranch_execz .LBB6_9626
; %bb.9625:                             ;   in Loop: Header=BB6_8935 Depth=2
	v_and_b32_e32 v14, 7, v2
	v_lshrrev_b32_e32 v28, 3, v16
	v_cmp_gt_u32_e32 vcc, 8, v16
	v_ffbh_u32_e32 v16, v14
	v_min_u32_e32 v16, 32, v16
	v_subrev_u32_e32 v25, 28, v16
	v_lshlrev_b64 v[25:26], v25, v[2:3]
	v_sub_u32_e32 v2, 29, v16
	v_and_b32_e32 v16, 7, v25
	v_cndmask_b32_e32 v2, v28, v2, vcc
	v_cndmask_b32_e32 v14, v14, v16, vcc
	v_lshlrev_b32_e32 v16, 24, v5
	v_bfrev_b32_e32 v4, 60
	v_lshlrev_b32_e32 v14, 20, v14
	v_and_b32_e32 v16, 0x80000000, v16
	v_lshl_add_u32 v2, v2, 23, v4
	v_or3_b32 v14, v16, v2, v14
.LBB6_9626:                             ;   in Loop: Header=BB6_8935 Depth=2
	s_or_b64 exec, exec, s[94:95]
.LBB6_9627:                             ;   in Loop: Header=BB6_8935 Depth=2
	s_or_b64 exec, exec, s[20:21]
.LBB6_9628:                             ;   in Loop: Header=BB6_8935 Depth=2
	s_or_b64 exec, exec, s[92:93]
	v_and_b32_e32 v2, 0xff, v24
	v_cmp_ne_u16_e32 vcc, 0, v2
	s_and_saveexec_b64 s[20:21], vcc
	s_cbranch_execz .LBB6_9634
; %bb.9629:                             ;   in Loop: Header=BB6_8935 Depth=2
	v_cmp_ne_u16_e32 vcc, s49, v2
	v_bfrev_b32_e32 v15, 1
	s_and_saveexec_b64 s[92:93], vcc
	s_cbranch_execz .LBB6_9633
; %bb.9630:                             ;   in Loop: Header=BB6_8935 Depth=2
	v_and_b32_e32 v16, 0x7f, v24
	v_cmp_ne_u32_e32 vcc, s51, v16
	v_mov_b32_e32 v15, 0x7f800001
	s_and_saveexec_b64 s[94:95], vcc
	s_cbranch_execz .LBB6_9632
; %bb.9631:                             ;   in Loop: Header=BB6_8935 Depth=2
	v_and_b32_e32 v25, 7, v2
	v_ffbh_u32_e32 v15, v25
	v_min_u32_e32 v28, 32, v15
	v_subrev_u32_e32 v15, 28, v28
	v_lshrrev_b32_e32 v26, 3, v16
	v_cmp_gt_u32_e32 vcc, 8, v16
	v_lshlrev_b64 v[15:16], v15, v[2:3]
	v_sub_u32_e32 v2, 29, v28
	v_and_b32_e32 v15, 7, v15
	v_cndmask_b32_e32 v2, v26, v2, vcc
	v_cndmask_b32_e32 v15, v25, v15, vcc
	v_lshlrev_b32_e32 v16, 24, v24
	v_bfrev_b32_e32 v4, 60
	v_lshlrev_b32_e32 v15, 20, v15
	v_and_b32_e32 v16, 0x80000000, v16
	v_lshl_add_u32 v2, v2, 23, v4
	v_or3_b32 v15, v16, v2, v15
.LBB6_9632:                             ;   in Loop: Header=BB6_8935 Depth=2
	s_or_b64 exec, exec, s[94:95]
.LBB6_9633:                             ;   in Loop: Header=BB6_8935 Depth=2
	s_or_b64 exec, exec, s[92:93]
.LBB6_9634:                             ;   in Loop: Header=BB6_8935 Depth=2
	s_or_b64 exec, exec, s[20:21]
	v_max_f32_e32 v2, v15, v15
	v_max_f32_e32 v14, v14, v14
	v_min_f32_e32 v14, v14, v2
.LBB6_9635:                             ;   in Loop: Header=BB6_8935 Depth=2
	v_and_b32_e32 v2, 0x7f800000, v14
	v_cmp_ne_u64_e32 vcc, s[62:63], v[2:3]
                                        ; implicit-def: $vgpr24
	s_mov_b64 s[20:21], exec
	buffer_load_dword v5, off, s[0:3], s33 offset:136 ; 4-byte Folded Reload
	buffer_load_dword v33, off, s[0:3], s33 offset:132 ; 4-byte Folded Reload
	s_and_b64 s[94:95], s[20:21], vcc
	s_xor_b64 s[92:93], s[94:95], s[20:21]
	s_mov_b64 exec, s[94:95]
	s_cbranch_execz .LBB6_9653
; %bb.9636:                             ;   in Loop: Header=BB6_8935 Depth=2
	v_and_b32_e32 v2, 0x7fffffff, v14
	v_cmp_gt_u64_e32 vcc, s[72:73], v[2:3]
	v_and_b32_sdwa v25, v14, s49 dst_sel:DWORD dst_unused:UNUSED_PAD src0_sel:BYTE_3 src1_sel:DWORD
                                        ; implicit-def: $vgpr24
	s_and_saveexec_b64 s[20:21], vcc
	s_xor_b64 s[94:95], exec, s[20:21]
	s_cbranch_execz .LBB6_9650
; %bb.9637:                             ;   in Loop: Header=BB6_8935 Depth=2
	v_cmp_ne_u32_e32 vcc, 0, v14
	v_mov_b32_e32 v24, 0
	s_and_saveexec_b64 s[30:31], vcc
	s_cbranch_execz .LBB6_9649
; %bb.9638:                             ;   in Loop: Header=BB6_8935 Depth=2
	v_bfe_u32 v24, v14, 23, 8
	v_and_b32_e32 v2, 0x7fffff, v14
	v_cmp_gt_u32_e64 s[20:21], s53, v24
	v_sub_u32_e32 v14, 0x79, v24
	v_cmp_eq_u32_e32 vcc, 0, v24
	v_cndmask_b32_e64 v14, 0, v14, s[20:21]
	v_mov_b32_e32 v16, 0x78
	v_cndmask_b32_e32 v26, v14, v16, vcc
	v_or_b32_e32 v15, 0x800000, v2
	v_add_u32_e32 v14, 20, v26
	v_cndmask_b32_e32 v2, v15, v2, vcc
	v_lshlrev_b64 v[14:15], v14, -1
	v_add_u32_e32 v16, 19, v26
	v_lshlrev_b64 v[28:29], v16, 1
	v_bfi_b32 v15, v15, 0, 0
	v_bfi_b32 v14, v14, 0, v2
	v_cmp_eq_u64_e64 s[20:21], v[14:15], v[28:29]
	v_lshrrev_b64 v[14:15], v26, v[2:3]
	v_mov_b32_e32 v16, v15
	v_mov_b32_e32 v15, v14
	s_and_saveexec_b64 s[34:35], s[20:21]
; %bb.9639:                             ;   in Loop: Header=BB6_8935 Depth=2
	v_bfe_u32 v2, v14, 20, 1
	v_add_co_u32_e64 v2, s[20:21], v14, v2
	v_add_co_u32_e64 v15, s[20:21], -1, v2
; %bb.9640:                             ;   in Loop: Header=BB6_8935 Depth=2
	s_or_b64 exec, exec, s[34:35]
	v_add_u32_e32 v2, 0xffffff81, v24
	v_cndmask_b32_e32 v2, v2, v59, vcc
	v_lshrrev_b32_e32 v16, 23, v14
	v_add3_u32 v26, v26, v2, v16
	v_add_u32_e32 v24, 6, v26
	v_and_b32_e32 v2, 0xfffff, v15
	v_add_u32_e32 v2, v2, v14
	v_cmp_ne_u32_e32 vcc, 0, v24
                                        ; implicit-def: $vgpr14_vgpr15
                                        ; implicit-def: $vgpr16
	s_and_saveexec_b64 s[20:21], vcc
	s_xor_b64 s[20:21], exec, s[20:21]
; %bb.9641:                             ;   in Loop: Header=BB6_8935 Depth=2
	v_cmp_lt_u64_e32 vcc, s[74:75], v[2:3]
	v_add_u32_e32 v14, 7, v26
	v_cndmask_b32_e32 v16, v24, v14, vcc
	v_cndmask_b32_e64 v14, 0, 1, vcc
	v_lshrrev_b64 v[14:15], v14, v[2:3]
; %bb.9642:                             ;   in Loop: Header=BB6_8935 Depth=2
	s_andn2_saveexec_b64 s[20:21], s[20:21]
; %bb.9643:                             ;   in Loop: Header=BB6_8935 Depth=2
	v_mov_b32_e32 v15, v3
	v_bfe_u32 v16, v2, 23, 1
	v_mov_b32_e32 v14, v2
; %bb.9644:                             ;   in Loop: Header=BB6_8935 Depth=2
	s_or_b64 exec, exec, s[20:21]
	v_lshrrev_b64 v[14:15], 20, v[14:15]
	v_cmp_gt_i32_e32 vcc, 16, v16
	v_cndmask_b32_e32 v15, 0, v15, vcc
	v_cndmask_b32_e32 v14, 7, v14, vcc
	v_cmp_ne_u64_e32 vcc, 0, v[14:15]
	v_cmp_ne_u32_e64 s[20:21], 0, v16
	s_or_b64 s[20:21], s[20:21], vcc
                                        ; implicit-def: $vgpr24
	s_and_saveexec_b64 vcc, s[20:21]
	s_xor_b64 s[20:21], exec, vcc
; %bb.9645:                             ;   in Loop: Header=BB6_8935 Depth=2
	v_min_i32_e32 v2, 15, v16
	v_lshl_or_b32 v2, v2, 3, v25
	v_and_or_b32 v24, v14, 7, v2
                                        ; implicit-def: $vgpr25
; %bb.9646:                             ;   in Loop: Header=BB6_8935 Depth=2
	s_andn2_saveexec_b64 s[20:21], s[20:21]
; %bb.9647:                             ;   in Loop: Header=BB6_8935 Depth=2
	v_mov_b32_e32 v24, v25
; %bb.9648:                             ;   in Loop: Header=BB6_8935 Depth=2
	s_or_b64 exec, exec, s[20:21]
.LBB6_9649:                             ;   in Loop: Header=BB6_8935 Depth=2
	s_or_b64 exec, exec, s[30:31]
                                        ; implicit-def: $vgpr25
.LBB6_9650:                             ;   in Loop: Header=BB6_8935 Depth=2
	s_andn2_saveexec_b64 s[20:21], s[94:95]
; %bb.9651:                             ;   in Loop: Header=BB6_8935 Depth=2
	v_or_b32_e32 v24, 0x7e, v25
; %bb.9652:                             ;   in Loop: Header=BB6_8935 Depth=2
	s_or_b64 exec, exec, s[20:21]
                                        ; implicit-def: $vgpr14
.LBB6_9653:                             ;   in Loop: Header=BB6_8935 Depth=2
	s_andn2_saveexec_b64 s[20:21], s[92:93]
; %bb.9654:                             ;   in Loop: Header=BB6_8935 Depth=2
	v_or_b32_sdwa v24, v14, s51 dst_sel:DWORD dst_unused:UNUSED_PAD src0_sel:BYTE_3 src1_sel:DWORD
; %bb.9655:                             ;   in Loop: Header=BB6_8935 Depth=2
	s_or_b64 exec, exec, s[20:21]
	s_waitcnt vmcnt(2)
	v_and_b32_e32 v2, 0xff, v23
	v_cmp_ne_u16_e64 s[20:21], 0, v2
	s_and_b64 vcc, exec, s[18:19]
	s_mov_b64 s[92:93], -1
                                        ; implicit-def: $vgpr14
	s_cbranch_vccnz .LBB6_9669
; %bb.9656:                             ;   in Loop: Header=BB6_8935 Depth=2
	v_mov_b32_e32 v16, 0
	v_mov_b32_e32 v15, 0
	s_and_saveexec_b64 s[92:93], s[20:21]
	s_cbranch_execz .LBB6_9662
; %bb.9657:                             ;   in Loop: Header=BB6_8935 Depth=2
	v_cmp_ne_u16_e32 vcc, s49, v2
	v_bfrev_b32_e32 v15, 1
	s_and_saveexec_b64 s[94:95], vcc
	s_cbranch_execz .LBB6_9661
; %bb.9658:                             ;   in Loop: Header=BB6_8935 Depth=2
	v_and_b32_e32 v14, 0x7f, v23
	v_cmp_ne_u32_e32 vcc, s51, v14
	v_mov_b32_e32 v15, 0x7f800001
	s_and_saveexec_b64 s[30:31], vcc
	s_cbranch_execz .LBB6_9660
; %bb.9659:                             ;   in Loop: Header=BB6_8935 Depth=2
	v_and_b32_e32 v25, 7, v2
	v_lshrrev_b32_e32 v26, 3, v14
	v_cmp_gt_u32_e32 vcc, 8, v14
	v_ffbh_u32_e32 v14, v25
	v_min_u32_e32 v28, 32, v14
	v_subrev_u32_e32 v14, 28, v28
	v_lshlrev_b64 v[14:15], v14, v[2:3]
	v_sub_u32_e32 v15, 29, v28
	v_and_b32_e32 v14, 7, v14
	v_cndmask_b32_e32 v15, v26, v15, vcc
	v_cndmask_b32_e32 v14, v25, v14, vcc
	v_lshlrev_b32_e32 v25, 24, v23
	v_bfrev_b32_e32 v4, 60
	v_lshlrev_b32_e32 v14, 20, v14
	v_and_b32_e32 v25, 0x80000000, v25
	v_lshl_add_u32 v15, v15, 23, v4
	v_or3_b32 v15, v25, v15, v14
.LBB6_9660:                             ;   in Loop: Header=BB6_8935 Depth=2
	s_or_b64 exec, exec, s[30:31]
.LBB6_9661:                             ;   in Loop: Header=BB6_8935 Depth=2
	s_or_b64 exec, exec, s[94:95]
.LBB6_9662:                             ;   in Loop: Header=BB6_8935 Depth=2
	s_or_b64 exec, exec, s[92:93]
	v_and_b32_e32 v14, 0xff, v22
	v_cmp_ne_u16_e32 vcc, 0, v14
	s_and_saveexec_b64 s[92:93], vcc
	s_cbranch_execz .LBB6_9668
; %bb.9663:                             ;   in Loop: Header=BB6_8935 Depth=2
	v_cmp_ne_u16_e32 vcc, s49, v14
	v_bfrev_b32_e32 v16, 1
	s_and_saveexec_b64 s[94:95], vcc
	s_cbranch_execz .LBB6_9667
; %bb.9664:                             ;   in Loop: Header=BB6_8935 Depth=2
	v_and_b32_e32 v25, 0x7f, v22
	v_cmp_ne_u32_e32 vcc, s51, v25
	v_mov_b32_e32 v16, 0x7f800001
	s_and_saveexec_b64 s[30:31], vcc
	s_cbranch_execz .LBB6_9666
; %bb.9665:                             ;   in Loop: Header=BB6_8935 Depth=2
	v_and_b32_e32 v16, 7, v14
	v_lshrrev_b32_e32 v28, 3, v25
	v_cmp_gt_u32_e32 vcc, 8, v25
	v_ffbh_u32_e32 v25, v16
	v_min_u32_e32 v29, 32, v25
	v_subrev_u32_e32 v25, 28, v29
	v_lshlrev_b64 v[25:26], v25, v[14:15]
	v_sub_u32_e32 v14, 29, v29
	v_and_b32_e32 v25, 7, v25
	v_cndmask_b32_e32 v14, v28, v14, vcc
	v_cndmask_b32_e32 v16, v16, v25, vcc
	v_lshlrev_b32_e32 v25, 24, v22
	v_bfrev_b32_e32 v4, 60
	v_lshlrev_b32_e32 v16, 20, v16
	v_and_b32_e32 v25, 0x80000000, v25
	v_lshl_add_u32 v14, v14, 23, v4
	v_or3_b32 v16, v25, v14, v16
.LBB6_9666:                             ;   in Loop: Header=BB6_8935 Depth=2
	s_or_b64 exec, exec, s[30:31]
.LBB6_9667:                             ;   in Loop: Header=BB6_8935 Depth=2
	s_or_b64 exec, exec, s[94:95]
.LBB6_9668:                             ;   in Loop: Header=BB6_8935 Depth=2
	s_or_b64 exec, exec, s[92:93]
	v_max_f32_e32 v14, v16, v16
	v_max_f32_e32 v15, v15, v15
	;; [unrolled: 1-line block ×3, first 2 shown]
	s_mov_b64 s[92:93], 0
.LBB6_9669:                             ;   in Loop: Header=BB6_8935 Depth=2
	s_and_b64 vcc, exec, s[92:93]
	s_cbranch_vccz .LBB6_9683
; %bb.9670:                             ;   in Loop: Header=BB6_8935 Depth=2
	v_mov_b32_e32 v15, 0
	v_mov_b32_e32 v14, 0
	s_and_saveexec_b64 s[92:93], s[20:21]
	s_cbranch_execz .LBB6_9676
; %bb.9671:                             ;   in Loop: Header=BB6_8935 Depth=2
	v_cmp_ne_u16_e32 vcc, s49, v2
	v_bfrev_b32_e32 v14, 1
	s_and_saveexec_b64 s[20:21], vcc
	s_cbranch_execz .LBB6_9675
; %bb.9672:                             ;   in Loop: Header=BB6_8935 Depth=2
	v_and_b32_e32 v16, 0x7f, v23
	v_cmp_ne_u32_e32 vcc, s51, v16
	v_mov_b32_e32 v14, 0x7f800001
	s_and_saveexec_b64 s[94:95], vcc
	s_cbranch_execz .LBB6_9674
; %bb.9673:                             ;   in Loop: Header=BB6_8935 Depth=2
	v_and_b32_e32 v14, 7, v2
	v_lshrrev_b32_e32 v28, 3, v16
	v_cmp_gt_u32_e32 vcc, 8, v16
	v_ffbh_u32_e32 v16, v14
	v_min_u32_e32 v16, 32, v16
	v_subrev_u32_e32 v25, 28, v16
	v_lshlrev_b64 v[25:26], v25, v[2:3]
	v_sub_u32_e32 v2, 29, v16
	v_and_b32_e32 v16, 7, v25
	v_cndmask_b32_e32 v2, v28, v2, vcc
	v_cndmask_b32_e32 v14, v14, v16, vcc
	v_lshlrev_b32_e32 v16, 24, v23
	v_bfrev_b32_e32 v4, 60
	v_lshlrev_b32_e32 v14, 20, v14
	v_and_b32_e32 v16, 0x80000000, v16
	v_lshl_add_u32 v2, v2, 23, v4
	v_or3_b32 v14, v16, v2, v14
.LBB6_9674:                             ;   in Loop: Header=BB6_8935 Depth=2
	s_or_b64 exec, exec, s[94:95]
.LBB6_9675:                             ;   in Loop: Header=BB6_8935 Depth=2
	s_or_b64 exec, exec, s[20:21]
.LBB6_9676:                             ;   in Loop: Header=BB6_8935 Depth=2
	s_or_b64 exec, exec, s[92:93]
	v_and_b32_e32 v2, 0xff, v22
	v_cmp_ne_u16_e32 vcc, 0, v2
	s_and_saveexec_b64 s[20:21], vcc
	s_cbranch_execz .LBB6_9682
; %bb.9677:                             ;   in Loop: Header=BB6_8935 Depth=2
	v_cmp_ne_u16_e32 vcc, s49, v2
	v_bfrev_b32_e32 v15, 1
	s_and_saveexec_b64 s[92:93], vcc
	s_cbranch_execz .LBB6_9681
; %bb.9678:                             ;   in Loop: Header=BB6_8935 Depth=2
	v_and_b32_e32 v16, 0x7f, v22
	v_cmp_ne_u32_e32 vcc, s51, v16
	v_mov_b32_e32 v15, 0x7f800001
	s_and_saveexec_b64 s[94:95], vcc
	s_cbranch_execz .LBB6_9680
; %bb.9679:                             ;   in Loop: Header=BB6_8935 Depth=2
	v_and_b32_e32 v23, 7, v2
	v_ffbh_u32_e32 v15, v23
	v_min_u32_e32 v26, 32, v15
	v_subrev_u32_e32 v15, 28, v26
	v_lshrrev_b32_e32 v25, 3, v16
	v_cmp_gt_u32_e32 vcc, 8, v16
	v_lshlrev_b64 v[15:16], v15, v[2:3]
	v_sub_u32_e32 v2, 29, v26
	v_and_b32_e32 v15, 7, v15
	v_cndmask_b32_e32 v2, v25, v2, vcc
	v_cndmask_b32_e32 v15, v23, v15, vcc
	v_lshlrev_b32_e32 v16, 24, v22
	v_bfrev_b32_e32 v4, 60
	v_lshlrev_b32_e32 v15, 20, v15
	v_and_b32_e32 v16, 0x80000000, v16
	v_lshl_add_u32 v2, v2, 23, v4
	v_or3_b32 v15, v16, v2, v15
.LBB6_9680:                             ;   in Loop: Header=BB6_8935 Depth=2
	s_or_b64 exec, exec, s[94:95]
.LBB6_9681:                             ;   in Loop: Header=BB6_8935 Depth=2
	s_or_b64 exec, exec, s[92:93]
.LBB6_9682:                             ;   in Loop: Header=BB6_8935 Depth=2
	s_or_b64 exec, exec, s[20:21]
	v_max_f32_e32 v2, v15, v15
	v_max_f32_e32 v14, v14, v14
	v_min_f32_e32 v14, v14, v2
.LBB6_9683:                             ;   in Loop: Header=BB6_8935 Depth=2
	v_and_b32_e32 v2, 0x7f800000, v14
	v_cmp_ne_u64_e32 vcc, s[62:63], v[2:3]
                                        ; implicit-def: $vgpr22
	s_and_saveexec_b64 s[20:21], vcc
	s_xor_b64 s[92:93], exec, s[20:21]
	s_cbranch_execz .LBB6_9701
; %bb.9684:                             ;   in Loop: Header=BB6_8935 Depth=2
	v_and_b32_e32 v2, 0x7fffffff, v14
	v_cmp_gt_u64_e32 vcc, s[72:73], v[2:3]
	v_and_b32_sdwa v23, v14, s49 dst_sel:DWORD dst_unused:UNUSED_PAD src0_sel:BYTE_3 src1_sel:DWORD
                                        ; implicit-def: $vgpr22
	s_and_saveexec_b64 s[20:21], vcc
	s_xor_b64 s[94:95], exec, s[20:21]
	s_cbranch_execz .LBB6_9698
; %bb.9685:                             ;   in Loop: Header=BB6_8935 Depth=2
	v_cmp_ne_u32_e32 vcc, 0, v14
	v_mov_b32_e32 v22, 0
	s_and_saveexec_b64 s[30:31], vcc
	s_cbranch_execz .LBB6_9697
; %bb.9686:                             ;   in Loop: Header=BB6_8935 Depth=2
	v_bfe_u32 v22, v14, 23, 8
	v_and_b32_e32 v2, 0x7fffff, v14
	v_cmp_gt_u32_e64 s[20:21], s53, v22
	v_sub_u32_e32 v14, 0x79, v22
	v_cmp_eq_u32_e32 vcc, 0, v22
	v_cndmask_b32_e64 v14, 0, v14, s[20:21]
	v_mov_b32_e32 v16, 0x78
	v_cndmask_b32_e32 v25, v14, v16, vcc
	v_or_b32_e32 v15, 0x800000, v2
	v_add_u32_e32 v14, 20, v25
	v_cndmask_b32_e32 v2, v15, v2, vcc
	v_lshlrev_b64 v[14:15], v14, -1
	v_add_u32_e32 v16, 19, v25
	v_lshlrev_b64 v[28:29], v16, 1
	v_bfi_b32 v15, v15, 0, 0
	v_bfi_b32 v14, v14, 0, v2
	v_cmp_eq_u64_e64 s[20:21], v[14:15], v[28:29]
	v_lshrrev_b64 v[14:15], v25, v[2:3]
	v_mov_b32_e32 v16, v15
	v_mov_b32_e32 v15, v14
	s_and_saveexec_b64 s[34:35], s[20:21]
; %bb.9687:                             ;   in Loop: Header=BB6_8935 Depth=2
	v_bfe_u32 v2, v14, 20, 1
	v_add_co_u32_e64 v2, s[20:21], v14, v2
	v_add_co_u32_e64 v15, s[20:21], -1, v2
; %bb.9688:                             ;   in Loop: Header=BB6_8935 Depth=2
	s_or_b64 exec, exec, s[34:35]
	v_add_u32_e32 v2, 0xffffff81, v22
	v_cndmask_b32_e32 v2, v2, v59, vcc
	v_lshrrev_b32_e32 v16, 23, v14
	v_add3_u32 v25, v25, v2, v16
	v_add_u32_e32 v22, 6, v25
	v_and_b32_e32 v2, 0xfffff, v15
	v_add_u32_e32 v2, v2, v14
	v_cmp_ne_u32_e32 vcc, 0, v22
                                        ; implicit-def: $vgpr14_vgpr15
                                        ; implicit-def: $vgpr16
	s_and_saveexec_b64 s[20:21], vcc
	s_xor_b64 s[20:21], exec, s[20:21]
; %bb.9689:                             ;   in Loop: Header=BB6_8935 Depth=2
	v_cmp_lt_u64_e32 vcc, s[74:75], v[2:3]
	v_add_u32_e32 v14, 7, v25
	v_cndmask_b32_e32 v16, v22, v14, vcc
	v_cndmask_b32_e64 v14, 0, 1, vcc
	v_lshrrev_b64 v[14:15], v14, v[2:3]
; %bb.9690:                             ;   in Loop: Header=BB6_8935 Depth=2
	s_andn2_saveexec_b64 s[20:21], s[20:21]
; %bb.9691:                             ;   in Loop: Header=BB6_8935 Depth=2
	v_mov_b32_e32 v15, v3
	v_bfe_u32 v16, v2, 23, 1
	v_mov_b32_e32 v14, v2
; %bb.9692:                             ;   in Loop: Header=BB6_8935 Depth=2
	s_or_b64 exec, exec, s[20:21]
	v_lshrrev_b64 v[14:15], 20, v[14:15]
	v_cmp_gt_i32_e32 vcc, 16, v16
	v_cndmask_b32_e32 v15, 0, v15, vcc
	v_cndmask_b32_e32 v14, 7, v14, vcc
	v_cmp_ne_u64_e32 vcc, 0, v[14:15]
	v_cmp_ne_u32_e64 s[20:21], 0, v16
	s_or_b64 s[20:21], s[20:21], vcc
                                        ; implicit-def: $vgpr22
	s_and_saveexec_b64 vcc, s[20:21]
	s_xor_b64 s[20:21], exec, vcc
; %bb.9693:                             ;   in Loop: Header=BB6_8935 Depth=2
	v_min_i32_e32 v2, 15, v16
	v_lshl_or_b32 v2, v2, 3, v23
	v_and_or_b32 v22, v14, 7, v2
                                        ; implicit-def: $vgpr23
; %bb.9694:                             ;   in Loop: Header=BB6_8935 Depth=2
	s_andn2_saveexec_b64 s[20:21], s[20:21]
; %bb.9695:                             ;   in Loop: Header=BB6_8935 Depth=2
	v_mov_b32_e32 v22, v23
; %bb.9696:                             ;   in Loop: Header=BB6_8935 Depth=2
	s_or_b64 exec, exec, s[20:21]
.LBB6_9697:                             ;   in Loop: Header=BB6_8935 Depth=2
	s_or_b64 exec, exec, s[30:31]
                                        ; implicit-def: $vgpr23
.LBB6_9698:                             ;   in Loop: Header=BB6_8935 Depth=2
	s_andn2_saveexec_b64 s[20:21], s[94:95]
; %bb.9699:                             ;   in Loop: Header=BB6_8935 Depth=2
	v_or_b32_e32 v22, 0x7e, v23
; %bb.9700:                             ;   in Loop: Header=BB6_8935 Depth=2
	s_or_b64 exec, exec, s[20:21]
                                        ; implicit-def: $vgpr14
.LBB6_9701:                             ;   in Loop: Header=BB6_8935 Depth=2
	s_andn2_saveexec_b64 s[20:21], s[92:93]
; %bb.9702:                             ;   in Loop: Header=BB6_8935 Depth=2
	v_or_b32_sdwa v22, v14, s51 dst_sel:DWORD dst_unused:UNUSED_PAD src0_sel:BYTE_3 src1_sel:DWORD
; %bb.9703:                             ;   in Loop: Header=BB6_8935 Depth=2
	s_or_b64 exec, exec, s[20:21]
	v_and_b32_e32 v2, 0xff, v30
	v_cmp_ne_u16_e64 s[20:21], 0, v2
	s_and_b64 vcc, exec, s[18:19]
	s_mov_b64 s[92:93], -1
                                        ; implicit-def: $vgpr14
	s_cbranch_vccnz .LBB6_9717
; %bb.9704:                             ;   in Loop: Header=BB6_8935 Depth=2
	v_mov_b32_e32 v16, 0
	v_mov_b32_e32 v15, 0
	s_and_saveexec_b64 s[92:93], s[20:21]
	s_cbranch_execz .LBB6_9710
; %bb.9705:                             ;   in Loop: Header=BB6_8935 Depth=2
	v_cmp_ne_u16_e32 vcc, s49, v2
	v_bfrev_b32_e32 v15, 1
	s_and_saveexec_b64 s[94:95], vcc
	s_cbranch_execz .LBB6_9709
; %bb.9706:                             ;   in Loop: Header=BB6_8935 Depth=2
	v_and_b32_e32 v14, 0x7f, v30
	v_cmp_ne_u32_e32 vcc, s51, v14
	v_mov_b32_e32 v15, 0x7f800001
	s_and_saveexec_b64 s[30:31], vcc
	s_cbranch_execz .LBB6_9708
; %bb.9707:                             ;   in Loop: Header=BB6_8935 Depth=2
	v_and_b32_e32 v23, 7, v2
	v_lshrrev_b32_e32 v25, 3, v14
	v_cmp_gt_u32_e32 vcc, 8, v14
	v_ffbh_u32_e32 v14, v23
	v_min_u32_e32 v26, 32, v14
	v_subrev_u32_e32 v14, 28, v26
	v_lshlrev_b64 v[14:15], v14, v[2:3]
	v_sub_u32_e32 v15, 29, v26
	v_and_b32_e32 v14, 7, v14
	v_cndmask_b32_e32 v15, v25, v15, vcc
	v_cndmask_b32_e32 v14, v23, v14, vcc
	v_lshlrev_b32_e32 v23, 24, v30
	v_bfrev_b32_e32 v4, 60
	v_lshlrev_b32_e32 v14, 20, v14
	v_and_b32_e32 v23, 0x80000000, v23
	v_lshl_add_u32 v15, v15, 23, v4
	v_or3_b32 v15, v23, v15, v14
.LBB6_9708:                             ;   in Loop: Header=BB6_8935 Depth=2
	s_or_b64 exec, exec, s[30:31]
.LBB6_9709:                             ;   in Loop: Header=BB6_8935 Depth=2
	s_or_b64 exec, exec, s[94:95]
.LBB6_9710:                             ;   in Loop: Header=BB6_8935 Depth=2
	s_or_b64 exec, exec, s[92:93]
	v_and_b32_e32 v14, 0xff, v17
	v_cmp_ne_u16_e32 vcc, 0, v14
	s_and_saveexec_b64 s[92:93], vcc
	s_cbranch_execz .LBB6_9716
; %bb.9711:                             ;   in Loop: Header=BB6_8935 Depth=2
	v_cmp_ne_u16_e32 vcc, s49, v14
	v_bfrev_b32_e32 v16, 1
	s_and_saveexec_b64 s[94:95], vcc
	s_cbranch_execz .LBB6_9715
; %bb.9712:                             ;   in Loop: Header=BB6_8935 Depth=2
	v_and_b32_e32 v23, 0x7f, v17
	v_cmp_ne_u32_e32 vcc, s51, v23
	v_mov_b32_e32 v16, 0x7f800001
	s_and_saveexec_b64 s[30:31], vcc
	s_cbranch_execz .LBB6_9714
; %bb.9713:                             ;   in Loop: Header=BB6_8935 Depth=2
	v_and_b32_e32 v16, 7, v14
	v_lshrrev_b32_e32 v28, 3, v23
	v_cmp_gt_u32_e32 vcc, 8, v23
	v_ffbh_u32_e32 v23, v16
	v_min_u32_e32 v23, 32, v23
	v_subrev_u32_e32 v25, 28, v23
	v_lshlrev_b64 v[25:26], v25, v[14:15]
	v_sub_u32_e32 v14, 29, v23
	v_and_b32_e32 v23, 7, v25
	v_cndmask_b32_e32 v14, v28, v14, vcc
	v_cndmask_b32_e32 v16, v16, v23, vcc
	v_lshlrev_b32_e32 v23, 24, v17
	v_bfrev_b32_e32 v4, 60
	v_lshlrev_b32_e32 v16, 20, v16
	v_and_b32_e32 v23, 0x80000000, v23
	v_lshl_add_u32 v14, v14, 23, v4
	v_or3_b32 v16, v23, v14, v16
.LBB6_9714:                             ;   in Loop: Header=BB6_8935 Depth=2
	s_or_b64 exec, exec, s[30:31]
.LBB6_9715:                             ;   in Loop: Header=BB6_8935 Depth=2
	s_or_b64 exec, exec, s[94:95]
.LBB6_9716:                             ;   in Loop: Header=BB6_8935 Depth=2
	s_or_b64 exec, exec, s[92:93]
	v_max_f32_e32 v14, v16, v16
	v_max_f32_e32 v15, v15, v15
	v_max_f32_e32 v14, v15, v14
	s_mov_b64 s[92:93], 0
.LBB6_9717:                             ;   in Loop: Header=BB6_8935 Depth=2
	s_and_b64 vcc, exec, s[92:93]
	s_cbranch_vccz .LBB6_9731
; %bb.9718:                             ;   in Loop: Header=BB6_8935 Depth=2
	v_mov_b32_e32 v15, 0
	v_mov_b32_e32 v14, 0
	s_and_saveexec_b64 s[92:93], s[20:21]
	s_cbranch_execz .LBB6_9724
; %bb.9719:                             ;   in Loop: Header=BB6_8935 Depth=2
	v_cmp_ne_u16_e32 vcc, s49, v2
	v_bfrev_b32_e32 v14, 1
	s_and_saveexec_b64 s[20:21], vcc
	s_cbranch_execz .LBB6_9723
; %bb.9720:                             ;   in Loop: Header=BB6_8935 Depth=2
	v_and_b32_e32 v16, 0x7f, v30
	v_cmp_ne_u32_e32 vcc, s51, v16
	v_mov_b32_e32 v14, 0x7f800001
	s_and_saveexec_b64 s[94:95], vcc
	s_cbranch_execz .LBB6_9722
; %bb.9721:                             ;   in Loop: Header=BB6_8935 Depth=2
	v_and_b32_e32 v14, 7, v2
	v_lshrrev_b32_e32 v23, 3, v16
	v_cmp_gt_u32_e32 vcc, 8, v16
	v_ffbh_u32_e32 v16, v14
	v_min_u32_e32 v16, 32, v16
	v_subrev_u32_e32 v25, 28, v16
	v_lshlrev_b64 v[25:26], v25, v[2:3]
	v_sub_u32_e32 v2, 29, v16
	v_and_b32_e32 v16, 7, v25
	v_cndmask_b32_e32 v2, v23, v2, vcc
	v_cndmask_b32_e32 v14, v14, v16, vcc
	v_lshlrev_b32_e32 v16, 24, v30
	v_bfrev_b32_e32 v4, 60
	v_lshlrev_b32_e32 v14, 20, v14
	v_and_b32_e32 v16, 0x80000000, v16
	v_lshl_add_u32 v2, v2, 23, v4
	v_or3_b32 v14, v16, v2, v14
.LBB6_9722:                             ;   in Loop: Header=BB6_8935 Depth=2
	s_or_b64 exec, exec, s[94:95]
.LBB6_9723:                             ;   in Loop: Header=BB6_8935 Depth=2
	s_or_b64 exec, exec, s[20:21]
.LBB6_9724:                             ;   in Loop: Header=BB6_8935 Depth=2
	s_or_b64 exec, exec, s[92:93]
	v_and_b32_e32 v2, 0xff, v17
	v_cmp_ne_u16_e32 vcc, 0, v2
	s_and_saveexec_b64 s[20:21], vcc
	s_cbranch_execz .LBB6_9730
; %bb.9725:                             ;   in Loop: Header=BB6_8935 Depth=2
	v_cmp_ne_u16_e32 vcc, s49, v2
	v_bfrev_b32_e32 v15, 1
	s_and_saveexec_b64 s[92:93], vcc
	s_cbranch_execz .LBB6_9729
; %bb.9726:                             ;   in Loop: Header=BB6_8935 Depth=2
	v_and_b32_e32 v16, 0x7f, v17
	v_cmp_ne_u32_e32 vcc, s51, v16
	v_mov_b32_e32 v15, 0x7f800001
	s_and_saveexec_b64 s[94:95], vcc
	s_cbranch_execz .LBB6_9728
; %bb.9727:                             ;   in Loop: Header=BB6_8935 Depth=2
	v_and_b32_e32 v23, 7, v2
	v_ffbh_u32_e32 v15, v23
	v_min_u32_e32 v26, 32, v15
	v_subrev_u32_e32 v15, 28, v26
	v_lshrrev_b32_e32 v25, 3, v16
	v_cmp_gt_u32_e32 vcc, 8, v16
	v_lshlrev_b64 v[15:16], v15, v[2:3]
	v_sub_u32_e32 v2, 29, v26
	v_and_b32_e32 v15, 7, v15
	v_cndmask_b32_e32 v2, v25, v2, vcc
	v_cndmask_b32_e32 v15, v23, v15, vcc
	v_lshlrev_b32_e32 v16, 24, v17
	v_bfrev_b32_e32 v4, 60
	v_lshlrev_b32_e32 v15, 20, v15
	v_and_b32_e32 v16, 0x80000000, v16
	v_lshl_add_u32 v2, v2, 23, v4
	v_or3_b32 v15, v16, v2, v15
.LBB6_9728:                             ;   in Loop: Header=BB6_8935 Depth=2
	s_or_b64 exec, exec, s[94:95]
.LBB6_9729:                             ;   in Loop: Header=BB6_8935 Depth=2
	s_or_b64 exec, exec, s[92:93]
.LBB6_9730:                             ;   in Loop: Header=BB6_8935 Depth=2
	s_or_b64 exec, exec, s[20:21]
	v_max_f32_e32 v2, v15, v15
	v_max_f32_e32 v14, v14, v14
	v_min_f32_e32 v14, v14, v2
.LBB6_9731:                             ;   in Loop: Header=BB6_8935 Depth=2
	v_and_b32_e32 v2, 0x7f800000, v14
	v_cmp_ne_u64_e32 vcc, s[62:63], v[2:3]
                                        ; implicit-def: $vgpr23
	s_mov_b64 s[20:21], exec
	buffer_load_dword v30, off, s[0:3], s33 offset:128 ; 4-byte Folded Reload
	s_and_b64 s[94:95], s[20:21], vcc
	s_xor_b64 s[92:93], s[94:95], s[20:21]
	s_mov_b64 exec, s[94:95]
	s_cbranch_execz .LBB6_9749
; %bb.9732:                             ;   in Loop: Header=BB6_8935 Depth=2
	v_and_b32_e32 v2, 0x7fffffff, v14
	v_cmp_gt_u64_e32 vcc, s[72:73], v[2:3]
	v_and_b32_sdwa v25, v14, s49 dst_sel:DWORD dst_unused:UNUSED_PAD src0_sel:BYTE_3 src1_sel:DWORD
                                        ; implicit-def: $vgpr23
	s_and_saveexec_b64 s[20:21], vcc
	s_xor_b64 s[94:95], exec, s[20:21]
	s_cbranch_execz .LBB6_9746
; %bb.9733:                             ;   in Loop: Header=BB6_8935 Depth=2
	v_cmp_ne_u32_e32 vcc, 0, v14
	v_mov_b32_e32 v23, 0
	s_and_saveexec_b64 s[30:31], vcc
	s_cbranch_execz .LBB6_9745
; %bb.9734:                             ;   in Loop: Header=BB6_8935 Depth=2
	v_bfe_u32 v23, v14, 23, 8
	v_and_b32_e32 v2, 0x7fffff, v14
	v_cmp_gt_u32_e64 s[20:21], s53, v23
	v_sub_u32_e32 v14, 0x79, v23
	v_cmp_eq_u32_e32 vcc, 0, v23
	v_cndmask_b32_e64 v14, 0, v14, s[20:21]
	v_mov_b32_e32 v16, 0x78
	v_cndmask_b32_e32 v26, v14, v16, vcc
	v_or_b32_e32 v15, 0x800000, v2
	v_add_u32_e32 v14, 20, v26
	v_cndmask_b32_e32 v2, v15, v2, vcc
	v_lshlrev_b64 v[14:15], v14, -1
	v_add_u32_e32 v16, 19, v26
	v_lshlrev_b64 v[27:28], v16, 1
	v_bfi_b32 v15, v15, 0, 0
	v_bfi_b32 v14, v14, 0, v2
	v_cmp_eq_u64_e64 s[20:21], v[14:15], v[27:28]
	v_lshrrev_b64 v[14:15], v26, v[2:3]
	v_mov_b32_e32 v16, v15
	v_mov_b32_e32 v15, v14
	s_and_saveexec_b64 s[34:35], s[20:21]
; %bb.9735:                             ;   in Loop: Header=BB6_8935 Depth=2
	v_bfe_u32 v2, v14, 20, 1
	v_add_co_u32_e64 v2, s[20:21], v14, v2
	v_add_co_u32_e64 v15, s[20:21], -1, v2
; %bb.9736:                             ;   in Loop: Header=BB6_8935 Depth=2
	s_or_b64 exec, exec, s[34:35]
	v_add_u32_e32 v2, 0xffffff81, v23
	v_cndmask_b32_e32 v2, v2, v59, vcc
	v_lshrrev_b32_e32 v16, 23, v14
	v_add3_u32 v26, v26, v2, v16
	v_add_u32_e32 v23, 6, v26
	v_and_b32_e32 v2, 0xfffff, v15
	v_add_u32_e32 v2, v2, v14
	v_cmp_ne_u32_e32 vcc, 0, v23
                                        ; implicit-def: $vgpr14_vgpr15
                                        ; implicit-def: $vgpr16
	s_and_saveexec_b64 s[20:21], vcc
	s_xor_b64 s[20:21], exec, s[20:21]
; %bb.9737:                             ;   in Loop: Header=BB6_8935 Depth=2
	v_cmp_lt_u64_e32 vcc, s[74:75], v[2:3]
	v_add_u32_e32 v14, 7, v26
	v_cndmask_b32_e32 v16, v23, v14, vcc
	v_cndmask_b32_e64 v14, 0, 1, vcc
	v_lshrrev_b64 v[14:15], v14, v[2:3]
; %bb.9738:                             ;   in Loop: Header=BB6_8935 Depth=2
	s_or_saveexec_b64 s[20:21], s[20:21]
	buffer_load_dword v27, off, s[0:3], s33 offset:88 ; 4-byte Folded Reload
	s_xor_b64 exec, exec, s[20:21]
; %bb.9739:                             ;   in Loop: Header=BB6_8935 Depth=2
	v_mov_b32_e32 v15, v3
	v_bfe_u32 v16, v2, 23, 1
	v_mov_b32_e32 v14, v2
; %bb.9740:                             ;   in Loop: Header=BB6_8935 Depth=2
	s_or_b64 exec, exec, s[20:21]
	v_lshrrev_b64 v[14:15], 20, v[14:15]
	v_cmp_gt_i32_e32 vcc, 16, v16
	v_cndmask_b32_e32 v15, 0, v15, vcc
	v_cndmask_b32_e32 v14, 7, v14, vcc
	v_cmp_ne_u64_e32 vcc, 0, v[14:15]
	v_cmp_ne_u32_e64 s[20:21], 0, v16
	s_or_b64 s[20:21], s[20:21], vcc
                                        ; implicit-def: $vgpr23
	s_and_saveexec_b64 vcc, s[20:21]
	s_xor_b64 s[20:21], exec, vcc
; %bb.9741:                             ;   in Loop: Header=BB6_8935 Depth=2
	v_min_i32_e32 v2, 15, v16
	v_lshl_or_b32 v2, v2, 3, v25
	v_and_or_b32 v23, v14, 7, v2
                                        ; implicit-def: $vgpr25
; %bb.9742:                             ;   in Loop: Header=BB6_8935 Depth=2
	s_andn2_saveexec_b64 s[20:21], s[20:21]
; %bb.9743:                             ;   in Loop: Header=BB6_8935 Depth=2
	v_mov_b32_e32 v23, v25
; %bb.9744:                             ;   in Loop: Header=BB6_8935 Depth=2
	s_or_b64 exec, exec, s[20:21]
.LBB6_9745:                             ;   in Loop: Header=BB6_8935 Depth=2
	s_or_b64 exec, exec, s[30:31]
                                        ; implicit-def: $vgpr25
.LBB6_9746:                             ;   in Loop: Header=BB6_8935 Depth=2
	s_andn2_saveexec_b64 s[20:21], s[94:95]
; %bb.9747:                             ;   in Loop: Header=BB6_8935 Depth=2
	v_or_b32_e32 v23, 0x7e, v25
; %bb.9748:                             ;   in Loop: Header=BB6_8935 Depth=2
	s_or_b64 exec, exec, s[20:21]
                                        ; implicit-def: $vgpr14
.LBB6_9749:                             ;   in Loop: Header=BB6_8935 Depth=2
	s_andn2_saveexec_b64 s[20:21], s[92:93]
; %bb.9750:                             ;   in Loop: Header=BB6_8935 Depth=2
	v_or_b32_sdwa v23, v14, s51 dst_sel:DWORD dst_unused:UNUSED_PAD src0_sel:BYTE_3 src1_sel:DWORD
; %bb.9751:                             ;   in Loop: Header=BB6_8935 Depth=2
	s_or_b64 exec, exec, s[20:21]
	v_and_b32_e32 v2, 0xff, v9
	v_cmp_ne_u16_e64 s[20:21], 0, v2
	s_and_b64 vcc, exec, s[18:19]
	s_mov_b64 s[92:93], -1
                                        ; implicit-def: $vgpr14
	s_cbranch_vccnz .LBB6_9765
; %bb.9752:                             ;   in Loop: Header=BB6_8935 Depth=2
	v_mov_b32_e32 v16, 0
	v_mov_b32_e32 v15, 0
	s_and_saveexec_b64 s[92:93], s[20:21]
	s_cbranch_execz .LBB6_9758
; %bb.9753:                             ;   in Loop: Header=BB6_8935 Depth=2
	v_cmp_ne_u16_e32 vcc, s49, v2
	v_bfrev_b32_e32 v15, 1
	s_and_saveexec_b64 s[94:95], vcc
	s_cbranch_execz .LBB6_9757
; %bb.9754:                             ;   in Loop: Header=BB6_8935 Depth=2
	v_and_b32_e32 v14, 0x7f, v9
	v_cmp_ne_u32_e32 vcc, s51, v14
	v_mov_b32_e32 v15, 0x7f800001
	s_and_saveexec_b64 s[30:31], vcc
	s_cbranch_execz .LBB6_9756
; %bb.9755:                             ;   in Loop: Header=BB6_8935 Depth=2
	v_and_b32_e32 v25, 7, v2
	v_lshrrev_b32_e32 v26, 3, v14
	v_cmp_gt_u32_e32 vcc, 8, v14
	v_ffbh_u32_e32 v14, v25
	s_waitcnt vmcnt(0)
	v_min_u32_e32 v27, 32, v14
	v_subrev_u32_e32 v14, 28, v27
	v_lshlrev_b64 v[14:15], v14, v[2:3]
	v_sub_u32_e32 v15, 29, v27
	buffer_load_dword v27, off, s[0:3], s33 offset:88 ; 4-byte Folded Reload
	v_and_b32_e32 v14, 7, v14
	v_cndmask_b32_e32 v15, v26, v15, vcc
	v_cndmask_b32_e32 v14, v25, v14, vcc
	v_lshlrev_b32_e32 v25, 24, v9
	v_bfrev_b32_e32 v4, 60
	v_lshlrev_b32_e32 v14, 20, v14
	v_and_b32_e32 v25, 0x80000000, v25
	v_lshl_add_u32 v15, v15, 23, v4
	v_or3_b32 v15, v25, v15, v14
.LBB6_9756:                             ;   in Loop: Header=BB6_8935 Depth=2
	s_or_b64 exec, exec, s[30:31]
.LBB6_9757:                             ;   in Loop: Header=BB6_8935 Depth=2
	s_or_b64 exec, exec, s[94:95]
.LBB6_9758:                             ;   in Loop: Header=BB6_8935 Depth=2
	s_or_b64 exec, exec, s[92:93]
	v_and_b32_e32 v14, 0xff, v8
	v_cmp_ne_u16_e32 vcc, 0, v14
	s_and_saveexec_b64 s[92:93], vcc
	s_cbranch_execz .LBB6_9764
; %bb.9759:                             ;   in Loop: Header=BB6_8935 Depth=2
	v_cmp_ne_u16_e32 vcc, s49, v14
	v_bfrev_b32_e32 v16, 1
	s_and_saveexec_b64 s[94:95], vcc
	s_cbranch_execz .LBB6_9763
; %bb.9760:                             ;   in Loop: Header=BB6_8935 Depth=2
	v_and_b32_e32 v25, 0x7f, v8
	v_cmp_ne_u32_e32 vcc, s51, v25
	v_mov_b32_e32 v16, 0x7f800001
	s_and_saveexec_b64 s[30:31], vcc
	s_cbranch_execz .LBB6_9762
; %bb.9761:                             ;   in Loop: Header=BB6_8935 Depth=2
	v_and_b32_e32 v16, 7, v14
	s_waitcnt vmcnt(0)
	v_lshrrev_b32_e32 v27, 3, v25
	v_cmp_gt_u32_e32 vcc, 8, v25
	v_ffbh_u32_e32 v25, v16
	v_min_u32_e32 v28, 32, v25
	v_subrev_u32_e32 v25, 28, v28
	v_lshlrev_b64 v[25:26], v25, v[14:15]
	v_sub_u32_e32 v14, 29, v28
	v_cndmask_b32_e32 v14, v27, v14, vcc
	buffer_load_dword v27, off, s[0:3], s33 offset:88 ; 4-byte Folded Reload
	v_and_b32_e32 v25, 7, v25
	v_cndmask_b32_e32 v16, v16, v25, vcc
	v_lshlrev_b32_e32 v25, 24, v8
	v_bfrev_b32_e32 v4, 60
	v_lshlrev_b32_e32 v16, 20, v16
	v_and_b32_e32 v25, 0x80000000, v25
	v_lshl_add_u32 v14, v14, 23, v4
	v_or3_b32 v16, v25, v14, v16
.LBB6_9762:                             ;   in Loop: Header=BB6_8935 Depth=2
	s_or_b64 exec, exec, s[30:31]
.LBB6_9763:                             ;   in Loop: Header=BB6_8935 Depth=2
	s_or_b64 exec, exec, s[94:95]
.LBB6_9764:                             ;   in Loop: Header=BB6_8935 Depth=2
	s_or_b64 exec, exec, s[92:93]
	v_max_f32_e32 v14, v16, v16
	v_max_f32_e32 v15, v15, v15
	;; [unrolled: 1-line block ×3, first 2 shown]
	s_mov_b64 s[92:93], 0
.LBB6_9765:                             ;   in Loop: Header=BB6_8935 Depth=2
	s_and_b64 vcc, exec, s[92:93]
	s_cbranch_vccz .LBB6_9779
; %bb.9766:                             ;   in Loop: Header=BB6_8935 Depth=2
	v_mov_b32_e32 v15, 0
	v_mov_b32_e32 v14, 0
	s_and_saveexec_b64 s[92:93], s[20:21]
	s_cbranch_execz .LBB6_9772
; %bb.9767:                             ;   in Loop: Header=BB6_8935 Depth=2
	v_cmp_ne_u16_e32 vcc, s49, v2
	v_bfrev_b32_e32 v14, 1
	s_and_saveexec_b64 s[20:21], vcc
	s_cbranch_execz .LBB6_9771
; %bb.9768:                             ;   in Loop: Header=BB6_8935 Depth=2
	v_and_b32_e32 v16, 0x7f, v9
	v_cmp_ne_u32_e32 vcc, s51, v16
	v_mov_b32_e32 v14, 0x7f800001
	s_and_saveexec_b64 s[94:95], vcc
	s_cbranch_execz .LBB6_9770
; %bb.9769:                             ;   in Loop: Header=BB6_8935 Depth=2
	v_and_b32_e32 v14, 7, v2
	s_waitcnt vmcnt(0)
	v_lshrrev_b32_e32 v27, 3, v16
	v_cmp_gt_u32_e32 vcc, 8, v16
	v_ffbh_u32_e32 v16, v14
	v_min_u32_e32 v16, 32, v16
	v_subrev_u32_e32 v25, 28, v16
	v_lshlrev_b64 v[25:26], v25, v[2:3]
	v_sub_u32_e32 v2, 29, v16
	v_cndmask_b32_e32 v2, v27, v2, vcc
	buffer_load_dword v27, off, s[0:3], s33 offset:88 ; 4-byte Folded Reload
	v_and_b32_e32 v16, 7, v25
	v_cndmask_b32_e32 v14, v14, v16, vcc
	v_lshlrev_b32_e32 v9, 24, v9
	v_bfrev_b32_e32 v4, 60
	v_lshlrev_b32_e32 v14, 20, v14
	v_and_b32_e32 v9, 0x80000000, v9
	v_lshl_add_u32 v2, v2, 23, v4
	v_or3_b32 v14, v9, v2, v14
.LBB6_9770:                             ;   in Loop: Header=BB6_8935 Depth=2
	s_or_b64 exec, exec, s[94:95]
.LBB6_9771:                             ;   in Loop: Header=BB6_8935 Depth=2
	s_or_b64 exec, exec, s[20:21]
.LBB6_9772:                             ;   in Loop: Header=BB6_8935 Depth=2
	s_or_b64 exec, exec, s[92:93]
	v_and_b32_e32 v2, 0xff, v8
	v_cmp_ne_u16_e32 vcc, 0, v2
	s_and_saveexec_b64 s[20:21], vcc
	s_cbranch_execz .LBB6_9778
; %bb.9773:                             ;   in Loop: Header=BB6_8935 Depth=2
	v_cmp_ne_u16_e32 vcc, s49, v2
	v_bfrev_b32_e32 v15, 1
	s_and_saveexec_b64 s[92:93], vcc
	s_cbranch_execz .LBB6_9777
; %bb.9774:                             ;   in Loop: Header=BB6_8935 Depth=2
	v_and_b32_e32 v9, 0x7f, v8
	v_cmp_ne_u32_e32 vcc, s51, v9
	v_mov_b32_e32 v15, 0x7f800001
	s_and_saveexec_b64 s[94:95], vcc
	s_cbranch_execz .LBB6_9776
; %bb.9775:                             ;   in Loop: Header=BB6_8935 Depth=2
	v_and_b32_e32 v25, 7, v2
	v_lshrrev_b32_e32 v26, 3, v9
	v_cmp_gt_u32_e32 vcc, 8, v9
	v_ffbh_u32_e32 v9, v25
	v_min_u32_e32 v9, 32, v9
	v_subrev_u32_e32 v15, 28, v9
	v_lshlrev_b64 v[15:16], v15, v[2:3]
	v_sub_u32_e32 v2, 29, v9
	v_and_b32_e32 v9, 7, v15
	v_cndmask_b32_e32 v2, v26, v2, vcc
	v_cndmask_b32_e32 v9, v25, v9, vcc
	v_lshlrev_b32_e32 v8, 24, v8
	v_bfrev_b32_e32 v4, 60
	v_lshlrev_b32_e32 v9, 20, v9
	v_and_b32_e32 v8, 0x80000000, v8
	v_lshl_add_u32 v2, v2, 23, v4
	v_or3_b32 v15, v8, v2, v9
.LBB6_9776:                             ;   in Loop: Header=BB6_8935 Depth=2
	s_or_b64 exec, exec, s[94:95]
.LBB6_9777:                             ;   in Loop: Header=BB6_8935 Depth=2
	s_or_b64 exec, exec, s[92:93]
.LBB6_9778:                             ;   in Loop: Header=BB6_8935 Depth=2
	s_or_b64 exec, exec, s[20:21]
	v_max_f32_e32 v2, v15, v15
	v_max_f32_e32 v8, v14, v14
	v_min_f32_e32 v14, v8, v2
.LBB6_9779:                             ;   in Loop: Header=BB6_8935 Depth=2
	v_and_b32_e32 v2, 0x7f800000, v14
	v_cmp_ne_u64_e32 vcc, s[62:63], v[2:3]
                                        ; implicit-def: $vgpr8
	s_and_saveexec_b64 s[20:21], vcc
	s_xor_b64 s[92:93], exec, s[20:21]
	s_cbranch_execz .LBB6_9797
; %bb.9780:                             ;   in Loop: Header=BB6_8935 Depth=2
	v_and_b32_e32 v2, 0x7fffffff, v14
	v_cmp_gt_u64_e32 vcc, s[72:73], v[2:3]
	v_and_b32_sdwa v9, v14, s49 dst_sel:DWORD dst_unused:UNUSED_PAD src0_sel:BYTE_3 src1_sel:DWORD
                                        ; implicit-def: $vgpr8
	s_and_saveexec_b64 s[20:21], vcc
	s_xor_b64 s[94:95], exec, s[20:21]
	s_cbranch_execz .LBB6_9794
; %bb.9781:                             ;   in Loop: Header=BB6_8935 Depth=2
	v_cmp_ne_u32_e32 vcc, 0, v14
	v_mov_b32_e32 v8, 0
	s_and_saveexec_b64 s[30:31], vcc
	s_cbranch_execz .LBB6_9793
; %bb.9782:                             ;   in Loop: Header=BB6_8935 Depth=2
	v_bfe_u32 v8, v14, 23, 8
	v_and_b32_e32 v2, 0x7fffff, v14
	v_cmp_gt_u32_e64 s[20:21], s53, v8
	v_sub_u32_e32 v14, 0x79, v8
	v_cmp_eq_u32_e32 vcc, 0, v8
	v_cndmask_b32_e64 v14, 0, v14, s[20:21]
	v_mov_b32_e32 v16, 0x78
	v_cndmask_b32_e32 v25, v14, v16, vcc
	v_or_b32_e32 v15, 0x800000, v2
	v_add_u32_e32 v14, 20, v25
	v_cndmask_b32_e32 v2, v15, v2, vcc
	v_lshlrev_b64 v[14:15], v14, -1
	v_add_u32_e32 v16, 19, v25
	s_waitcnt vmcnt(0)
	v_lshlrev_b64 v[26:27], v16, 1
	v_bfi_b32 v15, v15, 0, 0
	v_bfi_b32 v14, v14, 0, v2
	v_cmp_eq_u64_e64 s[20:21], v[14:15], v[26:27]
	v_lshrrev_b64 v[14:15], v25, v[2:3]
	v_mov_b32_e32 v16, v15
	v_mov_b32_e32 v15, v14
	s_and_saveexec_b64 s[34:35], s[20:21]
; %bb.9783:                             ;   in Loop: Header=BB6_8935 Depth=2
	v_bfe_u32 v2, v14, 20, 1
	v_add_co_u32_e64 v2, s[20:21], v14, v2
	v_add_co_u32_e64 v15, s[20:21], -1, v2
; %bb.9784:                             ;   in Loop: Header=BB6_8935 Depth=2
	s_or_b64 exec, exec, s[34:35]
	v_add_u32_e32 v2, 0xffffff81, v8
	v_cndmask_b32_e32 v2, v2, v59, vcc
	v_lshrrev_b32_e32 v8, 23, v14
	v_add3_u32 v25, v25, v2, v8
	v_add_u32_e32 v8, 6, v25
	v_and_b32_e32 v2, 0xfffff, v15
	v_add_u32_e32 v2, v2, v14
	v_cmp_ne_u32_e32 vcc, 0, v8
                                        ; implicit-def: $vgpr14_vgpr15
                                        ; implicit-def: $vgpr16
	s_and_saveexec_b64 s[20:21], vcc
	s_xor_b64 s[20:21], exec, s[20:21]
; %bb.9785:                             ;   in Loop: Header=BB6_8935 Depth=2
	v_cmp_lt_u64_e32 vcc, s[74:75], v[2:3]
	v_add_u32_e32 v14, 7, v25
	v_cndmask_b32_e32 v16, v8, v14, vcc
	v_cndmask_b32_e64 v8, 0, 1, vcc
	v_lshrrev_b64 v[14:15], v8, v[2:3]
; %bb.9786:                             ;   in Loop: Header=BB6_8935 Depth=2
	s_or_saveexec_b64 s[20:21], s[20:21]
	buffer_load_dword v27, off, s[0:3], s33 offset:88 ; 4-byte Folded Reload
	s_xor_b64 exec, exec, s[20:21]
; %bb.9787:                             ;   in Loop: Header=BB6_8935 Depth=2
	v_mov_b32_e32 v15, v3
	v_bfe_u32 v16, v2, 23, 1
	v_mov_b32_e32 v14, v2
; %bb.9788:                             ;   in Loop: Header=BB6_8935 Depth=2
	s_or_b64 exec, exec, s[20:21]
	v_lshrrev_b64 v[14:15], 20, v[14:15]
	v_cmp_gt_i32_e32 vcc, 16, v16
	v_cndmask_b32_e32 v15, 0, v15, vcc
	v_cndmask_b32_e32 v14, 7, v14, vcc
	v_cmp_ne_u64_e32 vcc, 0, v[14:15]
	v_cmp_ne_u32_e64 s[20:21], 0, v16
	s_or_b64 s[20:21], s[20:21], vcc
                                        ; implicit-def: $vgpr8
	s_and_saveexec_b64 vcc, s[20:21]
	s_xor_b64 s[20:21], exec, vcc
; %bb.9789:                             ;   in Loop: Header=BB6_8935 Depth=2
	v_min_i32_e32 v2, 15, v16
	v_lshl_or_b32 v2, v2, 3, v9
	v_and_or_b32 v8, v14, 7, v2
                                        ; implicit-def: $vgpr9
; %bb.9790:                             ;   in Loop: Header=BB6_8935 Depth=2
	s_andn2_saveexec_b64 s[20:21], s[20:21]
; %bb.9791:                             ;   in Loop: Header=BB6_8935 Depth=2
	v_mov_b32_e32 v8, v9
; %bb.9792:                             ;   in Loop: Header=BB6_8935 Depth=2
	s_or_b64 exec, exec, s[20:21]
.LBB6_9793:                             ;   in Loop: Header=BB6_8935 Depth=2
	s_or_b64 exec, exec, s[30:31]
                                        ; implicit-def: $vgpr9
.LBB6_9794:                             ;   in Loop: Header=BB6_8935 Depth=2
	s_andn2_saveexec_b64 s[20:21], s[94:95]
; %bb.9795:                             ;   in Loop: Header=BB6_8935 Depth=2
	v_or_b32_e32 v8, 0x7e, v9
; %bb.9796:                             ;   in Loop: Header=BB6_8935 Depth=2
	s_or_b64 exec, exec, s[20:21]
                                        ; implicit-def: $vgpr14
.LBB6_9797:                             ;   in Loop: Header=BB6_8935 Depth=2
	s_or_saveexec_b64 s[20:21], s[92:93]
	buffer_load_dword v2, off, s[0:3], s33 offset:116 ; 4-byte Folded Reload
	s_xor_b64 exec, exec, s[20:21]
; %bb.9798:                             ;   in Loop: Header=BB6_8935 Depth=2
	v_or_b32_sdwa v8, v14, s51 dst_sel:DWORD dst_unused:UNUSED_PAD src0_sel:BYTE_3 src1_sel:DWORD
; %bb.9799:                             ;   in Loop: Header=BB6_8935 Depth=2
	s_or_b64 exec, exec, s[20:21]
	s_waitcnt vmcnt(0)
	v_and_b32_e32 v2, 0xff, v2
	v_cmp_ne_u16_e64 s[20:21], 0, v2
	s_and_b64 vcc, exec, s[18:19]
	s_mov_b64 s[92:93], -1
                                        ; implicit-def: $vgpr14
	s_cbranch_vccnz .LBB6_9813
; %bb.9800:                             ;   in Loop: Header=BB6_8935 Depth=2
	v_mov_b32_e32 v15, 0
	v_mov_b32_e32 v9, 0
	s_and_saveexec_b64 s[92:93], s[20:21]
	s_cbranch_execz .LBB6_9806
; %bb.9801:                             ;   in Loop: Header=BB6_8935 Depth=2
	v_cmp_ne_u16_e32 vcc, s49, v2
	v_bfrev_b32_e32 v9, 1
	s_and_saveexec_b64 s[94:95], vcc
	s_cbranch_execz .LBB6_9805
; %bb.9802:                             ;   in Loop: Header=BB6_8935 Depth=2
	buffer_load_dword v4, off, s[0:3], s33 offset:116 ; 4-byte Folded Reload
	v_mov_b32_e32 v9, 0x7f800001
	s_waitcnt vmcnt(0)
	v_and_b32_e32 v14, 0x7f, v4
	v_cmp_ne_u32_e32 vcc, s51, v14
	s_and_saveexec_b64 s[30:31], vcc
	s_cbranch_execz .LBB6_9804
; %bb.9803:                             ;   in Loop: Header=BB6_8935 Depth=2
	buffer_load_dword v4, off, s[0:3], s33 offset:116 ; 4-byte Folded Reload
	v_and_b32_e32 v9, 7, v2
	v_lshrrev_b32_e32 v16, 3, v14
	v_cmp_gt_u32_e32 vcc, 8, v14
	v_ffbh_u32_e32 v14, v9
	v_min_u32_e32 v14, 32, v14
	v_subrev_u32_e32 v25, 28, v14
	v_lshlrev_b64 v[25:26], v25, v[2:3]
	v_sub_u32_e32 v14, 29, v14
	v_and_b32_e32 v25, 7, v25
	v_cndmask_b32_e32 v14, v16, v14, vcc
	v_cndmask_b32_e32 v9, v9, v25, vcc
	v_lshlrev_b32_e32 v9, 20, v9
	s_waitcnt vmcnt(0)
	v_lshlrev_b32_e32 v16, 24, v4
	v_bfrev_b32_e32 v4, 60
	v_and_b32_e32 v16, 0x80000000, v16
	v_lshl_add_u32 v14, v14, 23, v4
	v_or3_b32 v9, v16, v14, v9
.LBB6_9804:                             ;   in Loop: Header=BB6_8935 Depth=2
	s_or_b64 exec, exec, s[30:31]
.LBB6_9805:                             ;   in Loop: Header=BB6_8935 Depth=2
	s_or_b64 exec, exec, s[94:95]
.LBB6_9806:                             ;   in Loop: Header=BB6_8935 Depth=2
	s_or_b64 exec, exec, s[92:93]
	v_and_b32_e32 v14, 0xff, v6
	v_cmp_ne_u16_e32 vcc, 0, v14
	s_and_saveexec_b64 s[92:93], vcc
	s_cbranch_execz .LBB6_9812
; %bb.9807:                             ;   in Loop: Header=BB6_8935 Depth=2
	v_cmp_ne_u16_e32 vcc, s49, v14
	v_bfrev_b32_e32 v15, 1
	s_and_saveexec_b64 s[94:95], vcc
	s_cbranch_execz .LBB6_9811
; %bb.9808:                             ;   in Loop: Header=BB6_8935 Depth=2
	v_and_b32_e32 v16, 0x7f, v6
	v_cmp_ne_u32_e32 vcc, s51, v16
	v_mov_b32_e32 v15, 0x7f800001
	s_and_saveexec_b64 s[30:31], vcc
	s_cbranch_execz .LBB6_9810
; %bb.9809:                             ;   in Loop: Header=BB6_8935 Depth=2
	v_and_b32_e32 v25, 7, v14
	v_ffbh_u32_e32 v15, v25
	v_lshrrev_b32_e32 v26, 3, v16
	v_cmp_gt_u32_e32 vcc, 8, v16
	v_min_u32_e32 v16, 32, v15
	v_subrev_u32_e32 v15, 28, v16
	v_lshlrev_b64 v[14:15], v15, v[14:15]
	v_sub_u32_e32 v15, 29, v16
	v_and_b32_e32 v14, 7, v14
	v_cndmask_b32_e32 v15, v26, v15, vcc
	v_cndmask_b32_e32 v14, v25, v14, vcc
	v_lshlrev_b32_e32 v16, 24, v6
	v_bfrev_b32_e32 v4, 60
	v_lshlrev_b32_e32 v14, 20, v14
	v_and_b32_e32 v16, 0x80000000, v16
	v_lshl_add_u32 v15, v15, 23, v4
	v_or3_b32 v15, v16, v15, v14
.LBB6_9810:                             ;   in Loop: Header=BB6_8935 Depth=2
	s_or_b64 exec, exec, s[30:31]
.LBB6_9811:                             ;   in Loop: Header=BB6_8935 Depth=2
	s_or_b64 exec, exec, s[94:95]
.LBB6_9812:                             ;   in Loop: Header=BB6_8935 Depth=2
	s_or_b64 exec, exec, s[92:93]
	v_max_f32_e32 v14, v15, v15
	v_max_f32_e32 v9, v9, v9
	v_max_f32_e32 v14, v9, v14
	s_mov_b64 s[92:93], 0
.LBB6_9813:                             ;   in Loop: Header=BB6_8935 Depth=2
	s_and_b64 vcc, exec, s[92:93]
	s_cbranch_vccz .LBB6_9827
; %bb.9814:                             ;   in Loop: Header=BB6_8935 Depth=2
	v_mov_b32_e32 v14, 0
	v_mov_b32_e32 v9, 0
	s_and_saveexec_b64 s[92:93], s[20:21]
	s_cbranch_execz .LBB6_9820
; %bb.9815:                             ;   in Loop: Header=BB6_8935 Depth=2
	v_cmp_ne_u16_e32 vcc, s49, v2
	v_bfrev_b32_e32 v9, 1
	s_and_saveexec_b64 s[20:21], vcc
	s_cbranch_execz .LBB6_9819
; %bb.9816:                             ;   in Loop: Header=BB6_8935 Depth=2
	buffer_load_dword v4, off, s[0:3], s33 offset:116 ; 4-byte Folded Reload
	v_mov_b32_e32 v9, 0x7f800001
	s_waitcnt vmcnt(0)
	v_and_b32_e32 v15, 0x7f, v4
	v_cmp_ne_u32_e32 vcc, s51, v15
	s_and_saveexec_b64 s[94:95], vcc
	s_cbranch_execz .LBB6_9818
; %bb.9817:                             ;   in Loop: Header=BB6_8935 Depth=2
	v_and_b32_e32 v9, 7, v2
	v_lshrrev_b32_e32 v25, 3, v15
	v_cmp_gt_u32_e32 vcc, 8, v15
	v_ffbh_u32_e32 v15, v9
	v_min_u32_e32 v26, 32, v15
	v_subrev_u32_e32 v15, 28, v26
	v_lshlrev_b64 v[15:16], v15, v[2:3]
	v_sub_u32_e32 v2, 29, v26
	v_and_b32_e32 v15, 7, v15
	v_cndmask_b32_e32 v2, v25, v2, vcc
	v_cndmask_b32_e32 v9, v9, v15, vcc
	v_lshlrev_b32_e32 v6, 24, v4
	v_bfrev_b32_e32 v4, 60
	v_lshlrev_b32_e32 v9, 20, v9
	v_and_b32_e32 v6, 0x80000000, v6
	v_lshl_add_u32 v2, v2, 23, v4
	v_or3_b32 v9, v6, v2, v9
	buffer_load_dword v6, off, s[0:3], s33 offset:124 ; 4-byte Folded Reload
.LBB6_9818:                             ;   in Loop: Header=BB6_8935 Depth=2
	s_or_b64 exec, exec, s[94:95]
.LBB6_9819:                             ;   in Loop: Header=BB6_8935 Depth=2
	s_or_b64 exec, exec, s[20:21]
.LBB6_9820:                             ;   in Loop: Header=BB6_8935 Depth=2
	s_or_b64 exec, exec, s[92:93]
	s_waitcnt vmcnt(0)
	v_and_b32_e32 v2, 0xff, v6
	v_cmp_ne_u16_e32 vcc, 0, v2
	s_and_saveexec_b64 s[20:21], vcc
	s_cbranch_execz .LBB6_9826
; %bb.9821:                             ;   in Loop: Header=BB6_8935 Depth=2
	v_cmp_ne_u16_e32 vcc, s49, v2
	v_bfrev_b32_e32 v14, 1
	s_and_saveexec_b64 s[92:93], vcc
	s_cbranch_execz .LBB6_9825
; %bb.9822:                             ;   in Loop: Header=BB6_8935 Depth=2
	v_mov_b32_e32 v4, v6
	v_and_b32_e32 v6, 0x7f, v4
	v_cmp_ne_u32_e32 vcc, s51, v6
	v_mov_b32_e32 v14, 0x7f800001
	s_and_saveexec_b64 s[94:95], vcc
	s_cbranch_execz .LBB6_9824
; %bb.9823:                             ;   in Loop: Header=BB6_8935 Depth=2
	v_and_b32_e32 v16, 7, v2
	v_lshrrev_b32_e32 v25, 3, v6
	v_cmp_gt_u32_e32 vcc, 8, v6
	v_ffbh_u32_e32 v6, v16
	v_min_u32_e32 v6, 32, v6
	v_subrev_u32_e32 v14, 28, v6
	v_lshlrev_b64 v[14:15], v14, v[2:3]
	v_sub_u32_e32 v2, 29, v6
	v_and_b32_e32 v6, 7, v14
	v_cndmask_b32_e32 v2, v25, v2, vcc
	v_cndmask_b32_e32 v6, v16, v6, vcc
	v_lshlrev_b32_e32 v14, 24, v4
	v_bfrev_b32_e32 v4, 60
	v_lshlrev_b32_e32 v6, 20, v6
	v_and_b32_e32 v14, 0x80000000, v14
	v_lshl_add_u32 v2, v2, 23, v4
	v_or3_b32 v14, v14, v2, v6
.LBB6_9824:                             ;   in Loop: Header=BB6_8935 Depth=2
	s_or_b64 exec, exec, s[94:95]
.LBB6_9825:                             ;   in Loop: Header=BB6_8935 Depth=2
	s_or_b64 exec, exec, s[92:93]
.LBB6_9826:                             ;   in Loop: Header=BB6_8935 Depth=2
	s_or_b64 exec, exec, s[20:21]
	v_max_f32_e32 v2, v14, v14
	v_max_f32_e32 v6, v9, v9
	v_min_f32_e32 v14, v6, v2
.LBB6_9827:                             ;   in Loop: Header=BB6_8935 Depth=2
	v_and_b32_e32 v2, 0x7f800000, v14
	v_cmp_ne_u64_e32 vcc, s[62:63], v[2:3]
                                        ; implicit-def: $vgpr6
	s_and_saveexec_b64 s[20:21], vcc
	s_xor_b64 s[92:93], exec, s[20:21]
	s_cbranch_execz .LBB6_9845
; %bb.9828:                             ;   in Loop: Header=BB6_8935 Depth=2
	v_and_b32_e32 v2, 0x7fffffff, v14
	v_cmp_gt_u64_e32 vcc, s[72:73], v[2:3]
	v_and_b32_sdwa v9, v14, s49 dst_sel:DWORD dst_unused:UNUSED_PAD src0_sel:BYTE_3 src1_sel:DWORD
                                        ; implicit-def: $vgpr6
	s_and_saveexec_b64 s[20:21], vcc
	s_xor_b64 s[94:95], exec, s[20:21]
	s_cbranch_execz .LBB6_9842
; %bb.9829:                             ;   in Loop: Header=BB6_8935 Depth=2
	v_cmp_ne_u32_e32 vcc, 0, v14
	v_mov_b32_e32 v6, 0
	s_and_saveexec_b64 s[30:31], vcc
	s_cbranch_execz .LBB6_9841
; %bb.9830:                             ;   in Loop: Header=BB6_8935 Depth=2
	v_bfe_u32 v6, v14, 23, 8
	v_and_b32_e32 v2, 0x7fffff, v14
	v_cmp_gt_u32_e64 s[20:21], s53, v6
	v_sub_u32_e32 v14, 0x79, v6
	v_cmp_eq_u32_e32 vcc, 0, v6
	v_cndmask_b32_e64 v14, 0, v14, s[20:21]
	v_mov_b32_e32 v16, 0x78
	v_cndmask_b32_e32 v25, v14, v16, vcc
	v_or_b32_e32 v15, 0x800000, v2
	v_add_u32_e32 v14, 20, v25
	v_cndmask_b32_e32 v2, v15, v2, vcc
	v_lshlrev_b64 v[14:15], v14, -1
	v_add_u32_e32 v16, 19, v25
	v_lshlrev_b64 v[26:27], v16, 1
	v_bfi_b32 v15, v15, 0, 0
	v_bfi_b32 v14, v14, 0, v2
	v_cmp_eq_u64_e64 s[20:21], v[14:15], v[26:27]
	v_lshrrev_b64 v[14:15], v25, v[2:3]
	v_mov_b32_e32 v16, v15
	v_mov_b32_e32 v15, v14
	s_and_saveexec_b64 s[34:35], s[20:21]
; %bb.9831:                             ;   in Loop: Header=BB6_8935 Depth=2
	v_bfe_u32 v2, v14, 20, 1
	v_add_co_u32_e64 v2, s[20:21], v14, v2
	v_add_co_u32_e64 v15, s[20:21], -1, v2
; %bb.9832:                             ;   in Loop: Header=BB6_8935 Depth=2
	s_or_b64 exec, exec, s[34:35]
	v_add_u32_e32 v2, 0xffffff81, v6
	v_cndmask_b32_e32 v2, v2, v59, vcc
	v_lshrrev_b32_e32 v6, 23, v14
	v_add3_u32 v25, v25, v2, v6
	v_add_u32_e32 v6, 6, v25
	v_and_b32_e32 v2, 0xfffff, v15
	v_add_u32_e32 v2, v2, v14
	v_cmp_ne_u32_e32 vcc, 0, v6
                                        ; implicit-def: $vgpr14_vgpr15
                                        ; implicit-def: $vgpr16
	s_and_saveexec_b64 s[20:21], vcc
	s_xor_b64 s[20:21], exec, s[20:21]
; %bb.9833:                             ;   in Loop: Header=BB6_8935 Depth=2
	v_cmp_lt_u64_e32 vcc, s[74:75], v[2:3]
	v_add_u32_e32 v14, 7, v25
	v_cndmask_b32_e32 v16, v6, v14, vcc
	v_cndmask_b32_e64 v6, 0, 1, vcc
	v_lshrrev_b64 v[14:15], v6, v[2:3]
; %bb.9834:                             ;   in Loop: Header=BB6_8935 Depth=2
	s_or_saveexec_b64 s[20:21], s[20:21]
	buffer_load_dword v27, off, s[0:3], s33 offset:88 ; 4-byte Folded Reload
	s_xor_b64 exec, exec, s[20:21]
; %bb.9835:                             ;   in Loop: Header=BB6_8935 Depth=2
	v_mov_b32_e32 v15, v3
	v_bfe_u32 v16, v2, 23, 1
	v_mov_b32_e32 v14, v2
; %bb.9836:                             ;   in Loop: Header=BB6_8935 Depth=2
	s_or_b64 exec, exec, s[20:21]
	v_lshrrev_b64 v[14:15], 20, v[14:15]
	v_cmp_gt_i32_e32 vcc, 16, v16
	v_cndmask_b32_e32 v15, 0, v15, vcc
	v_cndmask_b32_e32 v14, 7, v14, vcc
	v_cmp_ne_u64_e32 vcc, 0, v[14:15]
	v_cmp_ne_u32_e64 s[20:21], 0, v16
	s_or_b64 s[20:21], s[20:21], vcc
                                        ; implicit-def: $vgpr6
	s_and_saveexec_b64 vcc, s[20:21]
	s_xor_b64 s[20:21], exec, vcc
; %bb.9837:                             ;   in Loop: Header=BB6_8935 Depth=2
	v_min_i32_e32 v2, 15, v16
	v_lshl_or_b32 v2, v2, 3, v9
	v_and_or_b32 v6, v14, 7, v2
                                        ; implicit-def: $vgpr9
; %bb.9838:                             ;   in Loop: Header=BB6_8935 Depth=2
	s_andn2_saveexec_b64 s[20:21], s[20:21]
; %bb.9839:                             ;   in Loop: Header=BB6_8935 Depth=2
	v_mov_b32_e32 v6, v9
; %bb.9840:                             ;   in Loop: Header=BB6_8935 Depth=2
	s_or_b64 exec, exec, s[20:21]
.LBB6_9841:                             ;   in Loop: Header=BB6_8935 Depth=2
	s_or_b64 exec, exec, s[30:31]
                                        ; implicit-def: $vgpr9
.LBB6_9842:                             ;   in Loop: Header=BB6_8935 Depth=2
	s_andn2_saveexec_b64 s[20:21], s[94:95]
; %bb.9843:                             ;   in Loop: Header=BB6_8935 Depth=2
	v_or_b32_e32 v6, 0x7e, v9
; %bb.9844:                             ;   in Loop: Header=BB6_8935 Depth=2
	s_or_b64 exec, exec, s[20:21]
                                        ; implicit-def: $vgpr14
.LBB6_9845:                             ;   in Loop: Header=BB6_8935 Depth=2
	s_or_saveexec_b64 s[20:21], s[92:93]
	buffer_load_dword v2, off, s[0:3], s33 offset:112 ; 4-byte Folded Reload
	s_xor_b64 exec, exec, s[20:21]
; %bb.9846:                             ;   in Loop: Header=BB6_8935 Depth=2
	v_or_b32_sdwa v6, v14, s51 dst_sel:DWORD dst_unused:UNUSED_PAD src0_sel:BYTE_3 src1_sel:DWORD
; %bb.9847:                             ;   in Loop: Header=BB6_8935 Depth=2
	s_or_b64 exec, exec, s[20:21]
	s_waitcnt vmcnt(0)
	v_and_b32_e32 v2, 0xff, v2
	v_cmp_ne_u16_e64 s[20:21], 0, v2
	s_and_b64 vcc, exec, s[18:19]
	s_mov_b64 s[92:93], -1
                                        ; implicit-def: $vgpr14
	s_cbranch_vccnz .LBB6_9861
; %bb.9848:                             ;   in Loop: Header=BB6_8935 Depth=2
	v_mov_b32_e32 v15, 0
	v_mov_b32_e32 v9, 0
	s_and_saveexec_b64 s[92:93], s[20:21]
	s_cbranch_execz .LBB6_9854
; %bb.9849:                             ;   in Loop: Header=BB6_8935 Depth=2
	v_cmp_ne_u16_e32 vcc, s49, v2
	v_bfrev_b32_e32 v9, 1
	s_and_saveexec_b64 s[94:95], vcc
	s_cbranch_execz .LBB6_9853
; %bb.9850:                             ;   in Loop: Header=BB6_8935 Depth=2
	buffer_load_dword v4, off, s[0:3], s33 offset:112 ; 4-byte Folded Reload
	v_mov_b32_e32 v9, 0x7f800001
	s_waitcnt vmcnt(0)
	v_and_b32_e32 v14, 0x7f, v4
	v_cmp_ne_u32_e32 vcc, s51, v14
	s_and_saveexec_b64 s[30:31], vcc
	s_cbranch_execz .LBB6_9852
; %bb.9851:                             ;   in Loop: Header=BB6_8935 Depth=2
	buffer_load_dword v4, off, s[0:3], s33 offset:112 ; 4-byte Folded Reload
	v_and_b32_e32 v9, 7, v2
	v_lshrrev_b32_e32 v16, 3, v14
	v_cmp_gt_u32_e32 vcc, 8, v14
	v_ffbh_u32_e32 v14, v9
	v_min_u32_e32 v14, 32, v14
	v_subrev_u32_e32 v25, 28, v14
	v_lshlrev_b64 v[25:26], v25, v[2:3]
	v_sub_u32_e32 v14, 29, v14
	v_and_b32_e32 v25, 7, v25
	v_cndmask_b32_e32 v14, v16, v14, vcc
	v_cndmask_b32_e32 v9, v9, v25, vcc
	v_lshlrev_b32_e32 v9, 20, v9
	s_waitcnt vmcnt(0)
	v_lshlrev_b32_e32 v16, 24, v4
	v_bfrev_b32_e32 v4, 60
	v_and_b32_e32 v16, 0x80000000, v16
	v_lshl_add_u32 v14, v14, 23, v4
	v_or3_b32 v9, v16, v14, v9
.LBB6_9852:                             ;   in Loop: Header=BB6_8935 Depth=2
	s_or_b64 exec, exec, s[30:31]
.LBB6_9853:                             ;   in Loop: Header=BB6_8935 Depth=2
	s_or_b64 exec, exec, s[94:95]
.LBB6_9854:                             ;   in Loop: Header=BB6_8935 Depth=2
	s_or_b64 exec, exec, s[92:93]
	v_and_b32_e32 v14, 0xff, v18
	v_cmp_ne_u16_e32 vcc, 0, v14
	s_and_saveexec_b64 s[92:93], vcc
	s_cbranch_execz .LBB6_9860
; %bb.9855:                             ;   in Loop: Header=BB6_8935 Depth=2
	v_cmp_ne_u16_e32 vcc, s49, v14
	v_bfrev_b32_e32 v15, 1
	s_and_saveexec_b64 s[94:95], vcc
	s_cbranch_execz .LBB6_9859
; %bb.9856:                             ;   in Loop: Header=BB6_8935 Depth=2
	v_and_b32_e32 v16, 0x7f, v18
	v_cmp_ne_u32_e32 vcc, s51, v16
	v_mov_b32_e32 v15, 0x7f800001
	s_and_saveexec_b64 s[30:31], vcc
	s_cbranch_execz .LBB6_9858
; %bb.9857:                             ;   in Loop: Header=BB6_8935 Depth=2
	v_and_b32_e32 v25, 7, v14
	v_ffbh_u32_e32 v15, v25
	v_lshrrev_b32_e32 v26, 3, v16
	v_cmp_gt_u32_e32 vcc, 8, v16
	v_min_u32_e32 v16, 32, v15
	v_subrev_u32_e32 v15, 28, v16
	v_lshlrev_b64 v[14:15], v15, v[14:15]
	v_sub_u32_e32 v15, 29, v16
	v_and_b32_e32 v14, 7, v14
	v_cndmask_b32_e32 v15, v26, v15, vcc
	v_cndmask_b32_e32 v14, v25, v14, vcc
	v_lshlrev_b32_e32 v16, 24, v18
	v_bfrev_b32_e32 v4, 60
	v_lshlrev_b32_e32 v14, 20, v14
	v_and_b32_e32 v16, 0x80000000, v16
	v_lshl_add_u32 v15, v15, 23, v4
	v_or3_b32 v15, v16, v15, v14
.LBB6_9858:                             ;   in Loop: Header=BB6_8935 Depth=2
	s_or_b64 exec, exec, s[30:31]
.LBB6_9859:                             ;   in Loop: Header=BB6_8935 Depth=2
	s_or_b64 exec, exec, s[94:95]
.LBB6_9860:                             ;   in Loop: Header=BB6_8935 Depth=2
	s_or_b64 exec, exec, s[92:93]
	v_max_f32_e32 v14, v15, v15
	v_max_f32_e32 v9, v9, v9
	;; [unrolled: 1-line block ×3, first 2 shown]
	s_mov_b64 s[92:93], 0
.LBB6_9861:                             ;   in Loop: Header=BB6_8935 Depth=2
	s_and_b64 vcc, exec, s[92:93]
	s_cbranch_vccz .LBB6_9875
; %bb.9862:                             ;   in Loop: Header=BB6_8935 Depth=2
	v_mov_b32_e32 v14, 0
	v_mov_b32_e32 v9, 0
	s_and_saveexec_b64 s[92:93], s[20:21]
	s_cbranch_execz .LBB6_9868
; %bb.9863:                             ;   in Loop: Header=BB6_8935 Depth=2
	v_cmp_ne_u16_e32 vcc, s49, v2
	v_bfrev_b32_e32 v9, 1
	s_and_saveexec_b64 s[20:21], vcc
	s_cbranch_execz .LBB6_9867
; %bb.9864:                             ;   in Loop: Header=BB6_8935 Depth=2
	buffer_load_dword v4, off, s[0:3], s33 offset:112 ; 4-byte Folded Reload
	v_mov_b32_e32 v9, 0x7f800001
	s_waitcnt vmcnt(0)
	v_and_b32_e32 v15, 0x7f, v4
	v_cmp_ne_u32_e32 vcc, s51, v15
	s_and_saveexec_b64 s[94:95], vcc
	s_cbranch_execz .LBB6_9866
; %bb.9865:                             ;   in Loop: Header=BB6_8935 Depth=2
	v_and_b32_e32 v9, 7, v2
	v_lshrrev_b32_e32 v25, 3, v15
	v_cmp_gt_u32_e32 vcc, 8, v15
	v_ffbh_u32_e32 v15, v9
	v_min_u32_e32 v26, 32, v15
	v_subrev_u32_e32 v15, 28, v26
	v_lshlrev_b64 v[15:16], v15, v[2:3]
	v_sub_u32_e32 v2, 29, v26
	v_and_b32_e32 v15, 7, v15
	v_cndmask_b32_e32 v2, v25, v2, vcc
	v_cndmask_b32_e32 v9, v9, v15, vcc
	v_lshlrev_b32_e32 v4, 24, v4
	v_bfrev_b32_e32 v15, 60
	v_lshlrev_b32_e32 v9, 20, v9
	v_and_b32_e32 v4, 0x80000000, v4
	v_lshl_add_u32 v2, v2, 23, v15
	v_or3_b32 v9, v4, v2, v9
.LBB6_9866:                             ;   in Loop: Header=BB6_8935 Depth=2
	s_or_b64 exec, exec, s[94:95]
.LBB6_9867:                             ;   in Loop: Header=BB6_8935 Depth=2
	s_or_b64 exec, exec, s[20:21]
.LBB6_9868:                             ;   in Loop: Header=BB6_8935 Depth=2
	s_or_b64 exec, exec, s[92:93]
	v_and_b32_e32 v2, 0xff, v18
	v_cmp_ne_u16_e32 vcc, 0, v2
	s_and_saveexec_b64 s[20:21], vcc
	s_cbranch_execz .LBB6_9874
; %bb.9869:                             ;   in Loop: Header=BB6_8935 Depth=2
	v_cmp_ne_u16_e32 vcc, s49, v2
	v_bfrev_b32_e32 v14, 1
	s_and_saveexec_b64 s[92:93], vcc
	s_cbranch_execz .LBB6_9873
; %bb.9870:                             ;   in Loop: Header=BB6_8935 Depth=2
	v_and_b32_e32 v4, 0x7f, v18
	v_cmp_ne_u32_e32 vcc, s51, v4
	v_mov_b32_e32 v14, 0x7f800001
	s_and_saveexec_b64 s[94:95], vcc
	s_cbranch_execz .LBB6_9872
; %bb.9871:                             ;   in Loop: Header=BB6_8935 Depth=2
	v_and_b32_e32 v16, 7, v2
	v_lshrrev_b32_e32 v25, 3, v4
	v_cmp_gt_u32_e32 vcc, 8, v4
	v_ffbh_u32_e32 v4, v16
	v_min_u32_e32 v4, 32, v4
	v_subrev_u32_e32 v14, 28, v4
	v_lshlrev_b64 v[14:15], v14, v[2:3]
	v_sub_u32_e32 v2, 29, v4
	v_and_b32_e32 v4, 7, v14
	v_cndmask_b32_e32 v2, v25, v2, vcc
	v_cndmask_b32_e32 v4, v16, v4, vcc
	v_lshlrev_b32_e32 v14, 24, v18
	v_bfrev_b32_e32 v15, 60
	v_lshlrev_b32_e32 v4, 20, v4
	v_and_b32_e32 v14, 0x80000000, v14
	v_lshl_add_u32 v2, v2, 23, v15
	v_or3_b32 v14, v14, v2, v4
.LBB6_9872:                             ;   in Loop: Header=BB6_8935 Depth=2
	s_or_b64 exec, exec, s[94:95]
.LBB6_9873:                             ;   in Loop: Header=BB6_8935 Depth=2
	s_or_b64 exec, exec, s[92:93]
.LBB6_9874:                             ;   in Loop: Header=BB6_8935 Depth=2
	s_or_b64 exec, exec, s[20:21]
	v_max_f32_e32 v2, v14, v14
	v_max_f32_e32 v4, v9, v9
	v_min_f32_e32 v14, v4, v2
.LBB6_9875:                             ;   in Loop: Header=BB6_8935 Depth=2
	v_and_b32_e32 v2, 0x7f800000, v14
	v_cmp_ne_u64_e32 vcc, s[62:63], v[2:3]
                                        ; implicit-def: $vgpr4
	s_and_saveexec_b64 s[20:21], vcc
	s_xor_b64 s[92:93], exec, s[20:21]
	s_cbranch_execz .LBB6_9893
; %bb.9876:                             ;   in Loop: Header=BB6_8935 Depth=2
	v_and_b32_e32 v2, 0x7fffffff, v14
	v_cmp_gt_u64_e32 vcc, s[72:73], v[2:3]
	v_and_b32_sdwa v9, v14, s49 dst_sel:DWORD dst_unused:UNUSED_PAD src0_sel:BYTE_3 src1_sel:DWORD
                                        ; implicit-def: $vgpr4
	s_and_saveexec_b64 s[20:21], vcc
	s_xor_b64 s[94:95], exec, s[20:21]
	s_cbranch_execz .LBB6_9890
; %bb.9877:                             ;   in Loop: Header=BB6_8935 Depth=2
	v_cmp_ne_u32_e32 vcc, 0, v14
	v_mov_b32_e32 v4, 0
	s_and_saveexec_b64 s[30:31], vcc
	s_cbranch_execz .LBB6_9889
; %bb.9878:                             ;   in Loop: Header=BB6_8935 Depth=2
	v_bfe_u32 v4, v14, 23, 8
	v_and_b32_e32 v2, 0x7fffff, v14
	v_cmp_gt_u32_e64 s[20:21], s53, v4
	v_sub_u32_e32 v14, 0x79, v4
	v_cmp_eq_u32_e32 vcc, 0, v4
	v_cndmask_b32_e64 v14, 0, v14, s[20:21]
	v_mov_b32_e32 v16, 0x78
	v_cndmask_b32_e32 v18, v14, v16, vcc
	v_or_b32_e32 v15, 0x800000, v2
	v_add_u32_e32 v14, 20, v18
	v_cndmask_b32_e32 v2, v15, v2, vcc
	v_lshlrev_b64 v[14:15], v14, -1
	v_add_u32_e32 v16, 19, v18
	v_lshlrev_b64 v[25:26], v16, 1
	v_bfi_b32 v15, v15, 0, 0
	v_bfi_b32 v14, v14, 0, v2
	v_cmp_eq_u64_e64 s[20:21], v[14:15], v[25:26]
	v_lshrrev_b64 v[14:15], v18, v[2:3]
	v_mov_b32_e32 v16, v15
	v_mov_b32_e32 v15, v14
	s_and_saveexec_b64 s[34:35], s[20:21]
; %bb.9879:                             ;   in Loop: Header=BB6_8935 Depth=2
	v_bfe_u32 v2, v14, 20, 1
	v_add_co_u32_e64 v2, s[20:21], v14, v2
	v_add_co_u32_e64 v15, s[20:21], -1, v2
; %bb.9880:                             ;   in Loop: Header=BB6_8935 Depth=2
	s_or_b64 exec, exec, s[34:35]
	v_add_u32_e32 v2, 0xffffff81, v4
	v_cndmask_b32_e32 v2, v2, v59, vcc
	v_lshrrev_b32_e32 v4, 23, v14
	v_add3_u32 v18, v18, v2, v4
	v_add_u32_e32 v4, 6, v18
	v_and_b32_e32 v2, 0xfffff, v15
	v_add_u32_e32 v2, v2, v14
	v_cmp_ne_u32_e32 vcc, 0, v4
                                        ; implicit-def: $vgpr14_vgpr15
                                        ; implicit-def: $vgpr16
	s_and_saveexec_b64 s[20:21], vcc
	s_xor_b64 s[20:21], exec, s[20:21]
; %bb.9881:                             ;   in Loop: Header=BB6_8935 Depth=2
	v_cmp_lt_u64_e32 vcc, s[74:75], v[2:3]
	v_add_u32_e32 v14, 7, v18
	v_cndmask_b32_e32 v16, v4, v14, vcc
	v_cndmask_b32_e64 v4, 0, 1, vcc
	v_lshrrev_b64 v[14:15], v4, v[2:3]
; %bb.9882:                             ;   in Loop: Header=BB6_8935 Depth=2
	s_andn2_saveexec_b64 s[20:21], s[20:21]
; %bb.9883:                             ;   in Loop: Header=BB6_8935 Depth=2
	v_mov_b32_e32 v15, v3
	v_bfe_u32 v16, v2, 23, 1
	v_mov_b32_e32 v14, v2
; %bb.9884:                             ;   in Loop: Header=BB6_8935 Depth=2
	s_or_b64 exec, exec, s[20:21]
	v_lshrrev_b64 v[14:15], 20, v[14:15]
	v_cmp_gt_i32_e32 vcc, 16, v16
	v_cndmask_b32_e32 v15, 0, v15, vcc
	v_cndmask_b32_e32 v14, 7, v14, vcc
	v_cmp_ne_u64_e32 vcc, 0, v[14:15]
	v_cmp_ne_u32_e64 s[20:21], 0, v16
	s_or_b64 s[20:21], s[20:21], vcc
                                        ; implicit-def: $vgpr4
	s_and_saveexec_b64 vcc, s[20:21]
	s_xor_b64 s[20:21], exec, vcc
; %bb.9885:                             ;   in Loop: Header=BB6_8935 Depth=2
	v_min_i32_e32 v2, 15, v16
	v_lshl_or_b32 v2, v2, 3, v9
	v_and_or_b32 v4, v14, 7, v2
                                        ; implicit-def: $vgpr9
; %bb.9886:                             ;   in Loop: Header=BB6_8935 Depth=2
	s_andn2_saveexec_b64 s[20:21], s[20:21]
; %bb.9887:                             ;   in Loop: Header=BB6_8935 Depth=2
	v_mov_b32_e32 v4, v9
; %bb.9888:                             ;   in Loop: Header=BB6_8935 Depth=2
	s_or_b64 exec, exec, s[20:21]
.LBB6_9889:                             ;   in Loop: Header=BB6_8935 Depth=2
	s_or_b64 exec, exec, s[30:31]
                                        ; implicit-def: $vgpr9
.LBB6_9890:                             ;   in Loop: Header=BB6_8935 Depth=2
	s_andn2_saveexec_b64 s[20:21], s[94:95]
; %bb.9891:                             ;   in Loop: Header=BB6_8935 Depth=2
	v_or_b32_e32 v4, 0x7e, v9
; %bb.9892:                             ;   in Loop: Header=BB6_8935 Depth=2
	s_or_b64 exec, exec, s[20:21]
                                        ; implicit-def: $vgpr14
.LBB6_9893:                             ;   in Loop: Header=BB6_8935 Depth=2
	s_or_saveexec_b64 s[20:21], s[92:93]
	buffer_load_dword v2, off, s[0:3], s33 offset:108 ; 4-byte Folded Reload
	s_xor_b64 exec, exec, s[20:21]
; %bb.9894:                             ;   in Loop: Header=BB6_8935 Depth=2
	v_or_b32_sdwa v4, v14, s51 dst_sel:DWORD dst_unused:UNUSED_PAD src0_sel:BYTE_3 src1_sel:DWORD
; %bb.9895:                             ;   in Loop: Header=BB6_8935 Depth=2
	s_or_b64 exec, exec, s[20:21]
	s_waitcnt vmcnt(0)
	v_and_b32_e32 v2, 0xff, v2
	v_cmp_ne_u16_e64 s[20:21], 0, v2
	s_and_b64 vcc, exec, s[18:19]
	s_mov_b64 s[92:93], -1
                                        ; implicit-def: $vgpr14
	s_cbranch_vccnz .LBB6_9909
; %bb.9896:                             ;   in Loop: Header=BB6_8935 Depth=2
	v_mov_b32_e32 v15, 0
	v_mov_b32_e32 v9, 0
	s_and_saveexec_b64 s[92:93], s[20:21]
	s_cbranch_execz .LBB6_9902
; %bb.9897:                             ;   in Loop: Header=BB6_8935 Depth=2
	v_cmp_ne_u16_e32 vcc, s49, v2
	v_bfrev_b32_e32 v9, 1
	s_and_saveexec_b64 s[94:95], vcc
	s_cbranch_execz .LBB6_9901
; %bb.9898:                             ;   in Loop: Header=BB6_8935 Depth=2
	buffer_load_dword v9, off, s[0:3], s33 offset:108 ; 4-byte Folded Reload
	s_waitcnt vmcnt(0)
	v_and_b32_e32 v14, 0x7f, v9
	v_cmp_ne_u32_e32 vcc, s51, v14
	v_mov_b32_e32 v9, 0x7f800001
	s_and_saveexec_b64 s[30:31], vcc
	s_cbranch_execz .LBB6_9900
; %bb.9899:                             ;   in Loop: Header=BB6_8935 Depth=2
	v_and_b32_e32 v9, 7, v2
	v_lshrrev_b32_e32 v16, 3, v14
	v_cmp_gt_u32_e32 vcc, 8, v14
	v_ffbh_u32_e32 v14, v9
	v_min_u32_e32 v14, 32, v14
	v_subrev_u32_e32 v18, 28, v14
	v_sub_u32_e32 v14, 29, v14
	v_cndmask_b32_e32 v14, v16, v14, vcc
	buffer_load_dword v16, off, s[0:3], s33 offset:108 ; 4-byte Folded Reload
	v_lshlrev_b64 v[25:26], v18, v[2:3]
	v_bfrev_b32_e32 v17, 60
	v_and_b32_e32 v18, 7, v25
	v_cndmask_b32_e32 v9, v9, v18, vcc
	v_lshlrev_b32_e32 v9, 20, v9
	v_lshl_add_u32 v14, v14, 23, v17
	s_waitcnt vmcnt(0)
	v_lshlrev_b32_e32 v16, 24, v16
	v_and_b32_e32 v16, 0x80000000, v16
	v_or3_b32 v9, v16, v14, v9
.LBB6_9900:                             ;   in Loop: Header=BB6_8935 Depth=2
	s_or_b64 exec, exec, s[30:31]
.LBB6_9901:                             ;   in Loop: Header=BB6_8935 Depth=2
	s_or_b64 exec, exec, s[94:95]
.LBB6_9902:                             ;   in Loop: Header=BB6_8935 Depth=2
	s_or_b64 exec, exec, s[92:93]
	buffer_load_dword v14, off, s[0:3], s33 offset:104 ; 4-byte Folded Reload
	s_waitcnt vmcnt(0)
	v_and_b32_e32 v14, 0xff, v14
	v_cmp_ne_u16_e32 vcc, 0, v14
	s_and_saveexec_b64 s[92:93], vcc
	s_cbranch_execz .LBB6_9908
; %bb.9903:                             ;   in Loop: Header=BB6_8935 Depth=2
	v_cmp_ne_u16_e32 vcc, s49, v14
	v_bfrev_b32_e32 v15, 1
	s_and_saveexec_b64 s[94:95], vcc
	s_cbranch_execz .LBB6_9907
; %bb.9904:                             ;   in Loop: Header=BB6_8935 Depth=2
	buffer_load_dword v15, off, s[0:3], s33 offset:104 ; 4-byte Folded Reload
	s_waitcnt vmcnt(0)
	v_and_b32_e32 v16, 0x7f, v15
	v_cmp_ne_u32_e32 vcc, s51, v16
	v_mov_b32_e32 v15, 0x7f800001
	s_and_saveexec_b64 s[30:31], vcc
	s_cbranch_execz .LBB6_9906
; %bb.9905:                             ;   in Loop: Header=BB6_8935 Depth=2
	v_and_b32_e32 v18, 7, v14
	v_ffbh_u32_e32 v15, v18
	v_lshrrev_b32_e32 v25, 3, v16
	v_cmp_gt_u32_e32 vcc, 8, v16
	v_min_u32_e32 v16, 32, v15
	v_subrev_u32_e32 v15, 28, v16
	v_lshlrev_b64 v[14:15], v15, v[14:15]
	v_sub_u32_e32 v15, 29, v16
	buffer_load_dword v16, off, s[0:3], s33 offset:104 ; 4-byte Folded Reload
	v_and_b32_e32 v14, 7, v14
	v_cndmask_b32_e32 v15, v25, v15, vcc
	v_cndmask_b32_e32 v14, v18, v14, vcc
	v_bfrev_b32_e32 v17, 60
	v_lshlrev_b32_e32 v14, 20, v14
	v_lshl_add_u32 v15, v15, 23, v17
	s_waitcnt vmcnt(0)
	v_lshlrev_b32_e32 v16, 24, v16
	v_and_b32_e32 v16, 0x80000000, v16
	v_or3_b32 v15, v16, v15, v14
.LBB6_9906:                             ;   in Loop: Header=BB6_8935 Depth=2
	s_or_b64 exec, exec, s[30:31]
.LBB6_9907:                             ;   in Loop: Header=BB6_8935 Depth=2
	s_or_b64 exec, exec, s[94:95]
.LBB6_9908:                             ;   in Loop: Header=BB6_8935 Depth=2
	s_or_b64 exec, exec, s[92:93]
	v_max_f32_e32 v14, v15, v15
	v_max_f32_e32 v9, v9, v9
	;; [unrolled: 1-line block ×3, first 2 shown]
	s_mov_b64 s[92:93], 0
.LBB6_9909:                             ;   in Loop: Header=BB6_8935 Depth=2
	s_and_b64 vcc, exec, s[92:93]
	s_cbranch_vccz .LBB6_9923
; %bb.9910:                             ;   in Loop: Header=BB6_8935 Depth=2
	v_mov_b32_e32 v14, 0
	v_mov_b32_e32 v9, 0
	s_and_saveexec_b64 s[92:93], s[20:21]
	s_cbranch_execz .LBB6_9916
; %bb.9911:                             ;   in Loop: Header=BB6_8935 Depth=2
	v_cmp_ne_u16_e32 vcc, s49, v2
	v_bfrev_b32_e32 v9, 1
	s_and_saveexec_b64 s[20:21], vcc
	s_cbranch_execz .LBB6_9915
; %bb.9912:                             ;   in Loop: Header=BB6_8935 Depth=2
	buffer_load_dword v17, off, s[0:3], s33 offset:108 ; 4-byte Folded Reload
	v_mov_b32_e32 v9, 0x7f800001
	s_waitcnt vmcnt(0)
	v_and_b32_e32 v15, 0x7f, v17
	v_cmp_ne_u32_e32 vcc, s51, v15
	s_and_saveexec_b64 s[94:95], vcc
	s_cbranch_execz .LBB6_9914
; %bb.9913:                             ;   in Loop: Header=BB6_8935 Depth=2
	v_and_b32_e32 v9, 7, v2
	v_lshrrev_b32_e32 v18, 3, v15
	v_cmp_gt_u32_e32 vcc, 8, v15
	v_ffbh_u32_e32 v15, v9
	v_min_u32_e32 v25, 32, v15
	v_subrev_u32_e32 v15, 28, v25
	v_lshlrev_b64 v[15:16], v15, v[2:3]
	v_sub_u32_e32 v2, 29, v25
	v_and_b32_e32 v15, 7, v15
	v_cndmask_b32_e32 v2, v18, v2, vcc
	v_cndmask_b32_e32 v9, v9, v15, vcc
	v_lshlrev_b32_e32 v15, 24, v17
	v_bfrev_b32_e32 v16, 60
	v_lshlrev_b32_e32 v9, 20, v9
	v_and_b32_e32 v15, 0x80000000, v15
	v_lshl_add_u32 v2, v2, 23, v16
	v_or3_b32 v9, v15, v2, v9
.LBB6_9914:                             ;   in Loop: Header=BB6_8935 Depth=2
	s_or_b64 exec, exec, s[94:95]
.LBB6_9915:                             ;   in Loop: Header=BB6_8935 Depth=2
	s_or_b64 exec, exec, s[20:21]
.LBB6_9916:                             ;   in Loop: Header=BB6_8935 Depth=2
	s_or_b64 exec, exec, s[92:93]
	buffer_load_dword v2, off, s[0:3], s33 offset:104 ; 4-byte Folded Reload
	s_waitcnt vmcnt(0)
	v_and_b32_e32 v2, 0xff, v2
	v_cmp_ne_u16_e32 vcc, 0, v2
	s_and_saveexec_b64 s[20:21], vcc
	s_cbranch_execz .LBB6_9922
; %bb.9917:                             ;   in Loop: Header=BB6_8935 Depth=2
	v_cmp_ne_u16_e32 vcc, s49, v2
	v_bfrev_b32_e32 v14, 1
	s_and_saveexec_b64 s[92:93], vcc
	s_cbranch_execz .LBB6_9921
; %bb.9918:                             ;   in Loop: Header=BB6_8935 Depth=2
	buffer_load_dword v25, off, s[0:3], s33 offset:104 ; 4-byte Folded Reload
	v_mov_b32_e32 v14, 0x7f800001
	s_waitcnt vmcnt(0)
	v_and_b32_e32 v15, 0x7f, v25
	v_cmp_ne_u32_e32 vcc, s51, v15
	s_and_saveexec_b64 s[94:95], vcc
	s_cbranch_execz .LBB6_9920
; %bb.9919:                             ;   in Loop: Header=BB6_8935 Depth=2
	v_and_b32_e32 v16, 7, v2
	v_ffbh_u32_e32 v14, v16
	v_min_u32_e32 v18, 32, v14
	v_subrev_u32_e32 v14, 28, v18
	v_lshrrev_b32_e32 v17, 3, v15
	v_cmp_gt_u32_e32 vcc, 8, v15
	v_lshlrev_b64 v[14:15], v14, v[2:3]
	v_sub_u32_e32 v2, 29, v18
	v_and_b32_e32 v14, 7, v14
	v_cndmask_b32_e32 v2, v17, v2, vcc
	v_cndmask_b32_e32 v14, v16, v14, vcc
	v_lshlrev_b32_e32 v15, 24, v25
	v_bfrev_b32_e32 v16, 60
	v_lshlrev_b32_e32 v14, 20, v14
	v_and_b32_e32 v15, 0x80000000, v15
	v_lshl_add_u32 v2, v2, 23, v16
	v_or3_b32 v14, v15, v2, v14
.LBB6_9920:                             ;   in Loop: Header=BB6_8935 Depth=2
	s_or_b64 exec, exec, s[94:95]
.LBB6_9921:                             ;   in Loop: Header=BB6_8935 Depth=2
	s_or_b64 exec, exec, s[92:93]
.LBB6_9922:                             ;   in Loop: Header=BB6_8935 Depth=2
	s_or_b64 exec, exec, s[20:21]
	v_max_f32_e32 v2, v14, v14
	v_max_f32_e32 v9, v9, v9
	v_min_f32_e32 v14, v9, v2
.LBB6_9923:                             ;   in Loop: Header=BB6_8935 Depth=2
	v_and_b32_e32 v2, 0x7f800000, v14
	v_cmp_ne_u64_e32 vcc, s[62:63], v[2:3]
                                        ; implicit-def: $vgpr9
	s_and_saveexec_b64 s[20:21], vcc
	s_xor_b64 s[92:93], exec, s[20:21]
	s_cbranch_execz .LBB6_9941
; %bb.9924:                             ;   in Loop: Header=BB6_8935 Depth=2
	v_and_b32_e32 v2, 0x7fffffff, v14
	v_cmp_gt_u64_e32 vcc, s[72:73], v[2:3]
	v_and_b32_sdwa v17, v14, s49 dst_sel:DWORD dst_unused:UNUSED_PAD src0_sel:BYTE_3 src1_sel:DWORD
                                        ; implicit-def: $vgpr9
	s_and_saveexec_b64 s[20:21], vcc
	s_xor_b64 s[94:95], exec, s[20:21]
	s_cbranch_execz .LBB6_9938
; %bb.9925:                             ;   in Loop: Header=BB6_8935 Depth=2
	v_cmp_ne_u32_e32 vcc, 0, v14
	v_mov_b32_e32 v9, 0
	s_and_saveexec_b64 s[30:31], vcc
	s_cbranch_execz .LBB6_9937
; %bb.9926:                             ;   in Loop: Header=BB6_8935 Depth=2
	v_bfe_u32 v9, v14, 23, 8
	v_and_b32_e32 v2, 0x7fffff, v14
	v_cmp_gt_u32_e64 s[20:21], s53, v9
	v_sub_u32_e32 v14, 0x79, v9
	v_cmp_eq_u32_e32 vcc, 0, v9
	v_cndmask_b32_e64 v14, 0, v14, s[20:21]
	v_mov_b32_e32 v16, 0x78
	v_cndmask_b32_e32 v18, v14, v16, vcc
	v_or_b32_e32 v15, 0x800000, v2
	v_add_u32_e32 v14, 20, v18
	v_cndmask_b32_e32 v2, v15, v2, vcc
	v_lshlrev_b64 v[14:15], v14, -1
	v_add_u32_e32 v16, 19, v18
	v_lshlrev_b64 v[25:26], v16, 1
	v_bfi_b32 v15, v15, 0, 0
	v_bfi_b32 v14, v14, 0, v2
	v_cmp_eq_u64_e64 s[20:21], v[14:15], v[25:26]
	v_lshrrev_b64 v[14:15], v18, v[2:3]
	v_mov_b32_e32 v16, v15
	v_mov_b32_e32 v15, v14
	s_and_saveexec_b64 s[34:35], s[20:21]
; %bb.9927:                             ;   in Loop: Header=BB6_8935 Depth=2
	v_bfe_u32 v2, v14, 20, 1
	v_add_co_u32_e64 v2, s[20:21], v14, v2
	v_add_co_u32_e64 v15, s[20:21], -1, v2
; %bb.9928:                             ;   in Loop: Header=BB6_8935 Depth=2
	s_or_b64 exec, exec, s[34:35]
	v_add_u32_e32 v2, 0xffffff81, v9
	v_cndmask_b32_e32 v2, v2, v59, vcc
	v_lshrrev_b32_e32 v9, 23, v14
	v_add3_u32 v18, v18, v2, v9
	v_add_u32_e32 v9, 6, v18
	v_and_b32_e32 v2, 0xfffff, v15
	v_add_u32_e32 v2, v2, v14
	v_cmp_ne_u32_e32 vcc, 0, v9
                                        ; implicit-def: $vgpr14_vgpr15
                                        ; implicit-def: $vgpr16
	s_and_saveexec_b64 s[20:21], vcc
	s_xor_b64 s[20:21], exec, s[20:21]
; %bb.9929:                             ;   in Loop: Header=BB6_8935 Depth=2
	v_cmp_lt_u64_e32 vcc, s[74:75], v[2:3]
	v_add_u32_e32 v14, 7, v18
	v_cndmask_b32_e32 v16, v9, v14, vcc
	v_cndmask_b32_e64 v9, 0, 1, vcc
	v_lshrrev_b64 v[14:15], v9, v[2:3]
; %bb.9930:                             ;   in Loop: Header=BB6_8935 Depth=2
	s_andn2_saveexec_b64 s[20:21], s[20:21]
; %bb.9931:                             ;   in Loop: Header=BB6_8935 Depth=2
	v_mov_b32_e32 v15, v3
	v_bfe_u32 v16, v2, 23, 1
	v_mov_b32_e32 v14, v2
; %bb.9932:                             ;   in Loop: Header=BB6_8935 Depth=2
	s_or_b64 exec, exec, s[20:21]
	v_lshrrev_b64 v[14:15], 20, v[14:15]
	v_cmp_gt_i32_e32 vcc, 16, v16
	v_cndmask_b32_e32 v15, 0, v15, vcc
	v_cndmask_b32_e32 v14, 7, v14, vcc
	v_cmp_ne_u64_e32 vcc, 0, v[14:15]
	v_cmp_ne_u32_e64 s[20:21], 0, v16
	s_or_b64 s[20:21], s[20:21], vcc
                                        ; implicit-def: $vgpr9
	s_and_saveexec_b64 vcc, s[20:21]
	s_xor_b64 s[20:21], exec, vcc
; %bb.9933:                             ;   in Loop: Header=BB6_8935 Depth=2
	v_min_i32_e32 v2, 15, v16
	v_lshl_or_b32 v2, v2, 3, v17
	v_and_or_b32 v9, v14, 7, v2
                                        ; implicit-def: $vgpr17
; %bb.9934:                             ;   in Loop: Header=BB6_8935 Depth=2
	s_andn2_saveexec_b64 s[20:21], s[20:21]
; %bb.9935:                             ;   in Loop: Header=BB6_8935 Depth=2
	v_mov_b32_e32 v9, v17
; %bb.9936:                             ;   in Loop: Header=BB6_8935 Depth=2
	s_or_b64 exec, exec, s[20:21]
.LBB6_9937:                             ;   in Loop: Header=BB6_8935 Depth=2
	s_or_b64 exec, exec, s[30:31]
                                        ; implicit-def: $vgpr17
.LBB6_9938:                             ;   in Loop: Header=BB6_8935 Depth=2
	s_andn2_saveexec_b64 s[20:21], s[94:95]
; %bb.9939:                             ;   in Loop: Header=BB6_8935 Depth=2
	v_or_b32_e32 v9, 0x7e, v17
; %bb.9940:                             ;   in Loop: Header=BB6_8935 Depth=2
	s_or_b64 exec, exec, s[20:21]
                                        ; implicit-def: $vgpr14
.LBB6_9941:                             ;   in Loop: Header=BB6_8935 Depth=2
	s_or_saveexec_b64 s[20:21], s[92:93]
	buffer_load_dword v2, off, s[0:3], s33 offset:100 ; 4-byte Folded Reload
	s_xor_b64 exec, exec, s[20:21]
; %bb.9942:                             ;   in Loop: Header=BB6_8935 Depth=2
	v_or_b32_sdwa v9, v14, s51 dst_sel:DWORD dst_unused:UNUSED_PAD src0_sel:BYTE_3 src1_sel:DWORD
; %bb.9943:                             ;   in Loop: Header=BB6_8935 Depth=2
	s_or_b64 exec, exec, s[20:21]
	s_waitcnt vmcnt(0)
	v_and_b32_e32 v2, 0xff, v2
	v_cmp_ne_u16_e64 s[20:21], 0, v2
	s_and_b64 vcc, exec, s[18:19]
	s_mov_b64 s[92:93], -1
                                        ; implicit-def: $vgpr14
	s_cbranch_vccnz .LBB6_9957
; %bb.9944:                             ;   in Loop: Header=BB6_8935 Depth=2
	v_mov_b32_e32 v16, 0
	v_mov_b32_e32 v15, 0
	s_and_saveexec_b64 s[92:93], s[20:21]
	s_cbranch_execz .LBB6_9950
; %bb.9945:                             ;   in Loop: Header=BB6_8935 Depth=2
	v_cmp_ne_u16_e32 vcc, s49, v2
	v_bfrev_b32_e32 v15, 1
	s_and_saveexec_b64 s[94:95], vcc
	s_cbranch_execz .LBB6_9949
; %bb.9946:                             ;   in Loop: Header=BB6_8935 Depth=2
	buffer_load_dword v14, off, s[0:3], s33 offset:100 ; 4-byte Folded Reload
	v_mov_b32_e32 v15, 0x7f800001
	s_waitcnt vmcnt(0)
	v_and_b32_e32 v14, 0x7f, v14
	v_cmp_ne_u32_e32 vcc, s51, v14
	s_and_saveexec_b64 s[30:31], vcc
	s_cbranch_execz .LBB6_9948
; %bb.9947:                             ;   in Loop: Header=BB6_8935 Depth=2
	v_and_b32_e32 v17, 7, v2
	v_lshrrev_b32_e32 v18, 3, v14
	v_cmp_gt_u32_e32 vcc, 8, v14
	v_ffbh_u32_e32 v14, v17
	v_min_u32_e32 v20, 32, v14
	v_subrev_u32_e32 v14, 28, v20
	v_lshlrev_b64 v[14:15], v14, v[2:3]
	v_sub_u32_e32 v15, 29, v20
	v_and_b32_e32 v14, 7, v14
	buffer_load_dword v20, off, s[0:3], s33 offset:120 ; 4-byte Folded Reload
	v_cndmask_b32_e32 v14, v17, v14, vcc
	buffer_load_dword v17, off, s[0:3], s33 offset:100 ; 4-byte Folded Reload
	v_cndmask_b32_e32 v15, v18, v15, vcc
	v_bfrev_b32_e32 v18, 60
	v_lshlrev_b32_e32 v14, 20, v14
	v_lshl_add_u32 v15, v15, 23, v18
	s_waitcnt vmcnt(0)
	v_lshlrev_b32_e32 v17, 24, v17
	v_and_b32_e32 v17, 0x80000000, v17
	v_or3_b32 v15, v17, v15, v14
.LBB6_9948:                             ;   in Loop: Header=BB6_8935 Depth=2
	s_or_b64 exec, exec, s[30:31]
.LBB6_9949:                             ;   in Loop: Header=BB6_8935 Depth=2
	s_or_b64 exec, exec, s[94:95]
.LBB6_9950:                             ;   in Loop: Header=BB6_8935 Depth=2
	s_or_b64 exec, exec, s[92:93]
	v_and_b32_e32 v14, 0xff, v20
	v_cmp_ne_u16_e32 vcc, 0, v14
	s_and_saveexec_b64 s[92:93], vcc
	s_cbranch_execz .LBB6_9956
; %bb.9951:                             ;   in Loop: Header=BB6_8935 Depth=2
	v_cmp_ne_u16_e32 vcc, s49, v14
	v_bfrev_b32_e32 v16, 1
	s_and_saveexec_b64 s[94:95], vcc
	s_cbranch_execz .LBB6_9955
; %bb.9952:                             ;   in Loop: Header=BB6_8935 Depth=2
	v_and_b32_e32 v17, 0x7f, v20
	v_cmp_ne_u32_e32 vcc, s51, v17
	v_mov_b32_e32 v16, 0x7f800001
	s_and_saveexec_b64 s[30:31], vcc
	s_cbranch_execz .LBB6_9954
; %bb.9953:                             ;   in Loop: Header=BB6_8935 Depth=2
	v_and_b32_e32 v18, 7, v14
	v_ffbh_u32_e32 v16, v18
	v_min_u32_e32 v25, 32, v16
	v_subrev_u32_e32 v16, 28, v25
	v_lshrrev_b32_e32 v20, 3, v17
	v_cmp_gt_u32_e32 vcc, 8, v17
	v_lshlrev_b64 v[16:17], v16, v[14:15]
	v_sub_u32_e32 v14, 29, v25
	v_cndmask_b32_e32 v14, v20, v14, vcc
	buffer_load_dword v20, off, s[0:3], s33 offset:120 ; 4-byte Folded Reload
	v_and_b32_e32 v16, 7, v16
	v_cndmask_b32_e32 v16, v18, v16, vcc
	v_bfrev_b32_e32 v18, 60
	v_lshlrev_b32_e32 v16, 20, v16
	v_lshl_add_u32 v14, v14, 23, v18
	s_waitcnt vmcnt(0)
	v_lshlrev_b32_e32 v17, 24, v20
	v_and_b32_e32 v17, 0x80000000, v17
	v_or3_b32 v16, v17, v14, v16
.LBB6_9954:                             ;   in Loop: Header=BB6_8935 Depth=2
	s_or_b64 exec, exec, s[30:31]
.LBB6_9955:                             ;   in Loop: Header=BB6_8935 Depth=2
	s_or_b64 exec, exec, s[94:95]
.LBB6_9956:                             ;   in Loop: Header=BB6_8935 Depth=2
	s_or_b64 exec, exec, s[92:93]
	v_max_f32_e32 v14, v16, v16
	v_max_f32_e32 v15, v15, v15
	;; [unrolled: 1-line block ×3, first 2 shown]
	s_mov_b64 s[92:93], 0
.LBB6_9957:                             ;   in Loop: Header=BB6_8935 Depth=2
	s_and_b64 vcc, exec, s[92:93]
	s_cbranch_vccz .LBB6_9971
; %bb.9958:                             ;   in Loop: Header=BB6_8935 Depth=2
	v_mov_b32_e32 v15, 0
	v_mov_b32_e32 v14, 0
	s_and_saveexec_b64 s[92:93], s[20:21]
	s_cbranch_execz .LBB6_9964
; %bb.9959:                             ;   in Loop: Header=BB6_8935 Depth=2
	v_cmp_ne_u16_e32 vcc, s49, v2
	v_bfrev_b32_e32 v14, 1
	s_and_saveexec_b64 s[20:21], vcc
	s_cbranch_execz .LBB6_9963
; %bb.9960:                             ;   in Loop: Header=BB6_8935 Depth=2
	buffer_load_dword v25, off, s[0:3], s33 offset:100 ; 4-byte Folded Reload
	v_mov_b32_e32 v14, 0x7f800001
	s_waitcnt vmcnt(0)
	v_and_b32_e32 v16, 0x7f, v25
	v_cmp_ne_u32_e32 vcc, s51, v16
	s_and_saveexec_b64 s[94:95], vcc
	s_cbranch_execz .LBB6_9962
; %bb.9961:                             ;   in Loop: Header=BB6_8935 Depth=2
	v_and_b32_e32 v14, 7, v2
	v_lshrrev_b32_e32 v18, 3, v16
	v_cmp_gt_u32_e32 vcc, 8, v16
	v_ffbh_u32_e32 v16, v14
	v_min_u32_e32 v20, 32, v16
	v_subrev_u32_e32 v16, 28, v20
	v_lshlrev_b64 v[16:17], v16, v[2:3]
	v_sub_u32_e32 v2, 29, v20
	buffer_load_dword v20, off, s[0:3], s33 offset:120 ; 4-byte Folded Reload
	v_and_b32_e32 v16, 7, v16
	v_cndmask_b32_e32 v2, v18, v2, vcc
	v_cndmask_b32_e32 v14, v14, v16, vcc
	v_lshlrev_b32_e32 v16, 24, v25
	v_bfrev_b32_e32 v17, 60
	v_lshlrev_b32_e32 v14, 20, v14
	v_and_b32_e32 v16, 0x80000000, v16
	v_lshl_add_u32 v2, v2, 23, v17
	v_or3_b32 v14, v16, v2, v14
.LBB6_9962:                             ;   in Loop: Header=BB6_8935 Depth=2
	s_or_b64 exec, exec, s[94:95]
.LBB6_9963:                             ;   in Loop: Header=BB6_8935 Depth=2
	s_or_b64 exec, exec, s[20:21]
.LBB6_9964:                             ;   in Loop: Header=BB6_8935 Depth=2
	s_or_b64 exec, exec, s[92:93]
	s_waitcnt vmcnt(0)
	v_and_b32_e32 v2, 0xff, v20
	v_cmp_ne_u16_e32 vcc, 0, v2
	s_and_saveexec_b64 s[20:21], vcc
	s_cbranch_execz .LBB6_9970
; %bb.9965:                             ;   in Loop: Header=BB6_8935 Depth=2
	v_cmp_ne_u16_e32 vcc, s49, v2
	v_bfrev_b32_e32 v15, 1
	s_and_saveexec_b64 s[92:93], vcc
	s_cbranch_execz .LBB6_9969
; %bb.9966:                             ;   in Loop: Header=BB6_8935 Depth=2
	v_and_b32_e32 v16, 0x7f, v20
	v_cmp_ne_u32_e32 vcc, s51, v16
	v_mov_b32_e32 v15, 0x7f800001
	s_and_saveexec_b64 s[94:95], vcc
	s_cbranch_execz .LBB6_9968
; %bb.9967:                             ;   in Loop: Header=BB6_8935 Depth=2
	v_and_b32_e32 v17, 7, v2
	v_ffbh_u32_e32 v15, v17
	v_mov_b32_e32 v25, v20
	v_min_u32_e32 v20, 32, v15
	v_subrev_u32_e32 v15, 28, v20
	v_lshrrev_b32_e32 v18, 3, v16
	v_cmp_gt_u32_e32 vcc, 8, v16
	v_lshlrev_b64 v[15:16], v15, v[2:3]
	v_sub_u32_e32 v2, 29, v20
	v_and_b32_e32 v15, 7, v15
	v_cndmask_b32_e32 v2, v18, v2, vcc
	v_cndmask_b32_e32 v15, v17, v15, vcc
	v_lshlrev_b32_e32 v16, 24, v25
	v_bfrev_b32_e32 v17, 60
	v_lshlrev_b32_e32 v15, 20, v15
	v_and_b32_e32 v16, 0x80000000, v16
	v_lshl_add_u32 v2, v2, 23, v17
	v_or3_b32 v15, v16, v2, v15
.LBB6_9968:                             ;   in Loop: Header=BB6_8935 Depth=2
	s_or_b64 exec, exec, s[94:95]
.LBB6_9969:                             ;   in Loop: Header=BB6_8935 Depth=2
	s_or_b64 exec, exec, s[92:93]
.LBB6_9970:                             ;   in Loop: Header=BB6_8935 Depth=2
	s_or_b64 exec, exec, s[20:21]
	v_max_f32_e32 v2, v15, v15
	v_max_f32_e32 v14, v14, v14
	v_min_f32_e32 v14, v14, v2
.LBB6_9971:                             ;   in Loop: Header=BB6_8935 Depth=2
	v_and_b32_e32 v2, 0x7f800000, v14
	v_cmp_ne_u64_e32 vcc, s[62:63], v[2:3]
                                        ; implicit-def: $vgpr17
	s_and_saveexec_b64 s[20:21], vcc
	s_xor_b64 s[92:93], exec, s[20:21]
	s_cbranch_execz .LBB6_9989
; %bb.9972:                             ;   in Loop: Header=BB6_8935 Depth=2
	v_and_b32_e32 v2, 0x7fffffff, v14
	v_cmp_gt_u64_e32 vcc, s[72:73], v[2:3]
	v_and_b32_sdwa v18, v14, s49 dst_sel:DWORD dst_unused:UNUSED_PAD src0_sel:BYTE_3 src1_sel:DWORD
                                        ; implicit-def: $vgpr17
	s_and_saveexec_b64 s[20:21], vcc
	s_xor_b64 s[94:95], exec, s[20:21]
	s_cbranch_execz .LBB6_9986
; %bb.9973:                             ;   in Loop: Header=BB6_8935 Depth=2
	v_cmp_ne_u32_e32 vcc, 0, v14
	v_mov_b32_e32 v17, 0
	s_and_saveexec_b64 s[30:31], vcc
	s_cbranch_execz .LBB6_9985
; %bb.9974:                             ;   in Loop: Header=BB6_8935 Depth=2
	v_bfe_u32 v17, v14, 23, 8
	v_and_b32_e32 v2, 0x7fffff, v14
	v_cmp_gt_u32_e64 s[20:21], s53, v17
	v_sub_u32_e32 v14, 0x79, v17
	v_cmp_eq_u32_e32 vcc, 0, v17
	v_cndmask_b32_e64 v14, 0, v14, s[20:21]
	v_mov_b32_e32 v16, 0x78
	v_cndmask_b32_e32 v20, v14, v16, vcc
	v_or_b32_e32 v15, 0x800000, v2
	v_add_u32_e32 v14, 20, v20
	v_cndmask_b32_e32 v2, v15, v2, vcc
	v_lshlrev_b64 v[14:15], v14, -1
	v_add_u32_e32 v16, 19, v20
	v_lshlrev_b64 v[25:26], v16, 1
	v_bfi_b32 v15, v15, 0, 0
	v_bfi_b32 v14, v14, 0, v2
	v_cmp_eq_u64_e64 s[20:21], v[14:15], v[25:26]
	v_lshrrev_b64 v[14:15], v20, v[2:3]
	v_mov_b32_e32 v16, v15
	v_mov_b32_e32 v15, v14
	s_and_saveexec_b64 s[34:35], s[20:21]
; %bb.9975:                             ;   in Loop: Header=BB6_8935 Depth=2
	v_bfe_u32 v2, v14, 20, 1
	v_add_co_u32_e64 v2, s[20:21], v14, v2
	v_add_co_u32_e64 v15, s[20:21], -1, v2
; %bb.9976:                             ;   in Loop: Header=BB6_8935 Depth=2
	s_or_b64 exec, exec, s[34:35]
	v_add_u32_e32 v2, 0xffffff81, v17
	v_cndmask_b32_e32 v2, v2, v59, vcc
	v_lshrrev_b32_e32 v16, 23, v14
	v_add3_u32 v20, v20, v2, v16
	v_add_u32_e32 v17, 6, v20
	v_and_b32_e32 v2, 0xfffff, v15
	v_add_u32_e32 v2, v2, v14
	v_cmp_ne_u32_e32 vcc, 0, v17
                                        ; implicit-def: $vgpr14_vgpr15
                                        ; implicit-def: $vgpr16
	s_and_saveexec_b64 s[20:21], vcc
	s_xor_b64 s[20:21], exec, s[20:21]
; %bb.9977:                             ;   in Loop: Header=BB6_8935 Depth=2
	v_cmp_lt_u64_e32 vcc, s[74:75], v[2:3]
	v_add_u32_e32 v14, 7, v20
	v_cndmask_b32_e32 v16, v17, v14, vcc
	v_cndmask_b32_e64 v14, 0, 1, vcc
	v_lshrrev_b64 v[14:15], v14, v[2:3]
; %bb.9978:                             ;   in Loop: Header=BB6_8935 Depth=2
	s_andn2_saveexec_b64 s[20:21], s[20:21]
; %bb.9979:                             ;   in Loop: Header=BB6_8935 Depth=2
	v_mov_b32_e32 v15, v3
	v_bfe_u32 v16, v2, 23, 1
	v_mov_b32_e32 v14, v2
; %bb.9980:                             ;   in Loop: Header=BB6_8935 Depth=2
	s_or_b64 exec, exec, s[20:21]
	v_lshrrev_b64 v[14:15], 20, v[14:15]
	v_cmp_gt_i32_e32 vcc, 16, v16
	v_cndmask_b32_e32 v15, 0, v15, vcc
	v_cndmask_b32_e32 v14, 7, v14, vcc
	v_cmp_ne_u64_e32 vcc, 0, v[14:15]
	v_cmp_ne_u32_e64 s[20:21], 0, v16
	s_or_b64 s[20:21], s[20:21], vcc
                                        ; implicit-def: $vgpr17
	s_and_saveexec_b64 vcc, s[20:21]
	s_xor_b64 s[20:21], exec, vcc
; %bb.9981:                             ;   in Loop: Header=BB6_8935 Depth=2
	v_min_i32_e32 v2, 15, v16
	v_lshl_or_b32 v2, v2, 3, v18
	v_and_or_b32 v17, v14, 7, v2
                                        ; implicit-def: $vgpr18
; %bb.9982:                             ;   in Loop: Header=BB6_8935 Depth=2
	s_andn2_saveexec_b64 s[20:21], s[20:21]
; %bb.9983:                             ;   in Loop: Header=BB6_8935 Depth=2
	v_mov_b32_e32 v17, v18
; %bb.9984:                             ;   in Loop: Header=BB6_8935 Depth=2
	s_or_b64 exec, exec, s[20:21]
.LBB6_9985:                             ;   in Loop: Header=BB6_8935 Depth=2
	s_or_b64 exec, exec, s[30:31]
                                        ; implicit-def: $vgpr18
.LBB6_9986:                             ;   in Loop: Header=BB6_8935 Depth=2
	s_andn2_saveexec_b64 s[20:21], s[94:95]
; %bb.9987:                             ;   in Loop: Header=BB6_8935 Depth=2
	v_or_b32_e32 v17, 0x7e, v18
; %bb.9988:                             ;   in Loop: Header=BB6_8935 Depth=2
	s_or_b64 exec, exec, s[20:21]
                                        ; implicit-def: $vgpr14
.LBB6_9989:                             ;   in Loop: Header=BB6_8935 Depth=2
	s_andn2_saveexec_b64 s[20:21], s[92:93]
; %bb.9990:                             ;   in Loop: Header=BB6_8935 Depth=2
	v_or_b32_sdwa v17, v14, s51 dst_sel:DWORD dst_unused:UNUSED_PAD src0_sel:BYTE_3 src1_sel:DWORD
; %bb.9991:                             ;   in Loop: Header=BB6_8935 Depth=2
	s_or_b64 exec, exec, s[20:21]
	v_and_b32_e32 v2, 0xff, v27
	v_cmp_ne_u16_e64 s[20:21], 0, v2
	s_and_b64 vcc, exec, s[18:19]
	s_mov_b64 s[92:93], -1
                                        ; implicit-def: $vgpr14
	s_cbranch_vccnz .LBB6_10005
; %bb.9992:                             ;   in Loop: Header=BB6_8935 Depth=2
	v_mov_b32_e32 v16, 0
	v_mov_b32_e32 v15, 0
	s_and_saveexec_b64 s[92:93], s[20:21]
	s_cbranch_execz .LBB6_9998
; %bb.9993:                             ;   in Loop: Header=BB6_8935 Depth=2
	v_cmp_ne_u16_e32 vcc, s49, v2
	v_bfrev_b32_e32 v15, 1
	s_and_saveexec_b64 s[94:95], vcc
	s_cbranch_execz .LBB6_9997
; %bb.9994:                             ;   in Loop: Header=BB6_8935 Depth=2
	v_and_b32_e32 v14, 0x7f, v27
	v_cmp_ne_u32_e32 vcc, s51, v14
	v_mov_b32_e32 v15, 0x7f800001
	s_and_saveexec_b64 s[30:31], vcc
	s_cbranch_execz .LBB6_9996
; %bb.9995:                             ;   in Loop: Header=BB6_8935 Depth=2
	v_and_b32_e32 v18, 7, v2
	v_lshrrev_b32_e32 v20, 3, v14
	v_cmp_gt_u32_e32 vcc, 8, v14
	v_ffbh_u32_e32 v14, v18
	v_min_u32_e32 v25, 32, v14
	v_subrev_u32_e32 v14, 28, v25
	v_lshlrev_b64 v[14:15], v14, v[2:3]
	v_sub_u32_e32 v15, 29, v25
	v_and_b32_e32 v14, 7, v14
	v_cndmask_b32_e32 v15, v20, v15, vcc
	v_cndmask_b32_e32 v14, v18, v14, vcc
	v_lshlrev_b32_e32 v18, 24, v27
	v_bfrev_b32_e32 v20, 60
	v_lshlrev_b32_e32 v14, 20, v14
	v_and_b32_e32 v18, 0x80000000, v18
	v_lshl_add_u32 v15, v15, 23, v20
	v_or3_b32 v15, v18, v15, v14
.LBB6_9996:                             ;   in Loop: Header=BB6_8935 Depth=2
	s_or_b64 exec, exec, s[30:31]
.LBB6_9997:                             ;   in Loop: Header=BB6_8935 Depth=2
	s_or_b64 exec, exec, s[94:95]
.LBB6_9998:                             ;   in Loop: Header=BB6_8935 Depth=2
	s_or_b64 exec, exec, s[92:93]
	v_and_b32_e32 v14, 0xff, v61
	v_cmp_ne_u16_e32 vcc, 0, v14
	s_and_saveexec_b64 s[92:93], vcc
	s_cbranch_execz .LBB6_10004
; %bb.9999:                             ;   in Loop: Header=BB6_8935 Depth=2
	v_cmp_ne_u16_e32 vcc, s49, v14
	v_bfrev_b32_e32 v16, 1
	s_and_saveexec_b64 s[94:95], vcc
	s_cbranch_execz .LBB6_10003
; %bb.10000:                            ;   in Loop: Header=BB6_8935 Depth=2
	v_and_b32_e32 v18, 0x7f, v61
	v_cmp_ne_u32_e32 vcc, s51, v18
	v_mov_b32_e32 v16, 0x7f800001
	s_and_saveexec_b64 s[30:31], vcc
	s_cbranch_execz .LBB6_10002
; %bb.10001:                            ;   in Loop: Header=BB6_8935 Depth=2
	v_and_b32_e32 v16, 7, v14
	v_lshrrev_b32_e32 v20, 3, v18
	v_cmp_gt_u32_e32 vcc, 8, v18
	v_ffbh_u32_e32 v18, v16
	v_min_u32_e32 v18, 32, v18
	v_subrev_u32_e32 v25, 28, v18
	v_lshlrev_b64 v[25:26], v25, v[14:15]
	v_sub_u32_e32 v14, 29, v18
	v_and_b32_e32 v18, 7, v25
	v_cndmask_b32_e32 v14, v20, v14, vcc
	v_cndmask_b32_e32 v16, v16, v18, vcc
	v_lshlrev_b32_e32 v18, 24, v61
	v_bfrev_b32_e32 v20, 60
	v_lshlrev_b32_e32 v16, 20, v16
	v_and_b32_e32 v18, 0x80000000, v18
	v_lshl_add_u32 v14, v14, 23, v20
	v_or3_b32 v16, v18, v14, v16
.LBB6_10002:                            ;   in Loop: Header=BB6_8935 Depth=2
	s_or_b64 exec, exec, s[30:31]
.LBB6_10003:                            ;   in Loop: Header=BB6_8935 Depth=2
	s_or_b64 exec, exec, s[94:95]
.LBB6_10004:                            ;   in Loop: Header=BB6_8935 Depth=2
	s_or_b64 exec, exec, s[92:93]
	v_max_f32_e32 v14, v16, v16
	v_max_f32_e32 v15, v15, v15
	;; [unrolled: 1-line block ×3, first 2 shown]
	s_mov_b64 s[92:93], 0
.LBB6_10005:                            ;   in Loop: Header=BB6_8935 Depth=2
	s_and_b64 vcc, exec, s[92:93]
	s_cbranch_vccz .LBB6_10019
; %bb.10006:                            ;   in Loop: Header=BB6_8935 Depth=2
	v_mov_b32_e32 v15, 0
	v_mov_b32_e32 v14, 0
	s_and_saveexec_b64 s[92:93], s[20:21]
	s_cbranch_execz .LBB6_10012
; %bb.10007:                            ;   in Loop: Header=BB6_8935 Depth=2
	v_cmp_ne_u16_e32 vcc, s49, v2
	v_bfrev_b32_e32 v14, 1
	s_and_saveexec_b64 s[20:21], vcc
	s_cbranch_execz .LBB6_10011
; %bb.10008:                            ;   in Loop: Header=BB6_8935 Depth=2
	v_and_b32_e32 v16, 0x7f, v27
	v_cmp_ne_u32_e32 vcc, s51, v16
	v_mov_b32_e32 v14, 0x7f800001
	s_and_saveexec_b64 s[94:95], vcc
	s_cbranch_execz .LBB6_10010
; %bb.10009:                            ;   in Loop: Header=BB6_8935 Depth=2
	v_and_b32_e32 v14, 7, v2
	v_lshrrev_b32_e32 v18, 3, v16
	v_cmp_gt_u32_e32 vcc, 8, v16
	v_ffbh_u32_e32 v16, v14
	v_min_u32_e32 v16, 32, v16
	v_subrev_u32_e32 v20, 28, v16
	v_lshlrev_b64 v[25:26], v20, v[2:3]
	v_sub_u32_e32 v2, 29, v16
	v_and_b32_e32 v16, 7, v25
	v_cndmask_b32_e32 v2, v18, v2, vcc
	v_cndmask_b32_e32 v14, v14, v16, vcc
	v_lshlrev_b32_e32 v16, 24, v27
	v_bfrev_b32_e32 v18, 60
	v_lshlrev_b32_e32 v14, 20, v14
	v_and_b32_e32 v16, 0x80000000, v16
	v_lshl_add_u32 v2, v2, 23, v18
	v_or3_b32 v14, v16, v2, v14
.LBB6_10010:                            ;   in Loop: Header=BB6_8935 Depth=2
	s_or_b64 exec, exec, s[94:95]
.LBB6_10011:                            ;   in Loop: Header=BB6_8935 Depth=2
	s_or_b64 exec, exec, s[20:21]
.LBB6_10012:                            ;   in Loop: Header=BB6_8935 Depth=2
	s_or_b64 exec, exec, s[92:93]
	v_and_b32_e32 v2, 0xff, v61
	v_cmp_ne_u16_e32 vcc, 0, v2
	s_and_saveexec_b64 s[20:21], vcc
	s_cbranch_execz .LBB6_10018
; %bb.10013:                            ;   in Loop: Header=BB6_8935 Depth=2
	v_cmp_ne_u16_e32 vcc, s49, v2
	v_bfrev_b32_e32 v15, 1
	s_and_saveexec_b64 s[92:93], vcc
	s_cbranch_execz .LBB6_10017
; %bb.10014:                            ;   in Loop: Header=BB6_8935 Depth=2
	v_and_b32_e32 v16, 0x7f, v61
	v_cmp_ne_u32_e32 vcc, s51, v16
	v_mov_b32_e32 v15, 0x7f800001
	s_and_saveexec_b64 s[94:95], vcc
	s_cbranch_execz .LBB6_10016
; %bb.10015:                            ;   in Loop: Header=BB6_8935 Depth=2
	v_and_b32_e32 v18, 7, v2
	v_ffbh_u32_e32 v15, v18
	v_min_u32_e32 v25, 32, v15
	v_subrev_u32_e32 v15, 28, v25
	v_lshrrev_b32_e32 v20, 3, v16
	v_cmp_gt_u32_e32 vcc, 8, v16
	v_lshlrev_b64 v[15:16], v15, v[2:3]
	v_sub_u32_e32 v2, 29, v25
	v_and_b32_e32 v15, 7, v15
	v_cndmask_b32_e32 v2, v20, v2, vcc
	v_cndmask_b32_e32 v15, v18, v15, vcc
	v_lshlrev_b32_e32 v16, 24, v61
	v_bfrev_b32_e32 v18, 60
	v_lshlrev_b32_e32 v15, 20, v15
	v_and_b32_e32 v16, 0x80000000, v16
	v_lshl_add_u32 v2, v2, 23, v18
	v_or3_b32 v15, v16, v2, v15
.LBB6_10016:                            ;   in Loop: Header=BB6_8935 Depth=2
	s_or_b64 exec, exec, s[94:95]
.LBB6_10017:                            ;   in Loop: Header=BB6_8935 Depth=2
	s_or_b64 exec, exec, s[92:93]
.LBB6_10018:                            ;   in Loop: Header=BB6_8935 Depth=2
	s_or_b64 exec, exec, s[20:21]
	v_max_f32_e32 v2, v15, v15
	v_max_f32_e32 v14, v14, v14
	v_min_f32_e32 v14, v14, v2
.LBB6_10019:                            ;   in Loop: Header=BB6_8935 Depth=2
	v_and_b32_e32 v2, 0x7f800000, v14
	v_cmp_ne_u64_e32 vcc, s[62:63], v[2:3]
                                        ; implicit-def: $vgpr18
	s_and_saveexec_b64 s[20:21], vcc
	s_xor_b64 s[92:93], exec, s[20:21]
	s_cbranch_execz .LBB6_10037
; %bb.10020:                            ;   in Loop: Header=BB6_8935 Depth=2
	v_and_b32_e32 v2, 0x7fffffff, v14
	v_cmp_gt_u64_e32 vcc, s[72:73], v[2:3]
	v_and_b32_sdwa v20, v14, s49 dst_sel:DWORD dst_unused:UNUSED_PAD src0_sel:BYTE_3 src1_sel:DWORD
                                        ; implicit-def: $vgpr18
	s_and_saveexec_b64 s[20:21], vcc
	s_xor_b64 s[94:95], exec, s[20:21]
	s_cbranch_execz .LBB6_10034
; %bb.10021:                            ;   in Loop: Header=BB6_8935 Depth=2
	v_cmp_ne_u32_e32 vcc, 0, v14
	v_mov_b32_e32 v18, 0
	s_and_saveexec_b64 s[30:31], vcc
	s_cbranch_execz .LBB6_10033
; %bb.10022:                            ;   in Loop: Header=BB6_8935 Depth=2
	v_bfe_u32 v18, v14, 23, 8
	v_and_b32_e32 v2, 0x7fffff, v14
	v_cmp_gt_u32_e64 s[20:21], s53, v18
	v_sub_u32_e32 v14, 0x79, v18
	v_cmp_eq_u32_e32 vcc, 0, v18
	v_cndmask_b32_e64 v14, 0, v14, s[20:21]
	v_mov_b32_e32 v16, 0x78
	v_cndmask_b32_e32 v25, v14, v16, vcc
	v_or_b32_e32 v15, 0x800000, v2
	v_add_u32_e32 v14, 20, v25
	v_cndmask_b32_e32 v2, v15, v2, vcc
	v_lshlrev_b64 v[14:15], v14, -1
	v_add_u32_e32 v16, 19, v25
	v_lshlrev_b64 v[26:27], v16, 1
	v_bfi_b32 v15, v15, 0, 0
	v_bfi_b32 v14, v14, 0, v2
	v_cmp_eq_u64_e64 s[20:21], v[14:15], v[26:27]
	v_lshrrev_b64 v[14:15], v25, v[2:3]
	v_mov_b32_e32 v16, v15
	v_mov_b32_e32 v15, v14
	s_and_saveexec_b64 s[34:35], s[20:21]
; %bb.10023:                            ;   in Loop: Header=BB6_8935 Depth=2
	v_bfe_u32 v2, v14, 20, 1
	v_add_co_u32_e64 v2, s[20:21], v14, v2
	v_add_co_u32_e64 v15, s[20:21], -1, v2
; %bb.10024:                            ;   in Loop: Header=BB6_8935 Depth=2
	s_or_b64 exec, exec, s[34:35]
	v_add_u32_e32 v2, 0xffffff81, v18
	v_cndmask_b32_e32 v2, v2, v59, vcc
	v_lshrrev_b32_e32 v16, 23, v14
	v_add3_u32 v25, v25, v2, v16
	v_add_u32_e32 v18, 6, v25
	v_and_b32_e32 v2, 0xfffff, v15
	v_add_u32_e32 v2, v2, v14
	v_cmp_ne_u32_e32 vcc, 0, v18
                                        ; implicit-def: $vgpr14_vgpr15
                                        ; implicit-def: $vgpr16
	s_and_saveexec_b64 s[20:21], vcc
	s_xor_b64 s[20:21], exec, s[20:21]
; %bb.10025:                            ;   in Loop: Header=BB6_8935 Depth=2
	v_cmp_lt_u64_e32 vcc, s[74:75], v[2:3]
	v_add_u32_e32 v14, 7, v25
	v_cndmask_b32_e32 v16, v18, v14, vcc
	v_cndmask_b32_e64 v14, 0, 1, vcc
	v_lshrrev_b64 v[14:15], v14, v[2:3]
; %bb.10026:                            ;   in Loop: Header=BB6_8935 Depth=2
	s_andn2_saveexec_b64 s[20:21], s[20:21]
; %bb.10027:                            ;   in Loop: Header=BB6_8935 Depth=2
	v_mov_b32_e32 v15, v3
	v_bfe_u32 v16, v2, 23, 1
	v_mov_b32_e32 v14, v2
; %bb.10028:                            ;   in Loop: Header=BB6_8935 Depth=2
	s_or_b64 exec, exec, s[20:21]
	v_lshrrev_b64 v[14:15], 20, v[14:15]
	v_cmp_gt_i32_e32 vcc, 16, v16
	v_cndmask_b32_e32 v15, 0, v15, vcc
	v_cndmask_b32_e32 v14, 7, v14, vcc
	v_cmp_ne_u64_e32 vcc, 0, v[14:15]
	v_cmp_ne_u32_e64 s[20:21], 0, v16
	s_or_b64 s[20:21], s[20:21], vcc
                                        ; implicit-def: $vgpr18
	s_and_saveexec_b64 vcc, s[20:21]
	s_xor_b64 s[20:21], exec, vcc
; %bb.10029:                            ;   in Loop: Header=BB6_8935 Depth=2
	v_min_i32_e32 v2, 15, v16
	v_lshl_or_b32 v2, v2, 3, v20
	v_and_or_b32 v18, v14, 7, v2
                                        ; implicit-def: $vgpr20
; %bb.10030:                            ;   in Loop: Header=BB6_8935 Depth=2
	s_andn2_saveexec_b64 s[20:21], s[20:21]
; %bb.10031:                            ;   in Loop: Header=BB6_8935 Depth=2
	v_mov_b32_e32 v18, v20
; %bb.10032:                            ;   in Loop: Header=BB6_8935 Depth=2
	s_or_b64 exec, exec, s[20:21]
.LBB6_10033:                            ;   in Loop: Header=BB6_8935 Depth=2
	s_or_b64 exec, exec, s[30:31]
                                        ; implicit-def: $vgpr20
.LBB6_10034:                            ;   in Loop: Header=BB6_8935 Depth=2
	s_andn2_saveexec_b64 s[20:21], s[94:95]
; %bb.10035:                            ;   in Loop: Header=BB6_8935 Depth=2
	v_or_b32_e32 v18, 0x7e, v20
; %bb.10036:                            ;   in Loop: Header=BB6_8935 Depth=2
	s_or_b64 exec, exec, s[20:21]
                                        ; implicit-def: $vgpr14
.LBB6_10037:                            ;   in Loop: Header=BB6_8935 Depth=2
	s_andn2_saveexec_b64 s[20:21], s[92:93]
; %bb.10038:                            ;   in Loop: Header=BB6_8935 Depth=2
	v_or_b32_sdwa v18, v14, s51 dst_sel:DWORD dst_unused:UNUSED_PAD src0_sel:BYTE_3 src1_sel:DWORD
; %bb.10039:                            ;   in Loop: Header=BB6_8935 Depth=2
	s_or_b64 exec, exec, s[20:21]
	v_and_b32_e32 v2, 0xff, v56
	v_cmp_ne_u16_e64 s[20:21], 0, v2
	s_and_b64 vcc, exec, s[18:19]
	s_mov_b64 s[92:93], -1
                                        ; implicit-def: $vgpr14
	s_cbranch_vccnz .LBB6_10053
; %bb.10040:                            ;   in Loop: Header=BB6_8935 Depth=2
	v_mov_b32_e32 v16, 0
	v_mov_b32_e32 v15, 0
	s_and_saveexec_b64 s[92:93], s[20:21]
	s_cbranch_execz .LBB6_10046
; %bb.10041:                            ;   in Loop: Header=BB6_8935 Depth=2
	v_cmp_ne_u16_e32 vcc, s49, v2
	v_bfrev_b32_e32 v15, 1
	s_and_saveexec_b64 s[94:95], vcc
	s_cbranch_execz .LBB6_10045
; %bb.10042:                            ;   in Loop: Header=BB6_8935 Depth=2
	v_and_b32_e32 v14, 0x7f, v56
	v_cmp_ne_u32_e32 vcc, s51, v14
	v_mov_b32_e32 v15, 0x7f800001
	s_and_saveexec_b64 s[30:31], vcc
	s_cbranch_execz .LBB6_10044
; %bb.10043:                            ;   in Loop: Header=BB6_8935 Depth=2
	v_and_b32_e32 v20, 7, v2
	v_lshrrev_b32_e32 v25, 3, v14
	v_cmp_gt_u32_e32 vcc, 8, v14
	v_ffbh_u32_e32 v14, v20
	v_min_u32_e32 v26, 32, v14
	v_subrev_u32_e32 v14, 28, v26
	v_lshlrev_b64 v[14:15], v14, v[2:3]
	v_sub_u32_e32 v15, 29, v26
	v_and_b32_e32 v14, 7, v14
	v_cndmask_b32_e32 v15, v25, v15, vcc
	v_cndmask_b32_e32 v14, v20, v14, vcc
	v_lshlrev_b32_e32 v20, 24, v56
	v_bfrev_b32_e32 v25, 60
	v_lshlrev_b32_e32 v14, 20, v14
	v_and_b32_e32 v20, 0x80000000, v20
	v_lshl_add_u32 v15, v15, 23, v25
	v_or3_b32 v15, v20, v15, v14
.LBB6_10044:                            ;   in Loop: Header=BB6_8935 Depth=2
	s_or_b64 exec, exec, s[30:31]
.LBB6_10045:                            ;   in Loop: Header=BB6_8935 Depth=2
	s_or_b64 exec, exec, s[94:95]
.LBB6_10046:                            ;   in Loop: Header=BB6_8935 Depth=2
	s_or_b64 exec, exec, s[92:93]
	v_and_b32_e32 v14, 0xff, v60
	v_cmp_ne_u16_e32 vcc, 0, v14
	s_and_saveexec_b64 s[92:93], vcc
	s_cbranch_execz .LBB6_10052
; %bb.10047:                            ;   in Loop: Header=BB6_8935 Depth=2
	v_cmp_ne_u16_e32 vcc, s49, v14
	v_bfrev_b32_e32 v16, 1
	s_and_saveexec_b64 s[94:95], vcc
	s_cbranch_execz .LBB6_10051
; %bb.10048:                            ;   in Loop: Header=BB6_8935 Depth=2
	v_and_b32_e32 v20, 0x7f, v60
	v_cmp_ne_u32_e32 vcc, s51, v20
	v_mov_b32_e32 v16, 0x7f800001
	s_and_saveexec_b64 s[30:31], vcc
	s_cbranch_execz .LBB6_10050
; %bb.10049:                            ;   in Loop: Header=BB6_8935 Depth=2
	v_and_b32_e32 v16, 7, v14
	v_lshrrev_b32_e32 v27, 3, v20
	v_cmp_gt_u32_e32 vcc, 8, v20
	v_ffbh_u32_e32 v20, v16
	v_min_u32_e32 v20, 32, v20
	v_subrev_u32_e32 v25, 28, v20
	v_lshlrev_b64 v[25:26], v25, v[14:15]
	v_sub_u32_e32 v14, 29, v20
	v_and_b32_e32 v20, 7, v25
	v_cndmask_b32_e32 v14, v27, v14, vcc
	v_cndmask_b32_e32 v16, v16, v20, vcc
	v_lshlrev_b32_e32 v20, 24, v60
	v_bfrev_b32_e32 v25, 60
	v_lshlrev_b32_e32 v16, 20, v16
	v_and_b32_e32 v20, 0x80000000, v20
	v_lshl_add_u32 v14, v14, 23, v25
	v_or3_b32 v16, v20, v14, v16
.LBB6_10050:                            ;   in Loop: Header=BB6_8935 Depth=2
	s_or_b64 exec, exec, s[30:31]
.LBB6_10051:                            ;   in Loop: Header=BB6_8935 Depth=2
	s_or_b64 exec, exec, s[94:95]
.LBB6_10052:                            ;   in Loop: Header=BB6_8935 Depth=2
	s_or_b64 exec, exec, s[92:93]
	v_max_f32_e32 v14, v16, v16
	v_max_f32_e32 v15, v15, v15
	;; [unrolled: 1-line block ×3, first 2 shown]
	s_mov_b64 s[92:93], 0
.LBB6_10053:                            ;   in Loop: Header=BB6_8935 Depth=2
	s_and_b64 vcc, exec, s[92:93]
	s_cbranch_vccz .LBB6_10067
; %bb.10054:                            ;   in Loop: Header=BB6_8935 Depth=2
	v_mov_b32_e32 v15, 0
	v_mov_b32_e32 v14, 0
	s_and_saveexec_b64 s[92:93], s[20:21]
	s_cbranch_execz .LBB6_10060
; %bb.10055:                            ;   in Loop: Header=BB6_8935 Depth=2
	v_cmp_ne_u16_e32 vcc, s49, v2
	v_bfrev_b32_e32 v14, 1
	s_and_saveexec_b64 s[20:21], vcc
	s_cbranch_execz .LBB6_10059
; %bb.10056:                            ;   in Loop: Header=BB6_8935 Depth=2
	v_and_b32_e32 v16, 0x7f, v56
	v_cmp_ne_u32_e32 vcc, s51, v16
	v_mov_b32_e32 v14, 0x7f800001
	s_and_saveexec_b64 s[94:95], vcc
	s_cbranch_execz .LBB6_10058
; %bb.10057:                            ;   in Loop: Header=BB6_8935 Depth=2
	v_and_b32_e32 v14, 7, v2
	v_lshrrev_b32_e32 v20, 3, v16
	v_cmp_gt_u32_e32 vcc, 8, v16
	v_ffbh_u32_e32 v16, v14
	v_min_u32_e32 v16, 32, v16
	v_subrev_u32_e32 v25, 28, v16
	v_lshlrev_b64 v[25:26], v25, v[2:3]
	v_sub_u32_e32 v2, 29, v16
	v_and_b32_e32 v16, 7, v25
	v_cndmask_b32_e32 v2, v20, v2, vcc
	v_cndmask_b32_e32 v14, v14, v16, vcc
	v_lshlrev_b32_e32 v16, 24, v56
	v_bfrev_b32_e32 v20, 60
	v_lshlrev_b32_e32 v14, 20, v14
	v_and_b32_e32 v16, 0x80000000, v16
	v_lshl_add_u32 v2, v2, 23, v20
	v_or3_b32 v14, v16, v2, v14
.LBB6_10058:                            ;   in Loop: Header=BB6_8935 Depth=2
	s_or_b64 exec, exec, s[94:95]
.LBB6_10059:                            ;   in Loop: Header=BB6_8935 Depth=2
	s_or_b64 exec, exec, s[20:21]
.LBB6_10060:                            ;   in Loop: Header=BB6_8935 Depth=2
	s_or_b64 exec, exec, s[92:93]
	v_and_b32_e32 v2, 0xff, v60
	v_cmp_ne_u16_e32 vcc, 0, v2
	s_and_saveexec_b64 s[20:21], vcc
	s_cbranch_execz .LBB6_10066
; %bb.10061:                            ;   in Loop: Header=BB6_8935 Depth=2
	v_cmp_ne_u16_e32 vcc, s49, v2
	v_bfrev_b32_e32 v15, 1
	s_and_saveexec_b64 s[92:93], vcc
	s_cbranch_execz .LBB6_10065
; %bb.10062:                            ;   in Loop: Header=BB6_8935 Depth=2
	v_and_b32_e32 v16, 0x7f, v60
	v_cmp_ne_u32_e32 vcc, s51, v16
	v_mov_b32_e32 v15, 0x7f800001
	s_and_saveexec_b64 s[94:95], vcc
	s_cbranch_execz .LBB6_10064
; %bb.10063:                            ;   in Loop: Header=BB6_8935 Depth=2
	v_and_b32_e32 v20, 7, v2
	v_ffbh_u32_e32 v15, v20
	v_min_u32_e32 v26, 32, v15
	v_subrev_u32_e32 v15, 28, v26
	v_lshrrev_b32_e32 v25, 3, v16
	v_cmp_gt_u32_e32 vcc, 8, v16
	v_lshlrev_b64 v[15:16], v15, v[2:3]
	v_sub_u32_e32 v2, 29, v26
	v_and_b32_e32 v15, 7, v15
	v_cndmask_b32_e32 v2, v25, v2, vcc
	v_cndmask_b32_e32 v15, v20, v15, vcc
	v_lshlrev_b32_e32 v16, 24, v60
	v_bfrev_b32_e32 v20, 60
	v_lshlrev_b32_e32 v15, 20, v15
	v_and_b32_e32 v16, 0x80000000, v16
	v_lshl_add_u32 v2, v2, 23, v20
	v_or3_b32 v15, v16, v2, v15
.LBB6_10064:                            ;   in Loop: Header=BB6_8935 Depth=2
	s_or_b64 exec, exec, s[94:95]
.LBB6_10065:                            ;   in Loop: Header=BB6_8935 Depth=2
	s_or_b64 exec, exec, s[92:93]
.LBB6_10066:                            ;   in Loop: Header=BB6_8935 Depth=2
	s_or_b64 exec, exec, s[20:21]
	v_max_f32_e32 v2, v15, v15
	v_max_f32_e32 v14, v14, v14
	v_min_f32_e32 v14, v14, v2
.LBB6_10067:                            ;   in Loop: Header=BB6_8935 Depth=2
	v_and_b32_e32 v2, 0x7f800000, v14
	v_cmp_ne_u64_e32 vcc, s[62:63], v[2:3]
                                        ; implicit-def: $vgpr20
	s_and_saveexec_b64 s[20:21], vcc
	s_xor_b64 s[92:93], exec, s[20:21]
	s_cbranch_execz .LBB6_10085
; %bb.10068:                            ;   in Loop: Header=BB6_8935 Depth=2
	v_and_b32_e32 v2, 0x7fffffff, v14
	v_cmp_gt_u64_e32 vcc, s[72:73], v[2:3]
	v_and_b32_sdwa v25, v14, s49 dst_sel:DWORD dst_unused:UNUSED_PAD src0_sel:BYTE_3 src1_sel:DWORD
                                        ; implicit-def: $vgpr20
	s_and_saveexec_b64 s[20:21], vcc
	s_xor_b64 s[94:95], exec, s[20:21]
	s_cbranch_execz .LBB6_10082
; %bb.10069:                            ;   in Loop: Header=BB6_8935 Depth=2
	v_cmp_ne_u32_e32 vcc, 0, v14
	v_mov_b32_e32 v20, 0
	s_and_saveexec_b64 s[30:31], vcc
	s_cbranch_execz .LBB6_10081
; %bb.10070:                            ;   in Loop: Header=BB6_8935 Depth=2
	v_bfe_u32 v20, v14, 23, 8
	v_and_b32_e32 v2, 0x7fffff, v14
	v_cmp_gt_u32_e64 s[20:21], s53, v20
	v_sub_u32_e32 v14, 0x79, v20
	v_cmp_eq_u32_e32 vcc, 0, v20
	v_cndmask_b32_e64 v14, 0, v14, s[20:21]
	v_mov_b32_e32 v16, 0x78
	v_cndmask_b32_e32 v26, v14, v16, vcc
	v_or_b32_e32 v15, 0x800000, v2
	v_add_u32_e32 v14, 20, v26
	v_cndmask_b32_e32 v2, v15, v2, vcc
	v_lshlrev_b64 v[14:15], v14, -1
	v_add_u32_e32 v16, 19, v26
	v_lshlrev_b64 v[27:28], v16, 1
	v_bfi_b32 v15, v15, 0, 0
	v_bfi_b32 v14, v14, 0, v2
	v_cmp_eq_u64_e64 s[20:21], v[14:15], v[27:28]
	v_lshrrev_b64 v[14:15], v26, v[2:3]
	v_mov_b32_e32 v16, v15
	v_mov_b32_e32 v15, v14
	s_and_saveexec_b64 s[34:35], s[20:21]
; %bb.10071:                            ;   in Loop: Header=BB6_8935 Depth=2
	v_bfe_u32 v2, v14, 20, 1
	v_add_co_u32_e64 v2, s[20:21], v14, v2
	v_add_co_u32_e64 v15, s[20:21], -1, v2
; %bb.10072:                            ;   in Loop: Header=BB6_8935 Depth=2
	s_or_b64 exec, exec, s[34:35]
	v_add_u32_e32 v2, 0xffffff81, v20
	v_cndmask_b32_e32 v2, v2, v59, vcc
	v_lshrrev_b32_e32 v16, 23, v14
	v_add3_u32 v26, v26, v2, v16
	v_add_u32_e32 v20, 6, v26
	v_and_b32_e32 v2, 0xfffff, v15
	v_add_u32_e32 v2, v2, v14
	v_cmp_ne_u32_e32 vcc, 0, v20
                                        ; implicit-def: $vgpr14_vgpr15
                                        ; implicit-def: $vgpr16
	s_and_saveexec_b64 s[20:21], vcc
	s_xor_b64 s[20:21], exec, s[20:21]
; %bb.10073:                            ;   in Loop: Header=BB6_8935 Depth=2
	v_cmp_lt_u64_e32 vcc, s[74:75], v[2:3]
	v_add_u32_e32 v14, 7, v26
	v_cndmask_b32_e32 v16, v20, v14, vcc
	v_cndmask_b32_e64 v14, 0, 1, vcc
	v_lshrrev_b64 v[14:15], v14, v[2:3]
; %bb.10074:                            ;   in Loop: Header=BB6_8935 Depth=2
	s_andn2_saveexec_b64 s[20:21], s[20:21]
; %bb.10075:                            ;   in Loop: Header=BB6_8935 Depth=2
	v_mov_b32_e32 v15, v3
	v_bfe_u32 v16, v2, 23, 1
	v_mov_b32_e32 v14, v2
; %bb.10076:                            ;   in Loop: Header=BB6_8935 Depth=2
	s_or_b64 exec, exec, s[20:21]
	v_lshrrev_b64 v[14:15], 20, v[14:15]
	v_cmp_gt_i32_e32 vcc, 16, v16
	v_cndmask_b32_e32 v15, 0, v15, vcc
	v_cndmask_b32_e32 v14, 7, v14, vcc
	v_cmp_ne_u64_e32 vcc, 0, v[14:15]
	v_cmp_ne_u32_e64 s[20:21], 0, v16
	s_or_b64 s[20:21], s[20:21], vcc
                                        ; implicit-def: $vgpr20
	s_and_saveexec_b64 vcc, s[20:21]
	s_xor_b64 s[20:21], exec, vcc
; %bb.10077:                            ;   in Loop: Header=BB6_8935 Depth=2
	v_min_i32_e32 v2, 15, v16
	v_lshl_or_b32 v2, v2, 3, v25
	v_and_or_b32 v20, v14, 7, v2
                                        ; implicit-def: $vgpr25
; %bb.10078:                            ;   in Loop: Header=BB6_8935 Depth=2
	s_andn2_saveexec_b64 s[20:21], s[20:21]
; %bb.10079:                            ;   in Loop: Header=BB6_8935 Depth=2
	v_mov_b32_e32 v20, v25
; %bb.10080:                            ;   in Loop: Header=BB6_8935 Depth=2
	s_or_b64 exec, exec, s[20:21]
.LBB6_10081:                            ;   in Loop: Header=BB6_8935 Depth=2
	s_or_b64 exec, exec, s[30:31]
                                        ; implicit-def: $vgpr25
.LBB6_10082:                            ;   in Loop: Header=BB6_8935 Depth=2
	s_andn2_saveexec_b64 s[20:21], s[94:95]
; %bb.10083:                            ;   in Loop: Header=BB6_8935 Depth=2
	v_or_b32_e32 v20, 0x7e, v25
; %bb.10084:                            ;   in Loop: Header=BB6_8935 Depth=2
	s_or_b64 exec, exec, s[20:21]
                                        ; implicit-def: $vgpr14
.LBB6_10085:                            ;   in Loop: Header=BB6_8935 Depth=2
	s_andn2_saveexec_b64 s[20:21], s[92:93]
; %bb.10086:                            ;   in Loop: Header=BB6_8935 Depth=2
	v_or_b32_sdwa v20, v14, s51 dst_sel:DWORD dst_unused:UNUSED_PAD src0_sel:BYTE_3 src1_sel:DWORD
; %bb.10087:                            ;   in Loop: Header=BB6_8935 Depth=2
	s_or_b64 exec, exec, s[20:21]
	v_and_b32_e32 v2, 0xff, v58
	v_cmp_ne_u16_e64 s[20:21], 0, v2
	s_and_b64 vcc, exec, s[18:19]
	s_mov_b64 s[92:93], -1
                                        ; implicit-def: $vgpr14
	s_cbranch_vccnz .LBB6_10101
; %bb.10088:                            ;   in Loop: Header=BB6_8935 Depth=2
	v_mov_b32_e32 v16, 0
	v_mov_b32_e32 v15, 0
	s_and_saveexec_b64 s[92:93], s[20:21]
	s_cbranch_execz .LBB6_10094
; %bb.10089:                            ;   in Loop: Header=BB6_8935 Depth=2
	v_cmp_ne_u16_e32 vcc, s49, v2
	v_bfrev_b32_e32 v15, 1
	s_and_saveexec_b64 s[94:95], vcc
	s_cbranch_execz .LBB6_10093
; %bb.10090:                            ;   in Loop: Header=BB6_8935 Depth=2
	v_and_b32_e32 v14, 0x7f, v58
	v_cmp_ne_u32_e32 vcc, s51, v14
	v_mov_b32_e32 v15, 0x7f800001
	s_and_saveexec_b64 s[30:31], vcc
	s_cbranch_execz .LBB6_10092
; %bb.10091:                            ;   in Loop: Header=BB6_8935 Depth=2
	v_and_b32_e32 v25, 7, v2
	v_lshrrev_b32_e32 v26, 3, v14
	v_cmp_gt_u32_e32 vcc, 8, v14
	v_ffbh_u32_e32 v14, v25
	v_min_u32_e32 v27, 32, v14
	v_subrev_u32_e32 v14, 28, v27
	v_lshlrev_b64 v[14:15], v14, v[2:3]
	v_sub_u32_e32 v15, 29, v27
	v_and_b32_e32 v14, 7, v14
	v_cndmask_b32_e32 v15, v26, v15, vcc
	v_cndmask_b32_e32 v14, v25, v14, vcc
	v_lshlrev_b32_e32 v25, 24, v58
	v_bfrev_b32_e32 v26, 60
	v_lshlrev_b32_e32 v14, 20, v14
	v_and_b32_e32 v25, 0x80000000, v25
	v_lshl_add_u32 v15, v15, 23, v26
	v_or3_b32 v15, v25, v15, v14
.LBB6_10092:                            ;   in Loop: Header=BB6_8935 Depth=2
	s_or_b64 exec, exec, s[30:31]
.LBB6_10093:                            ;   in Loop: Header=BB6_8935 Depth=2
	s_or_b64 exec, exec, s[94:95]
.LBB6_10094:                            ;   in Loop: Header=BB6_8935 Depth=2
	s_or_b64 exec, exec, s[92:93]
	v_and_b32_e32 v14, 0xff, v52
	v_cmp_ne_u16_e32 vcc, 0, v14
	s_and_saveexec_b64 s[92:93], vcc
	s_cbranch_execz .LBB6_10100
; %bb.10095:                            ;   in Loop: Header=BB6_8935 Depth=2
	v_cmp_ne_u16_e32 vcc, s49, v14
	v_bfrev_b32_e32 v16, 1
	s_and_saveexec_b64 s[94:95], vcc
	s_cbranch_execz .LBB6_10099
; %bb.10096:                            ;   in Loop: Header=BB6_8935 Depth=2
	v_and_b32_e32 v25, 0x7f, v52
	v_cmp_ne_u32_e32 vcc, s51, v25
	v_mov_b32_e32 v16, 0x7f800001
	s_and_saveexec_b64 s[30:31], vcc
	s_cbranch_execz .LBB6_10098
; %bb.10097:                            ;   in Loop: Header=BB6_8935 Depth=2
	v_and_b32_e32 v16, 7, v14
	v_lshrrev_b32_e32 v27, 3, v25
	v_cmp_gt_u32_e32 vcc, 8, v25
	v_ffbh_u32_e32 v25, v16
	v_min_u32_e32 v28, 32, v25
	v_subrev_u32_e32 v25, 28, v28
	v_lshlrev_b64 v[25:26], v25, v[14:15]
	v_sub_u32_e32 v14, 29, v28
	v_and_b32_e32 v25, 7, v25
	v_cndmask_b32_e32 v14, v27, v14, vcc
	v_cndmask_b32_e32 v16, v16, v25, vcc
	v_lshlrev_b32_e32 v25, 24, v52
	v_bfrev_b32_e32 v26, 60
	v_lshlrev_b32_e32 v16, 20, v16
	v_and_b32_e32 v25, 0x80000000, v25
	v_lshl_add_u32 v14, v14, 23, v26
	v_or3_b32 v16, v25, v14, v16
.LBB6_10098:                            ;   in Loop: Header=BB6_8935 Depth=2
	s_or_b64 exec, exec, s[30:31]
.LBB6_10099:                            ;   in Loop: Header=BB6_8935 Depth=2
	s_or_b64 exec, exec, s[94:95]
.LBB6_10100:                            ;   in Loop: Header=BB6_8935 Depth=2
	s_or_b64 exec, exec, s[92:93]
	v_max_f32_e32 v14, v16, v16
	v_max_f32_e32 v15, v15, v15
	;; [unrolled: 1-line block ×3, first 2 shown]
	s_mov_b64 s[92:93], 0
.LBB6_10101:                            ;   in Loop: Header=BB6_8935 Depth=2
	s_and_b64 vcc, exec, s[92:93]
	s_cbranch_vccz .LBB6_10115
; %bb.10102:                            ;   in Loop: Header=BB6_8935 Depth=2
	v_mov_b32_e32 v15, 0
	v_mov_b32_e32 v14, 0
	s_and_saveexec_b64 s[92:93], s[20:21]
	s_cbranch_execz .LBB6_10108
; %bb.10103:                            ;   in Loop: Header=BB6_8935 Depth=2
	v_cmp_ne_u16_e32 vcc, s49, v2
	v_bfrev_b32_e32 v14, 1
	s_and_saveexec_b64 s[20:21], vcc
	s_cbranch_execz .LBB6_10107
; %bb.10104:                            ;   in Loop: Header=BB6_8935 Depth=2
	v_and_b32_e32 v16, 0x7f, v58
	v_cmp_ne_u32_e32 vcc, s51, v16
	v_mov_b32_e32 v14, 0x7f800001
	s_and_saveexec_b64 s[94:95], vcc
	s_cbranch_execz .LBB6_10106
; %bb.10105:                            ;   in Loop: Header=BB6_8935 Depth=2
	v_and_b32_e32 v14, 7, v2
	v_lshrrev_b32_e32 v27, 3, v16
	v_cmp_gt_u32_e32 vcc, 8, v16
	v_ffbh_u32_e32 v16, v14
	v_min_u32_e32 v16, 32, v16
	v_subrev_u32_e32 v25, 28, v16
	v_lshlrev_b64 v[25:26], v25, v[2:3]
	v_sub_u32_e32 v2, 29, v16
	v_and_b32_e32 v16, 7, v25
	v_cndmask_b32_e32 v2, v27, v2, vcc
	v_cndmask_b32_e32 v14, v14, v16, vcc
	v_lshlrev_b32_e32 v16, 24, v58
	v_bfrev_b32_e32 v25, 60
	v_lshlrev_b32_e32 v14, 20, v14
	v_and_b32_e32 v16, 0x80000000, v16
	v_lshl_add_u32 v2, v2, 23, v25
	v_or3_b32 v14, v16, v2, v14
.LBB6_10106:                            ;   in Loop: Header=BB6_8935 Depth=2
	s_or_b64 exec, exec, s[94:95]
.LBB6_10107:                            ;   in Loop: Header=BB6_8935 Depth=2
	s_or_b64 exec, exec, s[20:21]
.LBB6_10108:                            ;   in Loop: Header=BB6_8935 Depth=2
	s_or_b64 exec, exec, s[92:93]
	v_and_b32_e32 v2, 0xff, v52
	v_cmp_ne_u16_e32 vcc, 0, v2
	s_and_saveexec_b64 s[20:21], vcc
	s_cbranch_execz .LBB6_10114
; %bb.10109:                            ;   in Loop: Header=BB6_8935 Depth=2
	v_cmp_ne_u16_e32 vcc, s49, v2
	v_bfrev_b32_e32 v15, 1
	s_and_saveexec_b64 s[92:93], vcc
	s_cbranch_execz .LBB6_10113
; %bb.10110:                            ;   in Loop: Header=BB6_8935 Depth=2
	v_and_b32_e32 v16, 0x7f, v52
	v_cmp_ne_u32_e32 vcc, s51, v16
	v_mov_b32_e32 v15, 0x7f800001
	s_and_saveexec_b64 s[94:95], vcc
	s_cbranch_execz .LBB6_10112
; %bb.10111:                            ;   in Loop: Header=BB6_8935 Depth=2
	v_and_b32_e32 v25, 7, v2
	v_ffbh_u32_e32 v15, v25
	v_min_u32_e32 v27, 32, v15
	v_subrev_u32_e32 v15, 28, v27
	v_lshrrev_b32_e32 v26, 3, v16
	v_cmp_gt_u32_e32 vcc, 8, v16
	v_lshlrev_b64 v[15:16], v15, v[2:3]
	v_sub_u32_e32 v2, 29, v27
	v_and_b32_e32 v15, 7, v15
	v_cndmask_b32_e32 v2, v26, v2, vcc
	v_cndmask_b32_e32 v15, v25, v15, vcc
	v_lshlrev_b32_e32 v16, 24, v52
	v_bfrev_b32_e32 v25, 60
	v_lshlrev_b32_e32 v15, 20, v15
	v_and_b32_e32 v16, 0x80000000, v16
	v_lshl_add_u32 v2, v2, 23, v25
	v_or3_b32 v15, v16, v2, v15
.LBB6_10112:                            ;   in Loop: Header=BB6_8935 Depth=2
	s_or_b64 exec, exec, s[94:95]
.LBB6_10113:                            ;   in Loop: Header=BB6_8935 Depth=2
	s_or_b64 exec, exec, s[92:93]
.LBB6_10114:                            ;   in Loop: Header=BB6_8935 Depth=2
	s_or_b64 exec, exec, s[20:21]
	v_max_f32_e32 v2, v15, v15
	v_max_f32_e32 v14, v14, v14
	v_min_f32_e32 v14, v14, v2
.LBB6_10115:                            ;   in Loop: Header=BB6_8935 Depth=2
	v_and_b32_e32 v2, 0x7f800000, v14
	v_cmp_ne_u64_e32 vcc, s[62:63], v[2:3]
                                        ; implicit-def: $vgpr25
	s_and_saveexec_b64 s[20:21], vcc
	s_xor_b64 s[92:93], exec, s[20:21]
	s_cbranch_execz .LBB6_10133
; %bb.10116:                            ;   in Loop: Header=BB6_8935 Depth=2
	v_and_b32_e32 v2, 0x7fffffff, v14
	v_cmp_gt_u64_e32 vcc, s[72:73], v[2:3]
	v_and_b32_sdwa v26, v14, s49 dst_sel:DWORD dst_unused:UNUSED_PAD src0_sel:BYTE_3 src1_sel:DWORD
                                        ; implicit-def: $vgpr25
	s_and_saveexec_b64 s[20:21], vcc
	s_xor_b64 s[94:95], exec, s[20:21]
	s_cbranch_execz .LBB6_10130
; %bb.10117:                            ;   in Loop: Header=BB6_8935 Depth=2
	v_cmp_ne_u32_e32 vcc, 0, v14
	v_mov_b32_e32 v25, 0
	s_and_saveexec_b64 s[30:31], vcc
	s_cbranch_execz .LBB6_10129
; %bb.10118:                            ;   in Loop: Header=BB6_8935 Depth=2
	v_bfe_u32 v25, v14, 23, 8
	v_and_b32_e32 v2, 0x7fffff, v14
	v_cmp_gt_u32_e64 s[20:21], s53, v25
	v_sub_u32_e32 v14, 0x79, v25
	v_cmp_eq_u32_e32 vcc, 0, v25
	v_cndmask_b32_e64 v14, 0, v14, s[20:21]
	v_mov_b32_e32 v16, 0x78
	v_cndmask_b32_e32 v27, v14, v16, vcc
	v_or_b32_e32 v15, 0x800000, v2
	v_add_u32_e32 v14, 20, v27
	v_cndmask_b32_e32 v2, v15, v2, vcc
	v_lshlrev_b64 v[14:15], v14, -1
	v_add_u32_e32 v16, 19, v27
	v_lshlrev_b64 v[28:29], v16, 1
	v_bfi_b32 v15, v15, 0, 0
	v_bfi_b32 v14, v14, 0, v2
	v_cmp_eq_u64_e64 s[20:21], v[14:15], v[28:29]
	v_lshrrev_b64 v[14:15], v27, v[2:3]
	v_mov_b32_e32 v16, v15
	v_mov_b32_e32 v15, v14
	s_and_saveexec_b64 s[34:35], s[20:21]
; %bb.10119:                            ;   in Loop: Header=BB6_8935 Depth=2
	v_bfe_u32 v2, v14, 20, 1
	v_add_co_u32_e64 v2, s[20:21], v14, v2
	v_add_co_u32_e64 v15, s[20:21], -1, v2
; %bb.10120:                            ;   in Loop: Header=BB6_8935 Depth=2
	s_or_b64 exec, exec, s[34:35]
	v_add_u32_e32 v2, 0xffffff81, v25
	v_cndmask_b32_e32 v2, v2, v59, vcc
	v_lshrrev_b32_e32 v16, 23, v14
	v_add3_u32 v27, v27, v2, v16
	v_add_u32_e32 v25, 6, v27
	v_and_b32_e32 v2, 0xfffff, v15
	v_add_u32_e32 v2, v2, v14
	v_cmp_ne_u32_e32 vcc, 0, v25
                                        ; implicit-def: $vgpr14_vgpr15
                                        ; implicit-def: $vgpr16
	s_and_saveexec_b64 s[20:21], vcc
	s_xor_b64 s[20:21], exec, s[20:21]
; %bb.10121:                            ;   in Loop: Header=BB6_8935 Depth=2
	v_cmp_lt_u64_e32 vcc, s[74:75], v[2:3]
	v_add_u32_e32 v14, 7, v27
	v_cndmask_b32_e32 v16, v25, v14, vcc
	v_cndmask_b32_e64 v14, 0, 1, vcc
	v_lshrrev_b64 v[14:15], v14, v[2:3]
; %bb.10122:                            ;   in Loop: Header=BB6_8935 Depth=2
	s_andn2_saveexec_b64 s[20:21], s[20:21]
; %bb.10123:                            ;   in Loop: Header=BB6_8935 Depth=2
	v_mov_b32_e32 v15, v3
	v_bfe_u32 v16, v2, 23, 1
	v_mov_b32_e32 v14, v2
; %bb.10124:                            ;   in Loop: Header=BB6_8935 Depth=2
	s_or_b64 exec, exec, s[20:21]
	v_lshrrev_b64 v[14:15], 20, v[14:15]
	v_cmp_gt_i32_e32 vcc, 16, v16
	v_cndmask_b32_e32 v15, 0, v15, vcc
	v_cndmask_b32_e32 v14, 7, v14, vcc
	v_cmp_ne_u64_e32 vcc, 0, v[14:15]
	v_cmp_ne_u32_e64 s[20:21], 0, v16
	s_or_b64 s[20:21], s[20:21], vcc
                                        ; implicit-def: $vgpr25
	s_and_saveexec_b64 vcc, s[20:21]
	s_xor_b64 s[20:21], exec, vcc
; %bb.10125:                            ;   in Loop: Header=BB6_8935 Depth=2
	v_min_i32_e32 v2, 15, v16
	v_lshl_or_b32 v2, v2, 3, v26
	v_and_or_b32 v25, v14, 7, v2
                                        ; implicit-def: $vgpr26
; %bb.10126:                            ;   in Loop: Header=BB6_8935 Depth=2
	s_andn2_saveexec_b64 s[20:21], s[20:21]
; %bb.10127:                            ;   in Loop: Header=BB6_8935 Depth=2
	v_mov_b32_e32 v25, v26
; %bb.10128:                            ;   in Loop: Header=BB6_8935 Depth=2
	s_or_b64 exec, exec, s[20:21]
.LBB6_10129:                            ;   in Loop: Header=BB6_8935 Depth=2
	s_or_b64 exec, exec, s[30:31]
                                        ; implicit-def: $vgpr26
.LBB6_10130:                            ;   in Loop: Header=BB6_8935 Depth=2
	s_andn2_saveexec_b64 s[20:21], s[94:95]
; %bb.10131:                            ;   in Loop: Header=BB6_8935 Depth=2
	v_or_b32_e32 v25, 0x7e, v26
; %bb.10132:                            ;   in Loop: Header=BB6_8935 Depth=2
	s_or_b64 exec, exec, s[20:21]
                                        ; implicit-def: $vgpr14
.LBB6_10133:                            ;   in Loop: Header=BB6_8935 Depth=2
	s_andn2_saveexec_b64 s[20:21], s[92:93]
; %bb.10134:                            ;   in Loop: Header=BB6_8935 Depth=2
	v_or_b32_sdwa v25, v14, s51 dst_sel:DWORD dst_unused:UNUSED_PAD src0_sel:BYTE_3 src1_sel:DWORD
; %bb.10135:                            ;   in Loop: Header=BB6_8935 Depth=2
	s_or_b64 exec, exec, s[20:21]
	v_and_b32_e32 v2, 0xff, v49
	v_cmp_ne_u16_e64 s[20:21], 0, v2
	s_and_b64 vcc, exec, s[18:19]
	s_mov_b64 s[92:93], -1
                                        ; implicit-def: $vgpr14
	s_cbranch_vccnz .LBB6_10149
; %bb.10136:                            ;   in Loop: Header=BB6_8935 Depth=2
	v_mov_b32_e32 v16, 0
	v_mov_b32_e32 v15, 0
	s_and_saveexec_b64 s[92:93], s[20:21]
	s_cbranch_execz .LBB6_10142
; %bb.10137:                            ;   in Loop: Header=BB6_8935 Depth=2
	v_cmp_ne_u16_e32 vcc, s49, v2
	v_bfrev_b32_e32 v15, 1
	s_and_saveexec_b64 s[94:95], vcc
	s_cbranch_execz .LBB6_10141
; %bb.10138:                            ;   in Loop: Header=BB6_8935 Depth=2
	v_and_b32_e32 v14, 0x7f, v49
	v_cmp_ne_u32_e32 vcc, s51, v14
	v_mov_b32_e32 v15, 0x7f800001
	s_and_saveexec_b64 s[30:31], vcc
	s_cbranch_execz .LBB6_10140
; %bb.10139:                            ;   in Loop: Header=BB6_8935 Depth=2
	v_and_b32_e32 v26, 7, v2
	v_lshrrev_b32_e32 v27, 3, v14
	v_cmp_gt_u32_e32 vcc, 8, v14
	v_ffbh_u32_e32 v14, v26
	v_min_u32_e32 v28, 32, v14
	v_subrev_u32_e32 v14, 28, v28
	v_lshlrev_b64 v[14:15], v14, v[2:3]
	v_sub_u32_e32 v15, 29, v28
	v_and_b32_e32 v14, 7, v14
	v_cndmask_b32_e32 v15, v27, v15, vcc
	v_cndmask_b32_e32 v14, v26, v14, vcc
	v_lshlrev_b32_e32 v26, 24, v49
	v_bfrev_b32_e32 v27, 60
	v_lshlrev_b32_e32 v14, 20, v14
	v_and_b32_e32 v26, 0x80000000, v26
	v_lshl_add_u32 v15, v15, 23, v27
	v_or3_b32 v15, v26, v15, v14
.LBB6_10140:                            ;   in Loop: Header=BB6_8935 Depth=2
	s_or_b64 exec, exec, s[30:31]
.LBB6_10141:                            ;   in Loop: Header=BB6_8935 Depth=2
	s_or_b64 exec, exec, s[94:95]
.LBB6_10142:                            ;   in Loop: Header=BB6_8935 Depth=2
	s_or_b64 exec, exec, s[92:93]
	v_and_b32_e32 v14, 0xff, v30
	v_cmp_ne_u16_e32 vcc, 0, v14
	s_and_saveexec_b64 s[92:93], vcc
	s_cbranch_execz .LBB6_10148
; %bb.10143:                            ;   in Loop: Header=BB6_8935 Depth=2
	v_cmp_ne_u16_e32 vcc, s49, v14
	v_bfrev_b32_e32 v16, 1
	s_and_saveexec_b64 s[94:95], vcc
	s_cbranch_execz .LBB6_10147
; %bb.10144:                            ;   in Loop: Header=BB6_8935 Depth=2
	v_and_b32_e32 v26, 0x7f, v30
	v_cmp_ne_u32_e32 vcc, s51, v26
	v_mov_b32_e32 v16, 0x7f800001
	s_and_saveexec_b64 s[30:31], vcc
	s_cbranch_execz .LBB6_10146
; %bb.10145:                            ;   in Loop: Header=BB6_8935 Depth=2
	v_and_b32_e32 v16, 7, v14
	v_lshrrev_b32_e32 v28, 3, v26
	v_cmp_gt_u32_e32 vcc, 8, v26
	v_ffbh_u32_e32 v26, v16
	v_min_u32_e32 v29, 32, v26
	v_subrev_u32_e32 v26, 28, v29
	v_lshlrev_b64 v[26:27], v26, v[14:15]
	v_sub_u32_e32 v14, 29, v29
	v_and_b32_e32 v26, 7, v26
	v_cndmask_b32_e32 v14, v28, v14, vcc
	v_cndmask_b32_e32 v16, v16, v26, vcc
	v_lshlrev_b32_e32 v26, 24, v30
	v_bfrev_b32_e32 v27, 60
	v_lshlrev_b32_e32 v16, 20, v16
	v_and_b32_e32 v26, 0x80000000, v26
	v_lshl_add_u32 v14, v14, 23, v27
	v_or3_b32 v16, v26, v14, v16
.LBB6_10146:                            ;   in Loop: Header=BB6_8935 Depth=2
	s_or_b64 exec, exec, s[30:31]
.LBB6_10147:                            ;   in Loop: Header=BB6_8935 Depth=2
	s_or_b64 exec, exec, s[94:95]
.LBB6_10148:                            ;   in Loop: Header=BB6_8935 Depth=2
	s_or_b64 exec, exec, s[92:93]
	v_max_f32_e32 v14, v16, v16
	v_max_f32_e32 v15, v15, v15
	;; [unrolled: 1-line block ×3, first 2 shown]
	s_mov_b64 s[92:93], 0
.LBB6_10149:                            ;   in Loop: Header=BB6_8935 Depth=2
	s_and_b64 vcc, exec, s[92:93]
	s_cbranch_vccz .LBB6_10163
; %bb.10150:                            ;   in Loop: Header=BB6_8935 Depth=2
	v_mov_b32_e32 v15, 0
	v_mov_b32_e32 v14, 0
	s_and_saveexec_b64 s[92:93], s[20:21]
	s_cbranch_execz .LBB6_10156
; %bb.10151:                            ;   in Loop: Header=BB6_8935 Depth=2
	v_cmp_ne_u16_e32 vcc, s49, v2
	v_bfrev_b32_e32 v14, 1
	s_and_saveexec_b64 s[20:21], vcc
	s_cbranch_execz .LBB6_10155
; %bb.10152:                            ;   in Loop: Header=BB6_8935 Depth=2
	v_and_b32_e32 v16, 0x7f, v49
	v_cmp_ne_u32_e32 vcc, s51, v16
	v_mov_b32_e32 v14, 0x7f800001
	s_and_saveexec_b64 s[94:95], vcc
	s_cbranch_execz .LBB6_10154
; %bb.10153:                            ;   in Loop: Header=BB6_8935 Depth=2
	v_and_b32_e32 v14, 7, v2
	v_lshrrev_b32_e32 v28, 3, v16
	v_cmp_gt_u32_e32 vcc, 8, v16
	v_ffbh_u32_e32 v16, v14
	v_min_u32_e32 v16, 32, v16
	v_subrev_u32_e32 v26, 28, v16
	v_lshlrev_b64 v[26:27], v26, v[2:3]
	v_sub_u32_e32 v2, 29, v16
	v_and_b32_e32 v16, 7, v26
	v_cndmask_b32_e32 v2, v28, v2, vcc
	v_cndmask_b32_e32 v14, v14, v16, vcc
	v_lshlrev_b32_e32 v16, 24, v49
	v_bfrev_b32_e32 v26, 60
	v_lshlrev_b32_e32 v14, 20, v14
	v_and_b32_e32 v16, 0x80000000, v16
	v_lshl_add_u32 v2, v2, 23, v26
	v_or3_b32 v14, v16, v2, v14
.LBB6_10154:                            ;   in Loop: Header=BB6_8935 Depth=2
	s_or_b64 exec, exec, s[94:95]
.LBB6_10155:                            ;   in Loop: Header=BB6_8935 Depth=2
	s_or_b64 exec, exec, s[20:21]
.LBB6_10156:                            ;   in Loop: Header=BB6_8935 Depth=2
	s_or_b64 exec, exec, s[92:93]
	v_and_b32_e32 v2, 0xff, v30
	v_cmp_ne_u16_e32 vcc, 0, v2
	s_and_saveexec_b64 s[20:21], vcc
	s_cbranch_execz .LBB6_10162
; %bb.10157:                            ;   in Loop: Header=BB6_8935 Depth=2
	v_cmp_ne_u16_e32 vcc, s49, v2
	v_bfrev_b32_e32 v15, 1
	s_and_saveexec_b64 s[92:93], vcc
	s_cbranch_execz .LBB6_10161
; %bb.10158:                            ;   in Loop: Header=BB6_8935 Depth=2
	v_and_b32_e32 v16, 0x7f, v30
	v_cmp_ne_u32_e32 vcc, s51, v16
	v_mov_b32_e32 v15, 0x7f800001
	s_and_saveexec_b64 s[94:95], vcc
	s_cbranch_execz .LBB6_10160
; %bb.10159:                            ;   in Loop: Header=BB6_8935 Depth=2
	v_and_b32_e32 v26, 7, v2
	v_ffbh_u32_e32 v15, v26
	v_min_u32_e32 v28, 32, v15
	v_subrev_u32_e32 v15, 28, v28
	v_lshrrev_b32_e32 v27, 3, v16
	v_cmp_gt_u32_e32 vcc, 8, v16
	v_lshlrev_b64 v[15:16], v15, v[2:3]
	v_sub_u32_e32 v2, 29, v28
	v_and_b32_e32 v15, 7, v15
	v_cndmask_b32_e32 v2, v27, v2, vcc
	v_cndmask_b32_e32 v15, v26, v15, vcc
	v_lshlrev_b32_e32 v16, 24, v30
	v_bfrev_b32_e32 v26, 60
	v_lshlrev_b32_e32 v15, 20, v15
	v_and_b32_e32 v16, 0x80000000, v16
	v_lshl_add_u32 v2, v2, 23, v26
	v_or3_b32 v15, v16, v2, v15
.LBB6_10160:                            ;   in Loop: Header=BB6_8935 Depth=2
	s_or_b64 exec, exec, s[94:95]
.LBB6_10161:                            ;   in Loop: Header=BB6_8935 Depth=2
	s_or_b64 exec, exec, s[92:93]
.LBB6_10162:                            ;   in Loop: Header=BB6_8935 Depth=2
	s_or_b64 exec, exec, s[20:21]
	v_max_f32_e32 v2, v15, v15
	v_max_f32_e32 v14, v14, v14
	v_min_f32_e32 v14, v14, v2
.LBB6_10163:                            ;   in Loop: Header=BB6_8935 Depth=2
	v_and_b32_e32 v2, 0x7f800000, v14
	v_cmp_ne_u64_e32 vcc, s[62:63], v[2:3]
                                        ; implicit-def: $vgpr26
	s_and_saveexec_b64 s[20:21], vcc
	s_xor_b64 s[92:93], exec, s[20:21]
	s_cbranch_execz .LBB6_10181
; %bb.10164:                            ;   in Loop: Header=BB6_8935 Depth=2
	v_and_b32_e32 v2, 0x7fffffff, v14
	v_cmp_gt_u64_e32 vcc, s[72:73], v[2:3]
	v_and_b32_sdwa v27, v14, s49 dst_sel:DWORD dst_unused:UNUSED_PAD src0_sel:BYTE_3 src1_sel:DWORD
                                        ; implicit-def: $vgpr26
	s_and_saveexec_b64 s[20:21], vcc
	s_xor_b64 s[94:95], exec, s[20:21]
	s_cbranch_execz .LBB6_10178
; %bb.10165:                            ;   in Loop: Header=BB6_8935 Depth=2
	v_cmp_ne_u32_e32 vcc, 0, v14
	v_mov_b32_e32 v26, 0
	s_and_saveexec_b64 s[30:31], vcc
	s_cbranch_execz .LBB6_10177
; %bb.10166:                            ;   in Loop: Header=BB6_8935 Depth=2
	v_bfe_u32 v26, v14, 23, 8
	v_and_b32_e32 v2, 0x7fffff, v14
	v_cmp_gt_u32_e64 s[20:21], s53, v26
	v_sub_u32_e32 v14, 0x79, v26
	v_cmp_eq_u32_e32 vcc, 0, v26
	v_cndmask_b32_e64 v14, 0, v14, s[20:21]
	v_mov_b32_e32 v16, 0x78
	v_cndmask_b32_e32 v28, v14, v16, vcc
	v_or_b32_e32 v15, 0x800000, v2
	v_add_u32_e32 v14, 20, v28
	v_cndmask_b32_e32 v2, v15, v2, vcc
	v_lshlrev_b64 v[14:15], v14, -1
	v_add_u32_e32 v16, 19, v28
	v_lshlrev_b64 v[29:30], v16, 1
	v_bfi_b32 v15, v15, 0, 0
	v_bfi_b32 v14, v14, 0, v2
	v_cmp_eq_u64_e64 s[20:21], v[14:15], v[29:30]
	v_lshrrev_b64 v[14:15], v28, v[2:3]
	v_mov_b32_e32 v16, v15
	v_mov_b32_e32 v15, v14
	s_and_saveexec_b64 s[34:35], s[20:21]
; %bb.10167:                            ;   in Loop: Header=BB6_8935 Depth=2
	v_bfe_u32 v2, v14, 20, 1
	v_add_co_u32_e64 v2, s[20:21], v14, v2
	v_add_co_u32_e64 v15, s[20:21], -1, v2
; %bb.10168:                            ;   in Loop: Header=BB6_8935 Depth=2
	s_or_b64 exec, exec, s[34:35]
	v_add_u32_e32 v2, 0xffffff81, v26
	v_cndmask_b32_e32 v2, v2, v59, vcc
	v_lshrrev_b32_e32 v16, 23, v14
	v_add3_u32 v28, v28, v2, v16
	v_add_u32_e32 v26, 6, v28
	v_and_b32_e32 v2, 0xfffff, v15
	v_add_u32_e32 v2, v2, v14
	v_cmp_ne_u32_e32 vcc, 0, v26
                                        ; implicit-def: $vgpr14_vgpr15
                                        ; implicit-def: $vgpr16
	s_and_saveexec_b64 s[20:21], vcc
	s_xor_b64 s[20:21], exec, s[20:21]
; %bb.10169:                            ;   in Loop: Header=BB6_8935 Depth=2
	v_cmp_lt_u64_e32 vcc, s[74:75], v[2:3]
	v_add_u32_e32 v14, 7, v28
	v_cndmask_b32_e32 v16, v26, v14, vcc
	v_cndmask_b32_e64 v14, 0, 1, vcc
	v_lshrrev_b64 v[14:15], v14, v[2:3]
; %bb.10170:                            ;   in Loop: Header=BB6_8935 Depth=2
	s_andn2_saveexec_b64 s[20:21], s[20:21]
; %bb.10171:                            ;   in Loop: Header=BB6_8935 Depth=2
	v_mov_b32_e32 v15, v3
	v_bfe_u32 v16, v2, 23, 1
	v_mov_b32_e32 v14, v2
; %bb.10172:                            ;   in Loop: Header=BB6_8935 Depth=2
	s_or_b64 exec, exec, s[20:21]
	v_lshrrev_b64 v[14:15], 20, v[14:15]
	v_cmp_gt_i32_e32 vcc, 16, v16
	v_cndmask_b32_e32 v15, 0, v15, vcc
	v_cndmask_b32_e32 v14, 7, v14, vcc
	v_cmp_ne_u64_e32 vcc, 0, v[14:15]
	v_cmp_ne_u32_e64 s[20:21], 0, v16
	s_or_b64 s[20:21], s[20:21], vcc
                                        ; implicit-def: $vgpr26
	s_and_saveexec_b64 vcc, s[20:21]
	s_xor_b64 s[20:21], exec, vcc
; %bb.10173:                            ;   in Loop: Header=BB6_8935 Depth=2
	v_min_i32_e32 v2, 15, v16
	v_lshl_or_b32 v2, v2, 3, v27
	v_and_or_b32 v26, v14, 7, v2
                                        ; implicit-def: $vgpr27
; %bb.10174:                            ;   in Loop: Header=BB6_8935 Depth=2
	s_andn2_saveexec_b64 s[20:21], s[20:21]
; %bb.10175:                            ;   in Loop: Header=BB6_8935 Depth=2
	v_mov_b32_e32 v26, v27
; %bb.10176:                            ;   in Loop: Header=BB6_8935 Depth=2
	s_or_b64 exec, exec, s[20:21]
.LBB6_10177:                            ;   in Loop: Header=BB6_8935 Depth=2
	s_or_b64 exec, exec, s[30:31]
                                        ; implicit-def: $vgpr27
.LBB6_10178:                            ;   in Loop: Header=BB6_8935 Depth=2
	s_andn2_saveexec_b64 s[20:21], s[94:95]
; %bb.10179:                            ;   in Loop: Header=BB6_8935 Depth=2
	v_or_b32_e32 v26, 0x7e, v27
; %bb.10180:                            ;   in Loop: Header=BB6_8935 Depth=2
	s_or_b64 exec, exec, s[20:21]
                                        ; implicit-def: $vgpr14
.LBB6_10181:                            ;   in Loop: Header=BB6_8935 Depth=2
	s_andn2_saveexec_b64 s[20:21], s[92:93]
; %bb.10182:                            ;   in Loop: Header=BB6_8935 Depth=2
	v_or_b32_sdwa v26, v14, s51 dst_sel:DWORD dst_unused:UNUSED_PAD src0_sel:BYTE_3 src1_sel:DWORD
; %bb.10183:                            ;   in Loop: Header=BB6_8935 Depth=2
	s_or_b64 exec, exec, s[20:21]
	v_and_b32_e32 v2, 0xff, v38
	v_cmp_ne_u16_e64 s[20:21], 0, v2
	s_and_b64 vcc, exec, s[18:19]
	s_mov_b64 s[92:93], -1
                                        ; implicit-def: $vgpr14
	s_cbranch_vccnz .LBB6_10197
; %bb.10184:                            ;   in Loop: Header=BB6_8935 Depth=2
	v_mov_b32_e32 v16, 0
	v_mov_b32_e32 v15, 0
	s_and_saveexec_b64 s[92:93], s[20:21]
	s_cbranch_execz .LBB6_10190
; %bb.10185:                            ;   in Loop: Header=BB6_8935 Depth=2
	v_cmp_ne_u16_e32 vcc, s49, v2
	v_bfrev_b32_e32 v15, 1
	s_and_saveexec_b64 s[94:95], vcc
	s_cbranch_execz .LBB6_10189
; %bb.10186:                            ;   in Loop: Header=BB6_8935 Depth=2
	v_and_b32_e32 v14, 0x7f, v38
	v_cmp_ne_u32_e32 vcc, s51, v14
	v_mov_b32_e32 v15, 0x7f800001
	s_and_saveexec_b64 s[30:31], vcc
	s_cbranch_execz .LBB6_10188
; %bb.10187:                            ;   in Loop: Header=BB6_8935 Depth=2
	v_and_b32_e32 v27, 7, v2
	v_lshrrev_b32_e32 v28, 3, v14
	v_cmp_gt_u32_e32 vcc, 8, v14
	v_ffbh_u32_e32 v14, v27
	v_min_u32_e32 v29, 32, v14
	v_subrev_u32_e32 v14, 28, v29
	v_lshlrev_b64 v[14:15], v14, v[2:3]
	v_sub_u32_e32 v15, 29, v29
	v_and_b32_e32 v14, 7, v14
	v_cndmask_b32_e32 v15, v28, v15, vcc
	v_cndmask_b32_e32 v14, v27, v14, vcc
	v_lshlrev_b32_e32 v27, 24, v38
	v_bfrev_b32_e32 v28, 60
	v_lshlrev_b32_e32 v14, 20, v14
	v_and_b32_e32 v27, 0x80000000, v27
	v_lshl_add_u32 v15, v15, 23, v28
	v_or3_b32 v15, v27, v15, v14
.LBB6_10188:                            ;   in Loop: Header=BB6_8935 Depth=2
	s_or_b64 exec, exec, s[30:31]
.LBB6_10189:                            ;   in Loop: Header=BB6_8935 Depth=2
	s_or_b64 exec, exec, s[94:95]
.LBB6_10190:                            ;   in Loop: Header=BB6_8935 Depth=2
	s_or_b64 exec, exec, s[92:93]
	v_and_b32_e32 v14, 0xff, v37
	v_cmp_ne_u16_e32 vcc, 0, v14
	s_and_saveexec_b64 s[92:93], vcc
	s_cbranch_execz .LBB6_10196
; %bb.10191:                            ;   in Loop: Header=BB6_8935 Depth=2
	v_cmp_ne_u16_e32 vcc, s49, v14
	v_bfrev_b32_e32 v16, 1
	s_and_saveexec_b64 s[94:95], vcc
	s_cbranch_execz .LBB6_10195
; %bb.10192:                            ;   in Loop: Header=BB6_8935 Depth=2
	v_and_b32_e32 v27, 0x7f, v37
	v_cmp_ne_u32_e32 vcc, s51, v27
	v_mov_b32_e32 v16, 0x7f800001
	s_and_saveexec_b64 s[30:31], vcc
	s_cbranch_execz .LBB6_10194
; %bb.10193:                            ;   in Loop: Header=BB6_8935 Depth=2
	v_and_b32_e32 v16, 7, v14
	v_lshrrev_b32_e32 v29, 3, v27
	v_cmp_gt_u32_e32 vcc, 8, v27
	v_ffbh_u32_e32 v27, v16
	v_min_u32_e32 v30, 32, v27
	v_subrev_u32_e32 v27, 28, v30
	v_lshlrev_b64 v[27:28], v27, v[14:15]
	v_sub_u32_e32 v14, 29, v30
	v_and_b32_e32 v27, 7, v27
	v_cndmask_b32_e32 v14, v29, v14, vcc
	v_cndmask_b32_e32 v16, v16, v27, vcc
	v_lshlrev_b32_e32 v27, 24, v37
	v_bfrev_b32_e32 v28, 60
	v_lshlrev_b32_e32 v16, 20, v16
	v_and_b32_e32 v27, 0x80000000, v27
	v_lshl_add_u32 v14, v14, 23, v28
	v_or3_b32 v16, v27, v14, v16
.LBB6_10194:                            ;   in Loop: Header=BB6_8935 Depth=2
	s_or_b64 exec, exec, s[30:31]
.LBB6_10195:                            ;   in Loop: Header=BB6_8935 Depth=2
	s_or_b64 exec, exec, s[94:95]
.LBB6_10196:                            ;   in Loop: Header=BB6_8935 Depth=2
	s_or_b64 exec, exec, s[92:93]
	v_max_f32_e32 v14, v16, v16
	v_max_f32_e32 v15, v15, v15
	;; [unrolled: 1-line block ×3, first 2 shown]
	s_mov_b64 s[92:93], 0
.LBB6_10197:                            ;   in Loop: Header=BB6_8935 Depth=2
	s_and_b64 vcc, exec, s[92:93]
	s_cbranch_vccz .LBB6_10211
; %bb.10198:                            ;   in Loop: Header=BB6_8935 Depth=2
	v_mov_b32_e32 v15, 0
	v_mov_b32_e32 v14, 0
	s_and_saveexec_b64 s[92:93], s[20:21]
	s_cbranch_execz .LBB6_10204
; %bb.10199:                            ;   in Loop: Header=BB6_8935 Depth=2
	v_cmp_ne_u16_e32 vcc, s49, v2
	v_bfrev_b32_e32 v14, 1
	s_and_saveexec_b64 s[20:21], vcc
	s_cbranch_execz .LBB6_10203
; %bb.10200:                            ;   in Loop: Header=BB6_8935 Depth=2
	v_and_b32_e32 v16, 0x7f, v38
	v_cmp_ne_u32_e32 vcc, s51, v16
	v_mov_b32_e32 v14, 0x7f800001
	s_and_saveexec_b64 s[94:95], vcc
	s_cbranch_execz .LBB6_10202
; %bb.10201:                            ;   in Loop: Header=BB6_8935 Depth=2
	v_and_b32_e32 v14, 7, v2
	v_lshrrev_b32_e32 v29, 3, v16
	v_cmp_gt_u32_e32 vcc, 8, v16
	v_ffbh_u32_e32 v16, v14
	v_min_u32_e32 v16, 32, v16
	v_subrev_u32_e32 v27, 28, v16
	v_lshlrev_b64 v[27:28], v27, v[2:3]
	v_sub_u32_e32 v2, 29, v16
	v_and_b32_e32 v16, 7, v27
	v_cndmask_b32_e32 v2, v29, v2, vcc
	v_cndmask_b32_e32 v14, v14, v16, vcc
	v_lshlrev_b32_e32 v16, 24, v38
	v_bfrev_b32_e32 v27, 60
	v_lshlrev_b32_e32 v14, 20, v14
	v_and_b32_e32 v16, 0x80000000, v16
	v_lshl_add_u32 v2, v2, 23, v27
	v_or3_b32 v14, v16, v2, v14
.LBB6_10202:                            ;   in Loop: Header=BB6_8935 Depth=2
	s_or_b64 exec, exec, s[94:95]
.LBB6_10203:                            ;   in Loop: Header=BB6_8935 Depth=2
	s_or_b64 exec, exec, s[20:21]
.LBB6_10204:                            ;   in Loop: Header=BB6_8935 Depth=2
	s_or_b64 exec, exec, s[92:93]
	v_and_b32_e32 v2, 0xff, v37
	v_cmp_ne_u16_e32 vcc, 0, v2
	s_and_saveexec_b64 s[20:21], vcc
	s_cbranch_execz .LBB6_10210
; %bb.10205:                            ;   in Loop: Header=BB6_8935 Depth=2
	v_cmp_ne_u16_e32 vcc, s49, v2
	v_bfrev_b32_e32 v15, 1
	s_and_saveexec_b64 s[92:93], vcc
	s_cbranch_execz .LBB6_10209
; %bb.10206:                            ;   in Loop: Header=BB6_8935 Depth=2
	v_and_b32_e32 v16, 0x7f, v37
	v_cmp_ne_u32_e32 vcc, s51, v16
	v_mov_b32_e32 v15, 0x7f800001
	s_and_saveexec_b64 s[94:95], vcc
	s_cbranch_execz .LBB6_10208
; %bb.10207:                            ;   in Loop: Header=BB6_8935 Depth=2
	v_and_b32_e32 v27, 7, v2
	v_ffbh_u32_e32 v15, v27
	v_min_u32_e32 v29, 32, v15
	v_subrev_u32_e32 v15, 28, v29
	v_lshrrev_b32_e32 v28, 3, v16
	v_cmp_gt_u32_e32 vcc, 8, v16
	v_lshlrev_b64 v[15:16], v15, v[2:3]
	v_sub_u32_e32 v2, 29, v29
	v_and_b32_e32 v15, 7, v15
	v_cndmask_b32_e32 v2, v28, v2, vcc
	v_cndmask_b32_e32 v15, v27, v15, vcc
	v_lshlrev_b32_e32 v16, 24, v37
	v_bfrev_b32_e32 v27, 60
	v_lshlrev_b32_e32 v15, 20, v15
	v_and_b32_e32 v16, 0x80000000, v16
	v_lshl_add_u32 v2, v2, 23, v27
	v_or3_b32 v15, v16, v2, v15
.LBB6_10208:                            ;   in Loop: Header=BB6_8935 Depth=2
	s_or_b64 exec, exec, s[94:95]
.LBB6_10209:                            ;   in Loop: Header=BB6_8935 Depth=2
	s_or_b64 exec, exec, s[92:93]
.LBB6_10210:                            ;   in Loop: Header=BB6_8935 Depth=2
	s_or_b64 exec, exec, s[20:21]
	v_max_f32_e32 v2, v15, v15
	v_max_f32_e32 v14, v14, v14
	v_min_f32_e32 v14, v14, v2
.LBB6_10211:                            ;   in Loop: Header=BB6_8935 Depth=2
	v_and_b32_e32 v2, 0x7f800000, v14
	v_cmp_ne_u64_e32 vcc, s[62:63], v[2:3]
                                        ; implicit-def: $vgpr27
	s_and_saveexec_b64 s[20:21], vcc
	s_xor_b64 s[92:93], exec, s[20:21]
	s_cbranch_execz .LBB6_10229
; %bb.10212:                            ;   in Loop: Header=BB6_8935 Depth=2
	v_and_b32_e32 v2, 0x7fffffff, v14
	v_cmp_gt_u64_e32 vcc, s[72:73], v[2:3]
	v_and_b32_sdwa v28, v14, s49 dst_sel:DWORD dst_unused:UNUSED_PAD src0_sel:BYTE_3 src1_sel:DWORD
                                        ; implicit-def: $vgpr27
	s_and_saveexec_b64 s[20:21], vcc
	s_xor_b64 s[94:95], exec, s[20:21]
	s_cbranch_execz .LBB6_10226
; %bb.10213:                            ;   in Loop: Header=BB6_8935 Depth=2
	v_cmp_ne_u32_e32 vcc, 0, v14
	v_mov_b32_e32 v27, 0
	s_and_saveexec_b64 s[30:31], vcc
	s_cbranch_execz .LBB6_10225
; %bb.10214:                            ;   in Loop: Header=BB6_8935 Depth=2
	v_bfe_u32 v27, v14, 23, 8
	v_and_b32_e32 v2, 0x7fffff, v14
	v_cmp_gt_u32_e64 s[20:21], s53, v27
	v_sub_u32_e32 v14, 0x79, v27
	v_cmp_eq_u32_e32 vcc, 0, v27
	v_cndmask_b32_e64 v14, 0, v14, s[20:21]
	v_mov_b32_e32 v16, 0x78
	v_cndmask_b32_e32 v29, v14, v16, vcc
	v_or_b32_e32 v15, 0x800000, v2
	v_add_u32_e32 v14, 20, v29
	v_cndmask_b32_e32 v2, v15, v2, vcc
	v_lshlrev_b64 v[14:15], v14, -1
	v_add_u32_e32 v16, 19, v29
	v_lshlrev_b64 v[30:31], v16, 1
	v_bfi_b32 v15, v15, 0, 0
	v_bfi_b32 v14, v14, 0, v2
	v_cmp_eq_u64_e64 s[20:21], v[14:15], v[30:31]
	v_lshrrev_b64 v[14:15], v29, v[2:3]
	v_mov_b32_e32 v16, v15
	v_mov_b32_e32 v15, v14
	s_and_saveexec_b64 s[34:35], s[20:21]
; %bb.10215:                            ;   in Loop: Header=BB6_8935 Depth=2
	v_bfe_u32 v2, v14, 20, 1
	v_add_co_u32_e64 v2, s[20:21], v14, v2
	v_add_co_u32_e64 v15, s[20:21], -1, v2
; %bb.10216:                            ;   in Loop: Header=BB6_8935 Depth=2
	s_or_b64 exec, exec, s[34:35]
	v_add_u32_e32 v2, 0xffffff81, v27
	v_cndmask_b32_e32 v2, v2, v59, vcc
	v_lshrrev_b32_e32 v16, 23, v14
	v_add3_u32 v29, v29, v2, v16
	v_add_u32_e32 v27, 6, v29
	v_and_b32_e32 v2, 0xfffff, v15
	v_add_u32_e32 v2, v2, v14
	v_cmp_ne_u32_e32 vcc, 0, v27
                                        ; implicit-def: $vgpr14_vgpr15
                                        ; implicit-def: $vgpr16
	s_and_saveexec_b64 s[20:21], vcc
	s_xor_b64 s[20:21], exec, s[20:21]
; %bb.10217:                            ;   in Loop: Header=BB6_8935 Depth=2
	v_cmp_lt_u64_e32 vcc, s[74:75], v[2:3]
	v_add_u32_e32 v14, 7, v29
	v_cndmask_b32_e32 v16, v27, v14, vcc
	v_cndmask_b32_e64 v14, 0, 1, vcc
	v_lshrrev_b64 v[14:15], v14, v[2:3]
; %bb.10218:                            ;   in Loop: Header=BB6_8935 Depth=2
	s_andn2_saveexec_b64 s[20:21], s[20:21]
; %bb.10219:                            ;   in Loop: Header=BB6_8935 Depth=2
	v_mov_b32_e32 v15, v3
	v_bfe_u32 v16, v2, 23, 1
	v_mov_b32_e32 v14, v2
; %bb.10220:                            ;   in Loop: Header=BB6_8935 Depth=2
	s_or_b64 exec, exec, s[20:21]
	v_lshrrev_b64 v[14:15], 20, v[14:15]
	v_cmp_gt_i32_e32 vcc, 16, v16
	v_cndmask_b32_e32 v15, 0, v15, vcc
	v_cndmask_b32_e32 v14, 7, v14, vcc
	v_cmp_ne_u64_e32 vcc, 0, v[14:15]
	v_cmp_ne_u32_e64 s[20:21], 0, v16
	s_or_b64 s[20:21], s[20:21], vcc
                                        ; implicit-def: $vgpr27
	s_and_saveexec_b64 vcc, s[20:21]
	s_xor_b64 s[20:21], exec, vcc
; %bb.10221:                            ;   in Loop: Header=BB6_8935 Depth=2
	v_min_i32_e32 v2, 15, v16
	v_lshl_or_b32 v2, v2, 3, v28
	v_and_or_b32 v27, v14, 7, v2
                                        ; implicit-def: $vgpr28
; %bb.10222:                            ;   in Loop: Header=BB6_8935 Depth=2
	s_andn2_saveexec_b64 s[20:21], s[20:21]
; %bb.10223:                            ;   in Loop: Header=BB6_8935 Depth=2
	v_mov_b32_e32 v27, v28
; %bb.10224:                            ;   in Loop: Header=BB6_8935 Depth=2
	s_or_b64 exec, exec, s[20:21]
.LBB6_10225:                            ;   in Loop: Header=BB6_8935 Depth=2
	s_or_b64 exec, exec, s[30:31]
                                        ; implicit-def: $vgpr28
.LBB6_10226:                            ;   in Loop: Header=BB6_8935 Depth=2
	s_andn2_saveexec_b64 s[20:21], s[94:95]
; %bb.10227:                            ;   in Loop: Header=BB6_8935 Depth=2
	v_or_b32_e32 v27, 0x7e, v28
; %bb.10228:                            ;   in Loop: Header=BB6_8935 Depth=2
	s_or_b64 exec, exec, s[20:21]
                                        ; implicit-def: $vgpr14
.LBB6_10229:                            ;   in Loop: Header=BB6_8935 Depth=2
	s_andn2_saveexec_b64 s[20:21], s[92:93]
; %bb.10230:                            ;   in Loop: Header=BB6_8935 Depth=2
	v_or_b32_sdwa v27, v14, s51 dst_sel:DWORD dst_unused:UNUSED_PAD src0_sel:BYTE_3 src1_sel:DWORD
; %bb.10231:                            ;   in Loop: Header=BB6_8935 Depth=2
	s_or_b64 exec, exec, s[20:21]
	v_and_b32_e32 v2, 0xff, v34
	v_cmp_ne_u16_e64 s[20:21], 0, v2
	s_and_b64 vcc, exec, s[18:19]
	s_mov_b64 s[92:93], -1
                                        ; implicit-def: $vgpr14
	s_cbranch_vccnz .LBB6_10245
; %bb.10232:                            ;   in Loop: Header=BB6_8935 Depth=2
	v_mov_b32_e32 v16, 0
	v_mov_b32_e32 v15, 0
	s_and_saveexec_b64 s[92:93], s[20:21]
	s_cbranch_execz .LBB6_10238
; %bb.10233:                            ;   in Loop: Header=BB6_8935 Depth=2
	v_cmp_ne_u16_e32 vcc, s49, v2
	v_bfrev_b32_e32 v15, 1
	s_and_saveexec_b64 s[94:95], vcc
	s_cbranch_execz .LBB6_10237
; %bb.10234:                            ;   in Loop: Header=BB6_8935 Depth=2
	v_and_b32_e32 v14, 0x7f, v34
	v_cmp_ne_u32_e32 vcc, s51, v14
	v_mov_b32_e32 v15, 0x7f800001
	s_and_saveexec_b64 s[30:31], vcc
	s_cbranch_execz .LBB6_10236
; %bb.10235:                            ;   in Loop: Header=BB6_8935 Depth=2
	v_and_b32_e32 v28, 7, v2
	v_lshrrev_b32_e32 v29, 3, v14
	v_cmp_gt_u32_e32 vcc, 8, v14
	v_ffbh_u32_e32 v14, v28
	v_min_u32_e32 v30, 32, v14
	v_subrev_u32_e32 v14, 28, v30
	v_lshlrev_b64 v[14:15], v14, v[2:3]
	v_sub_u32_e32 v15, 29, v30
	v_and_b32_e32 v14, 7, v14
	v_cndmask_b32_e32 v15, v29, v15, vcc
	v_cndmask_b32_e32 v14, v28, v14, vcc
	v_lshlrev_b32_e32 v28, 24, v34
	v_bfrev_b32_e32 v29, 60
	v_lshlrev_b32_e32 v14, 20, v14
	v_and_b32_e32 v28, 0x80000000, v28
	v_lshl_add_u32 v15, v15, 23, v29
	v_or3_b32 v15, v28, v15, v14
.LBB6_10236:                            ;   in Loop: Header=BB6_8935 Depth=2
	s_or_b64 exec, exec, s[30:31]
.LBB6_10237:                            ;   in Loop: Header=BB6_8935 Depth=2
	s_or_b64 exec, exec, s[94:95]
.LBB6_10238:                            ;   in Loop: Header=BB6_8935 Depth=2
	s_or_b64 exec, exec, s[92:93]
	v_and_b32_e32 v14, 0xff, v47
	v_cmp_ne_u16_e32 vcc, 0, v14
	s_and_saveexec_b64 s[92:93], vcc
	s_cbranch_execz .LBB6_10244
; %bb.10239:                            ;   in Loop: Header=BB6_8935 Depth=2
	v_cmp_ne_u16_e32 vcc, s49, v14
	v_bfrev_b32_e32 v16, 1
	s_and_saveexec_b64 s[94:95], vcc
	s_cbranch_execz .LBB6_10243
; %bb.10240:                            ;   in Loop: Header=BB6_8935 Depth=2
	v_and_b32_e32 v28, 0x7f, v47
	v_cmp_ne_u32_e32 vcc, s51, v28
	v_mov_b32_e32 v16, 0x7f800001
	s_and_saveexec_b64 s[30:31], vcc
	s_cbranch_execz .LBB6_10242
; %bb.10241:                            ;   in Loop: Header=BB6_8935 Depth=2
	v_and_b32_e32 v16, 7, v14
	v_lshrrev_b32_e32 v30, 3, v28
	v_cmp_gt_u32_e32 vcc, 8, v28
	v_ffbh_u32_e32 v28, v16
	v_min_u32_e32 v31, 32, v28
	v_subrev_u32_e32 v28, 28, v31
	v_lshlrev_b64 v[28:29], v28, v[14:15]
	v_sub_u32_e32 v14, 29, v31
	v_and_b32_e32 v28, 7, v28
	v_cndmask_b32_e32 v14, v30, v14, vcc
	v_cndmask_b32_e32 v16, v16, v28, vcc
	v_lshlrev_b32_e32 v28, 24, v47
	v_bfrev_b32_e32 v29, 60
	v_lshlrev_b32_e32 v16, 20, v16
	v_and_b32_e32 v28, 0x80000000, v28
	v_lshl_add_u32 v14, v14, 23, v29
	v_or3_b32 v16, v28, v14, v16
.LBB6_10242:                            ;   in Loop: Header=BB6_8935 Depth=2
	s_or_b64 exec, exec, s[30:31]
.LBB6_10243:                            ;   in Loop: Header=BB6_8935 Depth=2
	s_or_b64 exec, exec, s[94:95]
.LBB6_10244:                            ;   in Loop: Header=BB6_8935 Depth=2
	s_or_b64 exec, exec, s[92:93]
	v_max_f32_e32 v14, v16, v16
	v_max_f32_e32 v15, v15, v15
	;; [unrolled: 1-line block ×3, first 2 shown]
	s_mov_b64 s[92:93], 0
.LBB6_10245:                            ;   in Loop: Header=BB6_8935 Depth=2
	s_and_b64 vcc, exec, s[92:93]
	s_cbranch_vccz .LBB6_10259
; %bb.10246:                            ;   in Loop: Header=BB6_8935 Depth=2
	v_mov_b32_e32 v15, 0
	v_mov_b32_e32 v14, 0
	s_and_saveexec_b64 s[92:93], s[20:21]
	s_cbranch_execz .LBB6_10252
; %bb.10247:                            ;   in Loop: Header=BB6_8935 Depth=2
	v_cmp_ne_u16_e32 vcc, s49, v2
	v_bfrev_b32_e32 v14, 1
	s_and_saveexec_b64 s[20:21], vcc
	s_cbranch_execz .LBB6_10251
; %bb.10248:                            ;   in Loop: Header=BB6_8935 Depth=2
	v_and_b32_e32 v16, 0x7f, v34
	v_cmp_ne_u32_e32 vcc, s51, v16
	v_mov_b32_e32 v14, 0x7f800001
	s_and_saveexec_b64 s[94:95], vcc
	s_cbranch_execz .LBB6_10250
; %bb.10249:                            ;   in Loop: Header=BB6_8935 Depth=2
	v_and_b32_e32 v14, 7, v2
	v_lshrrev_b32_e32 v30, 3, v16
	v_cmp_gt_u32_e32 vcc, 8, v16
	v_ffbh_u32_e32 v16, v14
	v_min_u32_e32 v16, 32, v16
	v_subrev_u32_e32 v28, 28, v16
	v_lshlrev_b64 v[28:29], v28, v[2:3]
	v_sub_u32_e32 v2, 29, v16
	v_and_b32_e32 v16, 7, v28
	v_cndmask_b32_e32 v2, v30, v2, vcc
	v_cndmask_b32_e32 v14, v14, v16, vcc
	v_lshlrev_b32_e32 v16, 24, v34
	v_bfrev_b32_e32 v28, 60
	v_lshlrev_b32_e32 v14, 20, v14
	v_and_b32_e32 v16, 0x80000000, v16
	v_lshl_add_u32 v2, v2, 23, v28
	v_or3_b32 v14, v16, v2, v14
.LBB6_10250:                            ;   in Loop: Header=BB6_8935 Depth=2
	s_or_b64 exec, exec, s[94:95]
.LBB6_10251:                            ;   in Loop: Header=BB6_8935 Depth=2
	s_or_b64 exec, exec, s[20:21]
.LBB6_10252:                            ;   in Loop: Header=BB6_8935 Depth=2
	s_or_b64 exec, exec, s[92:93]
	v_and_b32_e32 v2, 0xff, v47
	v_cmp_ne_u16_e32 vcc, 0, v2
	s_and_saveexec_b64 s[20:21], vcc
	s_cbranch_execz .LBB6_10258
; %bb.10253:                            ;   in Loop: Header=BB6_8935 Depth=2
	v_cmp_ne_u16_e32 vcc, s49, v2
	v_bfrev_b32_e32 v15, 1
	s_and_saveexec_b64 s[92:93], vcc
	s_cbranch_execz .LBB6_10257
; %bb.10254:                            ;   in Loop: Header=BB6_8935 Depth=2
	v_and_b32_e32 v16, 0x7f, v47
	v_cmp_ne_u32_e32 vcc, s51, v16
	v_mov_b32_e32 v15, 0x7f800001
	s_and_saveexec_b64 s[94:95], vcc
	s_cbranch_execz .LBB6_10256
; %bb.10255:                            ;   in Loop: Header=BB6_8935 Depth=2
	v_and_b32_e32 v28, 7, v2
	v_ffbh_u32_e32 v15, v28
	v_min_u32_e32 v30, 32, v15
	v_subrev_u32_e32 v15, 28, v30
	v_lshrrev_b32_e32 v29, 3, v16
	v_cmp_gt_u32_e32 vcc, 8, v16
	v_lshlrev_b64 v[15:16], v15, v[2:3]
	v_sub_u32_e32 v2, 29, v30
	v_and_b32_e32 v15, 7, v15
	v_cndmask_b32_e32 v2, v29, v2, vcc
	v_cndmask_b32_e32 v15, v28, v15, vcc
	v_lshlrev_b32_e32 v16, 24, v47
	v_bfrev_b32_e32 v28, 60
	v_lshlrev_b32_e32 v15, 20, v15
	v_and_b32_e32 v16, 0x80000000, v16
	v_lshl_add_u32 v2, v2, 23, v28
	v_or3_b32 v15, v16, v2, v15
.LBB6_10256:                            ;   in Loop: Header=BB6_8935 Depth=2
	s_or_b64 exec, exec, s[94:95]
.LBB6_10257:                            ;   in Loop: Header=BB6_8935 Depth=2
	s_or_b64 exec, exec, s[92:93]
.LBB6_10258:                            ;   in Loop: Header=BB6_8935 Depth=2
	s_or_b64 exec, exec, s[20:21]
	v_max_f32_e32 v2, v15, v15
	v_max_f32_e32 v14, v14, v14
	v_min_f32_e32 v14, v14, v2
.LBB6_10259:                            ;   in Loop: Header=BB6_8935 Depth=2
	v_and_b32_e32 v2, 0x7f800000, v14
	v_cmp_ne_u64_e32 vcc, s[62:63], v[2:3]
                                        ; implicit-def: $vgpr28
	s_and_saveexec_b64 s[20:21], vcc
	s_xor_b64 s[92:93], exec, s[20:21]
	s_cbranch_execz .LBB6_10277
; %bb.10260:                            ;   in Loop: Header=BB6_8935 Depth=2
	v_and_b32_e32 v2, 0x7fffffff, v14
	v_cmp_gt_u64_e32 vcc, s[72:73], v[2:3]
	v_and_b32_sdwa v29, v14, s49 dst_sel:DWORD dst_unused:UNUSED_PAD src0_sel:BYTE_3 src1_sel:DWORD
                                        ; implicit-def: $vgpr28
	s_and_saveexec_b64 s[20:21], vcc
	s_xor_b64 s[94:95], exec, s[20:21]
	s_cbranch_execz .LBB6_10274
; %bb.10261:                            ;   in Loop: Header=BB6_8935 Depth=2
	v_cmp_ne_u32_e32 vcc, 0, v14
	v_mov_b32_e32 v28, 0
	s_and_saveexec_b64 s[30:31], vcc
	s_cbranch_execz .LBB6_10273
; %bb.10262:                            ;   in Loop: Header=BB6_8935 Depth=2
	v_bfe_u32 v28, v14, 23, 8
	v_and_b32_e32 v2, 0x7fffff, v14
	v_cmp_gt_u32_e64 s[20:21], s53, v28
	v_sub_u32_e32 v14, 0x79, v28
	v_cmp_eq_u32_e32 vcc, 0, v28
	v_cndmask_b32_e64 v14, 0, v14, s[20:21]
	v_mov_b32_e32 v16, 0x78
	v_cndmask_b32_e32 v30, v14, v16, vcc
	v_or_b32_e32 v15, 0x800000, v2
	v_add_u32_e32 v14, 20, v30
	v_cndmask_b32_e32 v2, v15, v2, vcc
	v_lshlrev_b64 v[14:15], v14, -1
	v_add_u32_e32 v16, 19, v30
	v_lshlrev_b64 v[31:32], v16, 1
	v_bfi_b32 v15, v15, 0, 0
	v_bfi_b32 v14, v14, 0, v2
	v_cmp_eq_u64_e64 s[20:21], v[14:15], v[31:32]
	v_lshrrev_b64 v[14:15], v30, v[2:3]
	v_mov_b32_e32 v16, v15
	v_mov_b32_e32 v15, v14
	s_and_saveexec_b64 s[34:35], s[20:21]
; %bb.10263:                            ;   in Loop: Header=BB6_8935 Depth=2
	v_bfe_u32 v2, v14, 20, 1
	v_add_co_u32_e64 v2, s[20:21], v14, v2
	v_add_co_u32_e64 v15, s[20:21], -1, v2
; %bb.10264:                            ;   in Loop: Header=BB6_8935 Depth=2
	s_or_b64 exec, exec, s[34:35]
	v_add_u32_e32 v2, 0xffffff81, v28
	v_cndmask_b32_e32 v2, v2, v59, vcc
	v_lshrrev_b32_e32 v16, 23, v14
	v_add3_u32 v30, v30, v2, v16
	v_add_u32_e32 v28, 6, v30
	v_and_b32_e32 v2, 0xfffff, v15
	v_add_u32_e32 v2, v2, v14
	v_cmp_ne_u32_e32 vcc, 0, v28
                                        ; implicit-def: $vgpr14_vgpr15
                                        ; implicit-def: $vgpr16
	s_and_saveexec_b64 s[20:21], vcc
	s_xor_b64 s[20:21], exec, s[20:21]
; %bb.10265:                            ;   in Loop: Header=BB6_8935 Depth=2
	v_cmp_lt_u64_e32 vcc, s[74:75], v[2:3]
	v_add_u32_e32 v14, 7, v30
	v_cndmask_b32_e32 v16, v28, v14, vcc
	v_cndmask_b32_e64 v14, 0, 1, vcc
	v_lshrrev_b64 v[14:15], v14, v[2:3]
; %bb.10266:                            ;   in Loop: Header=BB6_8935 Depth=2
	s_andn2_saveexec_b64 s[20:21], s[20:21]
; %bb.10267:                            ;   in Loop: Header=BB6_8935 Depth=2
	v_mov_b32_e32 v15, v3
	v_bfe_u32 v16, v2, 23, 1
	v_mov_b32_e32 v14, v2
; %bb.10268:                            ;   in Loop: Header=BB6_8935 Depth=2
	s_or_b64 exec, exec, s[20:21]
	v_lshrrev_b64 v[14:15], 20, v[14:15]
	v_cmp_gt_i32_e32 vcc, 16, v16
	v_cndmask_b32_e32 v15, 0, v15, vcc
	v_cndmask_b32_e32 v14, 7, v14, vcc
	v_cmp_ne_u64_e32 vcc, 0, v[14:15]
	v_cmp_ne_u32_e64 s[20:21], 0, v16
	s_or_b64 s[20:21], s[20:21], vcc
                                        ; implicit-def: $vgpr28
	s_and_saveexec_b64 vcc, s[20:21]
	s_xor_b64 s[20:21], exec, vcc
; %bb.10269:                            ;   in Loop: Header=BB6_8935 Depth=2
	v_min_i32_e32 v2, 15, v16
	v_lshl_or_b32 v2, v2, 3, v29
	v_and_or_b32 v28, v14, 7, v2
                                        ; implicit-def: $vgpr29
; %bb.10270:                            ;   in Loop: Header=BB6_8935 Depth=2
	s_andn2_saveexec_b64 s[20:21], s[20:21]
; %bb.10271:                            ;   in Loop: Header=BB6_8935 Depth=2
	v_mov_b32_e32 v28, v29
; %bb.10272:                            ;   in Loop: Header=BB6_8935 Depth=2
	s_or_b64 exec, exec, s[20:21]
.LBB6_10273:                            ;   in Loop: Header=BB6_8935 Depth=2
	s_or_b64 exec, exec, s[30:31]
                                        ; implicit-def: $vgpr29
.LBB6_10274:                            ;   in Loop: Header=BB6_8935 Depth=2
	s_andn2_saveexec_b64 s[20:21], s[94:95]
; %bb.10275:                            ;   in Loop: Header=BB6_8935 Depth=2
	v_or_b32_e32 v28, 0x7e, v29
; %bb.10276:                            ;   in Loop: Header=BB6_8935 Depth=2
	s_or_b64 exec, exec, s[20:21]
                                        ; implicit-def: $vgpr14
.LBB6_10277:                            ;   in Loop: Header=BB6_8935 Depth=2
	s_andn2_saveexec_b64 s[20:21], s[92:93]
; %bb.10278:                            ;   in Loop: Header=BB6_8935 Depth=2
	v_or_b32_sdwa v28, v14, s51 dst_sel:DWORD dst_unused:UNUSED_PAD src0_sel:BYTE_3 src1_sel:DWORD
; %bb.10279:                            ;   in Loop: Header=BB6_8935 Depth=2
	s_or_b64 exec, exec, s[20:21]
	v_and_b32_e32 v2, 0xff, v33
	v_cmp_ne_u16_e64 s[20:21], 0, v2
	s_and_b64 vcc, exec, s[18:19]
	s_mov_b64 s[92:93], -1
                                        ; implicit-def: $vgpr14
	s_cbranch_vccnz .LBB6_10293
; %bb.10280:                            ;   in Loop: Header=BB6_8935 Depth=2
	v_mov_b32_e32 v16, 0
	v_mov_b32_e32 v15, 0
	s_and_saveexec_b64 s[92:93], s[20:21]
	s_cbranch_execz .LBB6_10286
; %bb.10281:                            ;   in Loop: Header=BB6_8935 Depth=2
	v_cmp_ne_u16_e32 vcc, s49, v2
	v_bfrev_b32_e32 v15, 1
	s_and_saveexec_b64 s[94:95], vcc
	s_cbranch_execz .LBB6_10285
; %bb.10282:                            ;   in Loop: Header=BB6_8935 Depth=2
	v_and_b32_e32 v14, 0x7f, v33
	v_cmp_ne_u32_e32 vcc, s51, v14
	v_mov_b32_e32 v15, 0x7f800001
	s_and_saveexec_b64 s[30:31], vcc
	s_cbranch_execz .LBB6_10284
; %bb.10283:                            ;   in Loop: Header=BB6_8935 Depth=2
	v_and_b32_e32 v29, 7, v2
	v_lshrrev_b32_e32 v30, 3, v14
	v_cmp_gt_u32_e32 vcc, 8, v14
	v_ffbh_u32_e32 v14, v29
	v_min_u32_e32 v31, 32, v14
	v_subrev_u32_e32 v14, 28, v31
	v_lshlrev_b64 v[14:15], v14, v[2:3]
	v_sub_u32_e32 v15, 29, v31
	v_and_b32_e32 v14, 7, v14
	v_cndmask_b32_e32 v15, v30, v15, vcc
	v_cndmask_b32_e32 v14, v29, v14, vcc
	v_lshlrev_b32_e32 v29, 24, v33
	v_bfrev_b32_e32 v30, 60
	v_lshlrev_b32_e32 v14, 20, v14
	v_and_b32_e32 v29, 0x80000000, v29
	v_lshl_add_u32 v15, v15, 23, v30
	v_or3_b32 v15, v29, v15, v14
.LBB6_10284:                            ;   in Loop: Header=BB6_8935 Depth=2
	s_or_b64 exec, exec, s[30:31]
.LBB6_10285:                            ;   in Loop: Header=BB6_8935 Depth=2
	s_or_b64 exec, exec, s[94:95]
.LBB6_10286:                            ;   in Loop: Header=BB6_8935 Depth=2
	s_or_b64 exec, exec, s[92:93]
	v_and_b32_e32 v14, 0xff, v5
	v_cmp_ne_u16_e32 vcc, 0, v14
	s_and_saveexec_b64 s[92:93], vcc
	s_cbranch_execz .LBB6_10292
; %bb.10287:                            ;   in Loop: Header=BB6_8935 Depth=2
	v_cmp_ne_u16_e32 vcc, s49, v14
	v_bfrev_b32_e32 v16, 1
	s_and_saveexec_b64 s[94:95], vcc
	s_cbranch_execz .LBB6_10291
; %bb.10288:                            ;   in Loop: Header=BB6_8935 Depth=2
	v_and_b32_e32 v29, 0x7f, v5
	v_cmp_ne_u32_e32 vcc, s51, v29
	v_mov_b32_e32 v16, 0x7f800001
	s_and_saveexec_b64 s[30:31], vcc
	s_cbranch_execz .LBB6_10290
; %bb.10289:                            ;   in Loop: Header=BB6_8935 Depth=2
	v_and_b32_e32 v16, 7, v14
	v_lshrrev_b32_e32 v31, 3, v29
	v_cmp_gt_u32_e32 vcc, 8, v29
	v_ffbh_u32_e32 v29, v16
	v_min_u32_e32 v32, 32, v29
	v_subrev_u32_e32 v29, 28, v32
	v_lshlrev_b64 v[29:30], v29, v[14:15]
	v_sub_u32_e32 v14, 29, v32
	v_and_b32_e32 v29, 7, v29
	v_cndmask_b32_e32 v14, v31, v14, vcc
	v_cndmask_b32_e32 v16, v16, v29, vcc
	v_lshlrev_b32_e32 v29, 24, v5
	v_bfrev_b32_e32 v30, 60
	v_lshlrev_b32_e32 v16, 20, v16
	v_and_b32_e32 v29, 0x80000000, v29
	v_lshl_add_u32 v14, v14, 23, v30
	v_or3_b32 v16, v29, v14, v16
.LBB6_10290:                            ;   in Loop: Header=BB6_8935 Depth=2
	s_or_b64 exec, exec, s[30:31]
.LBB6_10291:                            ;   in Loop: Header=BB6_8935 Depth=2
	s_or_b64 exec, exec, s[94:95]
.LBB6_10292:                            ;   in Loop: Header=BB6_8935 Depth=2
	s_or_b64 exec, exec, s[92:93]
	v_max_f32_e32 v14, v16, v16
	v_max_f32_e32 v15, v15, v15
	v_max_f32_e32 v14, v15, v14
	s_mov_b64 s[92:93], 0
.LBB6_10293:                            ;   in Loop: Header=BB6_8935 Depth=2
	s_and_b64 vcc, exec, s[92:93]
	s_cbranch_vccz .LBB6_10307
; %bb.10294:                            ;   in Loop: Header=BB6_8935 Depth=2
	v_mov_b32_e32 v15, 0
	v_mov_b32_e32 v14, 0
	s_and_saveexec_b64 s[92:93], s[20:21]
	s_cbranch_execz .LBB6_10300
; %bb.10295:                            ;   in Loop: Header=BB6_8935 Depth=2
	v_cmp_ne_u16_e32 vcc, s49, v2
	v_bfrev_b32_e32 v14, 1
	s_and_saveexec_b64 s[20:21], vcc
	s_cbranch_execz .LBB6_10299
; %bb.10296:                            ;   in Loop: Header=BB6_8935 Depth=2
	v_and_b32_e32 v16, 0x7f, v33
	v_cmp_ne_u32_e32 vcc, s51, v16
	v_mov_b32_e32 v14, 0x7f800001
	s_and_saveexec_b64 s[94:95], vcc
	s_cbranch_execz .LBB6_10298
; %bb.10297:                            ;   in Loop: Header=BB6_8935 Depth=2
	v_and_b32_e32 v14, 7, v2
	v_lshrrev_b32_e32 v31, 3, v16
	v_cmp_gt_u32_e32 vcc, 8, v16
	v_ffbh_u32_e32 v16, v14
	v_min_u32_e32 v16, 32, v16
	v_subrev_u32_e32 v29, 28, v16
	v_lshlrev_b64 v[29:30], v29, v[2:3]
	v_sub_u32_e32 v2, 29, v16
	v_and_b32_e32 v16, 7, v29
	v_cndmask_b32_e32 v2, v31, v2, vcc
	v_cndmask_b32_e32 v14, v14, v16, vcc
	v_lshlrev_b32_e32 v16, 24, v33
	v_bfrev_b32_e32 v29, 60
	v_lshlrev_b32_e32 v14, 20, v14
	v_and_b32_e32 v16, 0x80000000, v16
	v_lshl_add_u32 v2, v2, 23, v29
	v_or3_b32 v14, v16, v2, v14
.LBB6_10298:                            ;   in Loop: Header=BB6_8935 Depth=2
	s_or_b64 exec, exec, s[94:95]
.LBB6_10299:                            ;   in Loop: Header=BB6_8935 Depth=2
	s_or_b64 exec, exec, s[20:21]
.LBB6_10300:                            ;   in Loop: Header=BB6_8935 Depth=2
	s_or_b64 exec, exec, s[92:93]
	v_and_b32_e32 v2, 0xff, v5
	v_cmp_ne_u16_e32 vcc, 0, v2
	s_and_saveexec_b64 s[20:21], vcc
	s_cbranch_execz .LBB6_10306
; %bb.10301:                            ;   in Loop: Header=BB6_8935 Depth=2
	v_cmp_ne_u16_e32 vcc, s49, v2
	v_bfrev_b32_e32 v15, 1
	s_and_saveexec_b64 s[92:93], vcc
	s_cbranch_execz .LBB6_10305
; %bb.10302:                            ;   in Loop: Header=BB6_8935 Depth=2
	v_and_b32_e32 v16, 0x7f, v5
	v_cmp_ne_u32_e32 vcc, s51, v16
	v_mov_b32_e32 v15, 0x7f800001
	s_and_saveexec_b64 s[94:95], vcc
	s_cbranch_execz .LBB6_10304
; %bb.10303:                            ;   in Loop: Header=BB6_8935 Depth=2
	v_and_b32_e32 v29, 7, v2
	v_ffbh_u32_e32 v15, v29
	v_min_u32_e32 v31, 32, v15
	v_subrev_u32_e32 v15, 28, v31
	v_lshrrev_b32_e32 v30, 3, v16
	v_cmp_gt_u32_e32 vcc, 8, v16
	v_lshlrev_b64 v[15:16], v15, v[2:3]
	v_sub_u32_e32 v2, 29, v31
	v_and_b32_e32 v15, 7, v15
	v_cndmask_b32_e32 v2, v30, v2, vcc
	v_cndmask_b32_e32 v15, v29, v15, vcc
	v_lshlrev_b32_e32 v16, 24, v5
	v_bfrev_b32_e32 v5, 60
	v_lshlrev_b32_e32 v15, 20, v15
	v_and_b32_e32 v16, 0x80000000, v16
	v_lshl_add_u32 v2, v2, 23, v5
	v_or3_b32 v15, v16, v2, v15
.LBB6_10304:                            ;   in Loop: Header=BB6_8935 Depth=2
	s_or_b64 exec, exec, s[94:95]
.LBB6_10305:                            ;   in Loop: Header=BB6_8935 Depth=2
	s_or_b64 exec, exec, s[92:93]
.LBB6_10306:                            ;   in Loop: Header=BB6_8935 Depth=2
	s_or_b64 exec, exec, s[20:21]
	v_max_f32_e32 v2, v15, v15
	v_max_f32_e32 v14, v14, v14
	v_min_f32_e32 v14, v14, v2
.LBB6_10307:                            ;   in Loop: Header=BB6_8935 Depth=2
	v_and_b32_e32 v2, 0x7f800000, v14
	v_cmp_ne_u64_e32 vcc, s[62:63], v[2:3]
                                        ; implicit-def: $vgpr29
	s_mov_b64 s[20:21], exec
	s_and_b64 s[94:95], s[20:21], vcc
	s_xor_b64 s[92:93], s[94:95], s[20:21]
	v_bfrev_b32_e32 v5, 60
	s_mov_b64 exec, s[94:95]
	s_cbranch_execz .LBB6_10325
; %bb.10308:                            ;   in Loop: Header=BB6_8935 Depth=2
	v_and_b32_e32 v2, 0x7fffffff, v14
	v_cmp_gt_u64_e32 vcc, s[72:73], v[2:3]
	v_and_b32_sdwa v30, v14, s49 dst_sel:DWORD dst_unused:UNUSED_PAD src0_sel:BYTE_3 src1_sel:DWORD
                                        ; implicit-def: $vgpr29
	s_and_saveexec_b64 s[20:21], vcc
	s_xor_b64 s[94:95], exec, s[20:21]
	s_cbranch_execz .LBB6_10322
; %bb.10309:                            ;   in Loop: Header=BB6_8935 Depth=2
	v_cmp_ne_u32_e32 vcc, 0, v14
	v_mov_b32_e32 v29, 0
	s_and_saveexec_b64 s[30:31], vcc
	s_cbranch_execz .LBB6_10321
; %bb.10310:                            ;   in Loop: Header=BB6_8935 Depth=2
	v_bfe_u32 v29, v14, 23, 8
	v_and_b32_e32 v2, 0x7fffff, v14
	v_cmp_gt_u32_e64 s[20:21], s53, v29
	v_sub_u32_e32 v14, 0x79, v29
	v_cmp_eq_u32_e32 vcc, 0, v29
	v_cndmask_b32_e64 v14, 0, v14, s[20:21]
	v_mov_b32_e32 v16, 0x78
	v_cndmask_b32_e32 v31, v14, v16, vcc
	v_or_b32_e32 v15, 0x800000, v2
	v_add_u32_e32 v14, 20, v31
	v_cndmask_b32_e32 v2, v15, v2, vcc
	v_lshlrev_b64 v[14:15], v14, -1
	v_add_u32_e32 v16, 19, v31
	v_lshlrev_b64 v[32:33], v16, 1
	v_bfi_b32 v15, v15, 0, 0
	v_bfi_b32 v14, v14, 0, v2
	v_cmp_eq_u64_e64 s[20:21], v[14:15], v[32:33]
	v_lshrrev_b64 v[14:15], v31, v[2:3]
	v_mov_b32_e32 v16, v15
	v_mov_b32_e32 v15, v14
	s_and_saveexec_b64 s[34:35], s[20:21]
; %bb.10311:                            ;   in Loop: Header=BB6_8935 Depth=2
	v_bfe_u32 v2, v14, 20, 1
	v_add_co_u32_e64 v2, s[20:21], v14, v2
	v_add_co_u32_e64 v15, s[20:21], -1, v2
; %bb.10312:                            ;   in Loop: Header=BB6_8935 Depth=2
	s_or_b64 exec, exec, s[34:35]
	v_add_u32_e32 v2, 0xffffff81, v29
	v_cndmask_b32_e32 v2, v2, v59, vcc
	v_lshrrev_b32_e32 v16, 23, v14
	v_add3_u32 v31, v31, v2, v16
	v_add_u32_e32 v29, 6, v31
	v_and_b32_e32 v2, 0xfffff, v15
	v_add_u32_e32 v2, v2, v14
	v_cmp_ne_u32_e32 vcc, 0, v29
                                        ; implicit-def: $vgpr14_vgpr15
                                        ; implicit-def: $vgpr16
	s_and_saveexec_b64 s[20:21], vcc
	s_xor_b64 s[20:21], exec, s[20:21]
; %bb.10313:                            ;   in Loop: Header=BB6_8935 Depth=2
	v_cmp_lt_u64_e32 vcc, s[74:75], v[2:3]
	v_add_u32_e32 v14, 7, v31
	v_cndmask_b32_e32 v16, v29, v14, vcc
	v_cndmask_b32_e64 v14, 0, 1, vcc
	v_lshrrev_b64 v[14:15], v14, v[2:3]
; %bb.10314:                            ;   in Loop: Header=BB6_8935 Depth=2
	s_andn2_saveexec_b64 s[20:21], s[20:21]
; %bb.10315:                            ;   in Loop: Header=BB6_8935 Depth=2
	v_mov_b32_e32 v15, v3
	v_bfe_u32 v16, v2, 23, 1
	v_mov_b32_e32 v14, v2
; %bb.10316:                            ;   in Loop: Header=BB6_8935 Depth=2
	s_or_b64 exec, exec, s[20:21]
	v_lshrrev_b64 v[14:15], 20, v[14:15]
	v_cmp_gt_i32_e32 vcc, 16, v16
	v_cndmask_b32_e32 v15, 0, v15, vcc
	v_cndmask_b32_e32 v14, 7, v14, vcc
	v_cmp_ne_u64_e32 vcc, 0, v[14:15]
	v_cmp_ne_u32_e64 s[20:21], 0, v16
	s_or_b64 s[20:21], s[20:21], vcc
                                        ; implicit-def: $vgpr29
	s_and_saveexec_b64 vcc, s[20:21]
	s_xor_b64 s[20:21], exec, vcc
; %bb.10317:                            ;   in Loop: Header=BB6_8935 Depth=2
	v_min_i32_e32 v2, 15, v16
	v_lshl_or_b32 v2, v2, 3, v30
	v_and_or_b32 v29, v14, 7, v2
                                        ; implicit-def: $vgpr30
; %bb.10318:                            ;   in Loop: Header=BB6_8935 Depth=2
	s_andn2_saveexec_b64 s[20:21], s[20:21]
; %bb.10319:                            ;   in Loop: Header=BB6_8935 Depth=2
	v_mov_b32_e32 v29, v30
; %bb.10320:                            ;   in Loop: Header=BB6_8935 Depth=2
	s_or_b64 exec, exec, s[20:21]
.LBB6_10321:                            ;   in Loop: Header=BB6_8935 Depth=2
	s_or_b64 exec, exec, s[30:31]
                                        ; implicit-def: $vgpr30
.LBB6_10322:                            ;   in Loop: Header=BB6_8935 Depth=2
	s_andn2_saveexec_b64 s[20:21], s[94:95]
; %bb.10323:                            ;   in Loop: Header=BB6_8935 Depth=2
	v_or_b32_e32 v29, 0x7e, v30
; %bb.10324:                            ;   in Loop: Header=BB6_8935 Depth=2
	s_or_b64 exec, exec, s[20:21]
                                        ; implicit-def: $vgpr14
.LBB6_10325:                            ;   in Loop: Header=BB6_8935 Depth=2
	s_andn2_saveexec_b64 s[20:21], s[92:93]
; %bb.10326:                            ;   in Loop: Header=BB6_8935 Depth=2
	v_or_b32_sdwa v29, v14, s51 dst_sel:DWORD dst_unused:UNUSED_PAD src0_sel:BYTE_3 src1_sel:DWORD
; %bb.10327:                            ;   in Loop: Header=BB6_8935 Depth=2
	s_or_b64 exec, exec, s[20:21]
	v_and_b32_e32 v2, 0xff, v54
	v_cmp_ne_u16_e64 s[20:21], 0, v2
	s_and_b64 vcc, exec, s[18:19]
	s_mov_b64 s[92:93], -1
                                        ; implicit-def: $vgpr14
	s_cbranch_vccnz .LBB6_10341
; %bb.10328:                            ;   in Loop: Header=BB6_8935 Depth=2
	v_mov_b32_e32 v16, 0
	v_mov_b32_e32 v15, 0
	s_and_saveexec_b64 s[92:93], s[20:21]
	s_cbranch_execz .LBB6_10334
; %bb.10329:                            ;   in Loop: Header=BB6_8935 Depth=2
	v_cmp_ne_u16_e32 vcc, s49, v2
	v_bfrev_b32_e32 v15, 1
	s_and_saveexec_b64 s[94:95], vcc
	s_cbranch_execz .LBB6_10333
; %bb.10330:                            ;   in Loop: Header=BB6_8935 Depth=2
	v_and_b32_e32 v14, 0x7f, v54
	v_cmp_ne_u32_e32 vcc, s51, v14
	v_mov_b32_e32 v15, 0x7f800001
	s_and_saveexec_b64 s[30:31], vcc
	s_cbranch_execz .LBB6_10332
; %bb.10331:                            ;   in Loop: Header=BB6_8935 Depth=2
	v_and_b32_e32 v30, 7, v2
	v_lshrrev_b32_e32 v31, 3, v14
	v_cmp_gt_u32_e32 vcc, 8, v14
	v_ffbh_u32_e32 v14, v30
	v_min_u32_e32 v32, 32, v14
	v_subrev_u32_e32 v14, 28, v32
	v_lshlrev_b64 v[14:15], v14, v[2:3]
	v_sub_u32_e32 v15, 29, v32
	v_and_b32_e32 v14, 7, v14
	v_cndmask_b32_e32 v15, v31, v15, vcc
	v_cndmask_b32_e32 v14, v30, v14, vcc
	v_lshlrev_b32_e32 v30, 24, v54
	v_lshlrev_b32_e32 v14, 20, v14
	v_and_b32_e32 v30, 0x80000000, v30
	v_lshl_add_u32 v15, v15, 23, v5
	v_or3_b32 v15, v30, v15, v14
.LBB6_10332:                            ;   in Loop: Header=BB6_8935 Depth=2
	s_or_b64 exec, exec, s[30:31]
.LBB6_10333:                            ;   in Loop: Header=BB6_8935 Depth=2
	s_or_b64 exec, exec, s[94:95]
.LBB6_10334:                            ;   in Loop: Header=BB6_8935 Depth=2
	s_or_b64 exec, exec, s[92:93]
	v_and_b32_e32 v14, 0xff, v39
	v_cmp_ne_u16_e32 vcc, 0, v14
	s_and_saveexec_b64 s[92:93], vcc
	s_cbranch_execz .LBB6_10340
; %bb.10335:                            ;   in Loop: Header=BB6_8935 Depth=2
	v_cmp_ne_u16_e32 vcc, s49, v14
	v_bfrev_b32_e32 v16, 1
	s_and_saveexec_b64 s[94:95], vcc
	s_cbranch_execz .LBB6_10339
; %bb.10336:                            ;   in Loop: Header=BB6_8935 Depth=2
	v_and_b32_e32 v30, 0x7f, v39
	v_cmp_ne_u32_e32 vcc, s51, v30
	v_mov_b32_e32 v16, 0x7f800001
	s_and_saveexec_b64 s[30:31], vcc
	s_cbranch_execz .LBB6_10338
; %bb.10337:                            ;   in Loop: Header=BB6_8935 Depth=2
	v_and_b32_e32 v16, 7, v14
	v_lshrrev_b32_e32 v32, 3, v30
	v_cmp_gt_u32_e32 vcc, 8, v30
	v_ffbh_u32_e32 v30, v16
	v_min_u32_e32 v33, 32, v30
	v_subrev_u32_e32 v30, 28, v33
	v_lshlrev_b64 v[30:31], v30, v[14:15]
	v_sub_u32_e32 v14, 29, v33
	v_and_b32_e32 v30, 7, v30
	v_cndmask_b32_e32 v14, v32, v14, vcc
	v_cndmask_b32_e32 v16, v16, v30, vcc
	v_lshlrev_b32_e32 v30, 24, v39
	v_lshlrev_b32_e32 v16, 20, v16
	v_and_b32_e32 v30, 0x80000000, v30
	v_lshl_add_u32 v14, v14, 23, v5
	v_or3_b32 v16, v30, v14, v16
.LBB6_10338:                            ;   in Loop: Header=BB6_8935 Depth=2
	s_or_b64 exec, exec, s[30:31]
.LBB6_10339:                            ;   in Loop: Header=BB6_8935 Depth=2
	s_or_b64 exec, exec, s[94:95]
.LBB6_10340:                            ;   in Loop: Header=BB6_8935 Depth=2
	s_or_b64 exec, exec, s[92:93]
	v_max_f32_e32 v14, v16, v16
	v_max_f32_e32 v15, v15, v15
	;; [unrolled: 1-line block ×3, first 2 shown]
	s_mov_b64 s[92:93], 0
.LBB6_10341:                            ;   in Loop: Header=BB6_8935 Depth=2
	s_and_b64 vcc, exec, s[92:93]
	s_cbranch_vccz .LBB6_10355
; %bb.10342:                            ;   in Loop: Header=BB6_8935 Depth=2
	v_mov_b32_e32 v15, 0
	v_mov_b32_e32 v14, 0
	s_and_saveexec_b64 s[92:93], s[20:21]
	s_cbranch_execz .LBB6_10348
; %bb.10343:                            ;   in Loop: Header=BB6_8935 Depth=2
	v_cmp_ne_u16_e32 vcc, s49, v2
	v_bfrev_b32_e32 v14, 1
	s_and_saveexec_b64 s[20:21], vcc
	s_cbranch_execz .LBB6_10347
; %bb.10344:                            ;   in Loop: Header=BB6_8935 Depth=2
	v_and_b32_e32 v16, 0x7f, v54
	v_cmp_ne_u32_e32 vcc, s51, v16
	v_mov_b32_e32 v14, 0x7f800001
	s_and_saveexec_b64 s[94:95], vcc
	s_cbranch_execz .LBB6_10346
; %bb.10345:                            ;   in Loop: Header=BB6_8935 Depth=2
	v_and_b32_e32 v14, 7, v2
	v_lshrrev_b32_e32 v32, 3, v16
	v_cmp_gt_u32_e32 vcc, 8, v16
	v_ffbh_u32_e32 v16, v14
	v_min_u32_e32 v16, 32, v16
	v_subrev_u32_e32 v30, 28, v16
	v_lshlrev_b64 v[30:31], v30, v[2:3]
	v_sub_u32_e32 v2, 29, v16
	v_and_b32_e32 v16, 7, v30
	v_cndmask_b32_e32 v2, v32, v2, vcc
	v_cndmask_b32_e32 v14, v14, v16, vcc
	v_lshlrev_b32_e32 v16, 24, v54
	v_lshlrev_b32_e32 v14, 20, v14
	v_and_b32_e32 v16, 0x80000000, v16
	v_lshl_add_u32 v2, v2, 23, v5
	v_or3_b32 v14, v16, v2, v14
.LBB6_10346:                            ;   in Loop: Header=BB6_8935 Depth=2
	s_or_b64 exec, exec, s[94:95]
.LBB6_10347:                            ;   in Loop: Header=BB6_8935 Depth=2
	s_or_b64 exec, exec, s[20:21]
.LBB6_10348:                            ;   in Loop: Header=BB6_8935 Depth=2
	s_or_b64 exec, exec, s[92:93]
	v_and_b32_e32 v2, 0xff, v39
	v_cmp_ne_u16_e32 vcc, 0, v2
	s_and_saveexec_b64 s[20:21], vcc
	s_cbranch_execz .LBB6_10354
; %bb.10349:                            ;   in Loop: Header=BB6_8935 Depth=2
	v_cmp_ne_u16_e32 vcc, s49, v2
	v_bfrev_b32_e32 v15, 1
	s_and_saveexec_b64 s[92:93], vcc
	s_cbranch_execz .LBB6_10353
; %bb.10350:                            ;   in Loop: Header=BB6_8935 Depth=2
	v_and_b32_e32 v16, 0x7f, v39
	v_cmp_ne_u32_e32 vcc, s51, v16
	v_mov_b32_e32 v15, 0x7f800001
	s_and_saveexec_b64 s[94:95], vcc
	s_cbranch_execz .LBB6_10352
; %bb.10351:                            ;   in Loop: Header=BB6_8935 Depth=2
	v_and_b32_e32 v30, 7, v2
	v_ffbh_u32_e32 v15, v30
	v_min_u32_e32 v32, 32, v15
	v_subrev_u32_e32 v15, 28, v32
	v_lshrrev_b32_e32 v31, 3, v16
	v_cmp_gt_u32_e32 vcc, 8, v16
	v_lshlrev_b64 v[15:16], v15, v[2:3]
	v_sub_u32_e32 v2, 29, v32
	v_and_b32_e32 v15, 7, v15
	v_cndmask_b32_e32 v2, v31, v2, vcc
	v_cndmask_b32_e32 v15, v30, v15, vcc
	v_lshlrev_b32_e32 v16, 24, v39
	v_lshlrev_b32_e32 v15, 20, v15
	v_and_b32_e32 v16, 0x80000000, v16
	v_lshl_add_u32 v2, v2, 23, v5
	v_or3_b32 v15, v16, v2, v15
.LBB6_10352:                            ;   in Loop: Header=BB6_8935 Depth=2
	s_or_b64 exec, exec, s[94:95]
.LBB6_10353:                            ;   in Loop: Header=BB6_8935 Depth=2
	s_or_b64 exec, exec, s[92:93]
.LBB6_10354:                            ;   in Loop: Header=BB6_8935 Depth=2
	s_or_b64 exec, exec, s[20:21]
	v_max_f32_e32 v2, v15, v15
	v_max_f32_e32 v14, v14, v14
	v_min_f32_e32 v14, v14, v2
.LBB6_10355:                            ;   in Loop: Header=BB6_8935 Depth=2
	v_and_b32_e32 v2, 0x7f800000, v14
	v_cmp_ne_u64_e32 vcc, s[62:63], v[2:3]
                                        ; implicit-def: $vgpr30
	s_and_saveexec_b64 s[20:21], vcc
	s_xor_b64 s[92:93], exec, s[20:21]
	s_cbranch_execz .LBB6_10373
; %bb.10356:                            ;   in Loop: Header=BB6_8935 Depth=2
	v_and_b32_e32 v2, 0x7fffffff, v14
	v_cmp_gt_u64_e32 vcc, s[72:73], v[2:3]
	v_and_b32_sdwa v31, v14, s49 dst_sel:DWORD dst_unused:UNUSED_PAD src0_sel:BYTE_3 src1_sel:DWORD
                                        ; implicit-def: $vgpr30
	s_and_saveexec_b64 s[20:21], vcc
	s_xor_b64 s[94:95], exec, s[20:21]
	s_cbranch_execz .LBB6_10370
; %bb.10357:                            ;   in Loop: Header=BB6_8935 Depth=2
	v_cmp_ne_u32_e32 vcc, 0, v14
	v_mov_b32_e32 v30, 0
	s_and_saveexec_b64 s[30:31], vcc
	s_cbranch_execz .LBB6_10369
; %bb.10358:                            ;   in Loop: Header=BB6_8935 Depth=2
	v_bfe_u32 v30, v14, 23, 8
	v_and_b32_e32 v2, 0x7fffff, v14
	v_cmp_gt_u32_e64 s[20:21], s53, v30
	v_sub_u32_e32 v14, 0x79, v30
	v_cmp_eq_u32_e32 vcc, 0, v30
	v_cndmask_b32_e64 v14, 0, v14, s[20:21]
	v_mov_b32_e32 v16, 0x78
	v_cndmask_b32_e32 v32, v14, v16, vcc
	v_or_b32_e32 v15, 0x800000, v2
	v_add_u32_e32 v14, 20, v32
	v_cndmask_b32_e32 v2, v15, v2, vcc
	v_lshlrev_b64 v[14:15], v14, -1
	v_add_u32_e32 v16, 19, v32
	v_lshlrev_b64 v[33:34], v16, 1
	v_bfi_b32 v15, v15, 0, 0
	v_bfi_b32 v14, v14, 0, v2
	v_cmp_eq_u64_e64 s[20:21], v[14:15], v[33:34]
	v_lshrrev_b64 v[14:15], v32, v[2:3]
	v_mov_b32_e32 v16, v15
	v_mov_b32_e32 v15, v14
	s_and_saveexec_b64 s[34:35], s[20:21]
; %bb.10359:                            ;   in Loop: Header=BB6_8935 Depth=2
	v_bfe_u32 v2, v14, 20, 1
	v_add_co_u32_e64 v2, s[20:21], v14, v2
	v_add_co_u32_e64 v15, s[20:21], -1, v2
; %bb.10360:                            ;   in Loop: Header=BB6_8935 Depth=2
	s_or_b64 exec, exec, s[34:35]
	v_add_u32_e32 v2, 0xffffff81, v30
	v_cndmask_b32_e32 v2, v2, v59, vcc
	v_lshrrev_b32_e32 v16, 23, v14
	v_add3_u32 v32, v32, v2, v16
	v_add_u32_e32 v30, 6, v32
	v_and_b32_e32 v2, 0xfffff, v15
	v_add_u32_e32 v2, v2, v14
	v_cmp_ne_u32_e32 vcc, 0, v30
                                        ; implicit-def: $vgpr14_vgpr15
                                        ; implicit-def: $vgpr16
	s_and_saveexec_b64 s[20:21], vcc
	s_xor_b64 s[20:21], exec, s[20:21]
; %bb.10361:                            ;   in Loop: Header=BB6_8935 Depth=2
	v_cmp_lt_u64_e32 vcc, s[74:75], v[2:3]
	v_add_u32_e32 v14, 7, v32
	v_cndmask_b32_e32 v16, v30, v14, vcc
	v_cndmask_b32_e64 v14, 0, 1, vcc
	v_lshrrev_b64 v[14:15], v14, v[2:3]
; %bb.10362:                            ;   in Loop: Header=BB6_8935 Depth=2
	s_andn2_saveexec_b64 s[20:21], s[20:21]
; %bb.10363:                            ;   in Loop: Header=BB6_8935 Depth=2
	v_mov_b32_e32 v15, v3
	v_bfe_u32 v16, v2, 23, 1
	v_mov_b32_e32 v14, v2
; %bb.10364:                            ;   in Loop: Header=BB6_8935 Depth=2
	s_or_b64 exec, exec, s[20:21]
	v_lshrrev_b64 v[14:15], 20, v[14:15]
	v_cmp_gt_i32_e32 vcc, 16, v16
	v_cndmask_b32_e32 v15, 0, v15, vcc
	v_cndmask_b32_e32 v14, 7, v14, vcc
	v_cmp_ne_u64_e32 vcc, 0, v[14:15]
	v_cmp_ne_u32_e64 s[20:21], 0, v16
	s_or_b64 s[20:21], s[20:21], vcc
                                        ; implicit-def: $vgpr30
	s_and_saveexec_b64 vcc, s[20:21]
	s_xor_b64 s[20:21], exec, vcc
; %bb.10365:                            ;   in Loop: Header=BB6_8935 Depth=2
	v_min_i32_e32 v2, 15, v16
	v_lshl_or_b32 v2, v2, 3, v31
	v_and_or_b32 v30, v14, 7, v2
                                        ; implicit-def: $vgpr31
; %bb.10366:                            ;   in Loop: Header=BB6_8935 Depth=2
	s_andn2_saveexec_b64 s[20:21], s[20:21]
; %bb.10367:                            ;   in Loop: Header=BB6_8935 Depth=2
	v_mov_b32_e32 v30, v31
; %bb.10368:                            ;   in Loop: Header=BB6_8935 Depth=2
	s_or_b64 exec, exec, s[20:21]
.LBB6_10369:                            ;   in Loop: Header=BB6_8935 Depth=2
	s_or_b64 exec, exec, s[30:31]
                                        ; implicit-def: $vgpr31
.LBB6_10370:                            ;   in Loop: Header=BB6_8935 Depth=2
	s_andn2_saveexec_b64 s[20:21], s[94:95]
; %bb.10371:                            ;   in Loop: Header=BB6_8935 Depth=2
	v_or_b32_e32 v30, 0x7e, v31
; %bb.10372:                            ;   in Loop: Header=BB6_8935 Depth=2
	s_or_b64 exec, exec, s[20:21]
                                        ; implicit-def: $vgpr14
.LBB6_10373:                            ;   in Loop: Header=BB6_8935 Depth=2
	s_andn2_saveexec_b64 s[20:21], s[92:93]
; %bb.10374:                            ;   in Loop: Header=BB6_8935 Depth=2
	v_or_b32_sdwa v30, v14, s51 dst_sel:DWORD dst_unused:UNUSED_PAD src0_sel:BYTE_3 src1_sel:DWORD
; %bb.10375:                            ;   in Loop: Header=BB6_8935 Depth=2
	s_or_b64 exec, exec, s[20:21]
	v_and_b32_e32 v2, 0xff, v36
	v_cmp_ne_u16_e64 s[20:21], 0, v2
	s_and_b64 vcc, exec, s[18:19]
	s_mov_b64 s[92:93], -1
                                        ; implicit-def: $vgpr14
	s_cbranch_vccnz .LBB6_10389
; %bb.10376:                            ;   in Loop: Header=BB6_8935 Depth=2
	v_mov_b32_e32 v16, 0
	v_mov_b32_e32 v15, 0
	s_and_saveexec_b64 s[92:93], s[20:21]
	s_cbranch_execz .LBB6_10382
; %bb.10377:                            ;   in Loop: Header=BB6_8935 Depth=2
	v_cmp_ne_u16_e32 vcc, s49, v2
	v_bfrev_b32_e32 v15, 1
	s_and_saveexec_b64 s[94:95], vcc
	s_cbranch_execz .LBB6_10381
; %bb.10378:                            ;   in Loop: Header=BB6_8935 Depth=2
	v_and_b32_e32 v14, 0x7f, v36
	v_cmp_ne_u32_e32 vcc, s51, v14
	v_mov_b32_e32 v15, 0x7f800001
	s_and_saveexec_b64 s[30:31], vcc
	s_cbranch_execz .LBB6_10380
; %bb.10379:                            ;   in Loop: Header=BB6_8935 Depth=2
	v_and_b32_e32 v31, 7, v2
	v_lshrrev_b32_e32 v32, 3, v14
	v_cmp_gt_u32_e32 vcc, 8, v14
	v_ffbh_u32_e32 v14, v31
	v_min_u32_e32 v33, 32, v14
	v_subrev_u32_e32 v14, 28, v33
	v_lshlrev_b64 v[14:15], v14, v[2:3]
	v_sub_u32_e32 v15, 29, v33
	v_and_b32_e32 v14, 7, v14
	v_cndmask_b32_e32 v15, v32, v15, vcc
	v_cndmask_b32_e32 v14, v31, v14, vcc
	v_lshlrev_b32_e32 v31, 24, v36
	v_lshlrev_b32_e32 v14, 20, v14
	v_and_b32_e32 v31, 0x80000000, v31
	v_lshl_add_u32 v15, v15, 23, v5
	v_or3_b32 v15, v31, v15, v14
.LBB6_10380:                            ;   in Loop: Header=BB6_8935 Depth=2
	s_or_b64 exec, exec, s[30:31]
.LBB6_10381:                            ;   in Loop: Header=BB6_8935 Depth=2
	s_or_b64 exec, exec, s[94:95]
.LBB6_10382:                            ;   in Loop: Header=BB6_8935 Depth=2
	s_or_b64 exec, exec, s[92:93]
	v_and_b32_e32 v14, 0xff, v35
	v_cmp_ne_u16_e32 vcc, 0, v14
	s_and_saveexec_b64 s[92:93], vcc
	s_cbranch_execz .LBB6_10388
; %bb.10383:                            ;   in Loop: Header=BB6_8935 Depth=2
	v_cmp_ne_u16_e32 vcc, s49, v14
	v_bfrev_b32_e32 v16, 1
	s_and_saveexec_b64 s[94:95], vcc
	s_cbranch_execz .LBB6_10387
; %bb.10384:                            ;   in Loop: Header=BB6_8935 Depth=2
	v_and_b32_e32 v31, 0x7f, v35
	v_cmp_ne_u32_e32 vcc, s51, v31
	v_mov_b32_e32 v16, 0x7f800001
	s_and_saveexec_b64 s[30:31], vcc
	s_cbranch_execz .LBB6_10386
; %bb.10385:                            ;   in Loop: Header=BB6_8935 Depth=2
	v_and_b32_e32 v16, 7, v14
	v_lshrrev_b32_e32 v33, 3, v31
	v_cmp_gt_u32_e32 vcc, 8, v31
	v_ffbh_u32_e32 v31, v16
	v_min_u32_e32 v34, 32, v31
	v_subrev_u32_e32 v31, 28, v34
	v_lshlrev_b64 v[31:32], v31, v[14:15]
	v_sub_u32_e32 v14, 29, v34
	v_and_b32_e32 v31, 7, v31
	v_cndmask_b32_e32 v14, v33, v14, vcc
	v_cndmask_b32_e32 v16, v16, v31, vcc
	v_lshlrev_b32_e32 v31, 24, v35
	v_lshlrev_b32_e32 v16, 20, v16
	v_and_b32_e32 v31, 0x80000000, v31
	v_lshl_add_u32 v14, v14, 23, v5
	v_or3_b32 v16, v31, v14, v16
.LBB6_10386:                            ;   in Loop: Header=BB6_8935 Depth=2
	s_or_b64 exec, exec, s[30:31]
.LBB6_10387:                            ;   in Loop: Header=BB6_8935 Depth=2
	s_or_b64 exec, exec, s[94:95]
.LBB6_10388:                            ;   in Loop: Header=BB6_8935 Depth=2
	s_or_b64 exec, exec, s[92:93]
	v_max_f32_e32 v14, v16, v16
	v_max_f32_e32 v15, v15, v15
	v_max_f32_e32 v14, v15, v14
	s_mov_b64 s[92:93], 0
.LBB6_10389:                            ;   in Loop: Header=BB6_8935 Depth=2
	s_and_b64 vcc, exec, s[92:93]
	s_cbranch_vccz .LBB6_10403
; %bb.10390:                            ;   in Loop: Header=BB6_8935 Depth=2
	v_mov_b32_e32 v15, 0
	v_mov_b32_e32 v14, 0
	s_and_saveexec_b64 s[92:93], s[20:21]
	s_cbranch_execz .LBB6_10396
; %bb.10391:                            ;   in Loop: Header=BB6_8935 Depth=2
	v_cmp_ne_u16_e32 vcc, s49, v2
	v_bfrev_b32_e32 v14, 1
	s_and_saveexec_b64 s[20:21], vcc
	s_cbranch_execz .LBB6_10395
; %bb.10392:                            ;   in Loop: Header=BB6_8935 Depth=2
	v_and_b32_e32 v16, 0x7f, v36
	v_cmp_ne_u32_e32 vcc, s51, v16
	v_mov_b32_e32 v14, 0x7f800001
	s_and_saveexec_b64 s[94:95], vcc
	s_cbranch_execz .LBB6_10394
; %bb.10393:                            ;   in Loop: Header=BB6_8935 Depth=2
	v_and_b32_e32 v14, 7, v2
	v_lshrrev_b32_e32 v33, 3, v16
	v_cmp_gt_u32_e32 vcc, 8, v16
	v_ffbh_u32_e32 v16, v14
	v_min_u32_e32 v16, 32, v16
	v_subrev_u32_e32 v31, 28, v16
	v_lshlrev_b64 v[31:32], v31, v[2:3]
	v_sub_u32_e32 v2, 29, v16
	v_and_b32_e32 v16, 7, v31
	v_cndmask_b32_e32 v2, v33, v2, vcc
	v_cndmask_b32_e32 v14, v14, v16, vcc
	v_lshlrev_b32_e32 v16, 24, v36
	v_lshlrev_b32_e32 v14, 20, v14
	v_and_b32_e32 v16, 0x80000000, v16
	v_lshl_add_u32 v2, v2, 23, v5
	v_or3_b32 v14, v16, v2, v14
.LBB6_10394:                            ;   in Loop: Header=BB6_8935 Depth=2
	s_or_b64 exec, exec, s[94:95]
.LBB6_10395:                            ;   in Loop: Header=BB6_8935 Depth=2
	s_or_b64 exec, exec, s[20:21]
.LBB6_10396:                            ;   in Loop: Header=BB6_8935 Depth=2
	s_or_b64 exec, exec, s[92:93]
	v_and_b32_e32 v2, 0xff, v35
	v_cmp_ne_u16_e32 vcc, 0, v2
	s_and_saveexec_b64 s[20:21], vcc
	s_cbranch_execz .LBB6_10402
; %bb.10397:                            ;   in Loop: Header=BB6_8935 Depth=2
	v_cmp_ne_u16_e32 vcc, s49, v2
	v_bfrev_b32_e32 v15, 1
	s_and_saveexec_b64 s[92:93], vcc
	s_cbranch_execz .LBB6_10401
; %bb.10398:                            ;   in Loop: Header=BB6_8935 Depth=2
	v_and_b32_e32 v16, 0x7f, v35
	v_cmp_ne_u32_e32 vcc, s51, v16
	v_mov_b32_e32 v15, 0x7f800001
	s_and_saveexec_b64 s[94:95], vcc
	s_cbranch_execz .LBB6_10400
; %bb.10399:                            ;   in Loop: Header=BB6_8935 Depth=2
	v_and_b32_e32 v31, 7, v2
	v_ffbh_u32_e32 v15, v31
	v_min_u32_e32 v33, 32, v15
	v_subrev_u32_e32 v15, 28, v33
	v_lshrrev_b32_e32 v32, 3, v16
	v_cmp_gt_u32_e32 vcc, 8, v16
	v_lshlrev_b64 v[15:16], v15, v[2:3]
	v_sub_u32_e32 v2, 29, v33
	v_and_b32_e32 v15, 7, v15
	v_cndmask_b32_e32 v2, v32, v2, vcc
	v_cndmask_b32_e32 v15, v31, v15, vcc
	v_lshlrev_b32_e32 v16, 24, v35
	v_lshlrev_b32_e32 v15, 20, v15
	v_and_b32_e32 v16, 0x80000000, v16
	v_lshl_add_u32 v2, v2, 23, v5
	v_or3_b32 v15, v16, v2, v15
.LBB6_10400:                            ;   in Loop: Header=BB6_8935 Depth=2
	s_or_b64 exec, exec, s[94:95]
.LBB6_10401:                            ;   in Loop: Header=BB6_8935 Depth=2
	s_or_b64 exec, exec, s[92:93]
.LBB6_10402:                            ;   in Loop: Header=BB6_8935 Depth=2
	s_or_b64 exec, exec, s[20:21]
	v_max_f32_e32 v2, v15, v15
	v_max_f32_e32 v14, v14, v14
	v_min_f32_e32 v14, v14, v2
.LBB6_10403:                            ;   in Loop: Header=BB6_8935 Depth=2
	v_and_b32_e32 v2, 0x7f800000, v14
	v_cmp_ne_u64_e32 vcc, s[62:63], v[2:3]
                                        ; implicit-def: $vgpr31
	s_and_saveexec_b64 s[20:21], vcc
	s_xor_b64 s[92:93], exec, s[20:21]
	s_cbranch_execz .LBB6_10421
; %bb.10404:                            ;   in Loop: Header=BB6_8935 Depth=2
	v_and_b32_e32 v2, 0x7fffffff, v14
	v_cmp_gt_u64_e32 vcc, s[72:73], v[2:3]
	v_and_b32_sdwa v32, v14, s49 dst_sel:DWORD dst_unused:UNUSED_PAD src0_sel:BYTE_3 src1_sel:DWORD
                                        ; implicit-def: $vgpr31
	s_and_saveexec_b64 s[20:21], vcc
	s_xor_b64 s[94:95], exec, s[20:21]
	s_cbranch_execz .LBB6_10418
; %bb.10405:                            ;   in Loop: Header=BB6_8935 Depth=2
	v_cmp_ne_u32_e32 vcc, 0, v14
	v_mov_b32_e32 v31, 0
	s_and_saveexec_b64 s[30:31], vcc
	s_cbranch_execz .LBB6_10417
; %bb.10406:                            ;   in Loop: Header=BB6_8935 Depth=2
	v_bfe_u32 v31, v14, 23, 8
	v_and_b32_e32 v2, 0x7fffff, v14
	v_cmp_gt_u32_e64 s[20:21], s53, v31
	v_sub_u32_e32 v14, 0x79, v31
	v_cmp_eq_u32_e32 vcc, 0, v31
	v_cndmask_b32_e64 v14, 0, v14, s[20:21]
	v_mov_b32_e32 v16, 0x78
	v_cndmask_b32_e32 v33, v14, v16, vcc
	v_or_b32_e32 v15, 0x800000, v2
	v_add_u32_e32 v14, 20, v33
	v_cndmask_b32_e32 v2, v15, v2, vcc
	v_lshlrev_b64 v[14:15], v14, -1
	v_add_u32_e32 v16, 19, v33
	v_lshlrev_b64 v[34:35], v16, 1
	v_bfi_b32 v15, v15, 0, 0
	v_bfi_b32 v14, v14, 0, v2
	v_cmp_eq_u64_e64 s[20:21], v[14:15], v[34:35]
	v_lshrrev_b64 v[14:15], v33, v[2:3]
	v_mov_b32_e32 v16, v15
	v_mov_b32_e32 v15, v14
	s_and_saveexec_b64 s[34:35], s[20:21]
; %bb.10407:                            ;   in Loop: Header=BB6_8935 Depth=2
	v_bfe_u32 v2, v14, 20, 1
	v_add_co_u32_e64 v2, s[20:21], v14, v2
	v_add_co_u32_e64 v15, s[20:21], -1, v2
; %bb.10408:                            ;   in Loop: Header=BB6_8935 Depth=2
	s_or_b64 exec, exec, s[34:35]
	v_add_u32_e32 v2, 0xffffff81, v31
	v_cndmask_b32_e32 v2, v2, v59, vcc
	v_lshrrev_b32_e32 v16, 23, v14
	v_add3_u32 v33, v33, v2, v16
	v_add_u32_e32 v31, 6, v33
	v_and_b32_e32 v2, 0xfffff, v15
	v_add_u32_e32 v2, v2, v14
	v_cmp_ne_u32_e32 vcc, 0, v31
                                        ; implicit-def: $vgpr14_vgpr15
                                        ; implicit-def: $vgpr16
	s_and_saveexec_b64 s[20:21], vcc
	s_xor_b64 s[20:21], exec, s[20:21]
; %bb.10409:                            ;   in Loop: Header=BB6_8935 Depth=2
	v_cmp_lt_u64_e32 vcc, s[74:75], v[2:3]
	v_add_u32_e32 v14, 7, v33
	v_cndmask_b32_e32 v16, v31, v14, vcc
	v_cndmask_b32_e64 v14, 0, 1, vcc
	v_lshrrev_b64 v[14:15], v14, v[2:3]
; %bb.10410:                            ;   in Loop: Header=BB6_8935 Depth=2
	s_andn2_saveexec_b64 s[20:21], s[20:21]
; %bb.10411:                            ;   in Loop: Header=BB6_8935 Depth=2
	v_mov_b32_e32 v15, v3
	v_bfe_u32 v16, v2, 23, 1
	v_mov_b32_e32 v14, v2
; %bb.10412:                            ;   in Loop: Header=BB6_8935 Depth=2
	s_or_b64 exec, exec, s[20:21]
	v_lshrrev_b64 v[14:15], 20, v[14:15]
	v_cmp_gt_i32_e32 vcc, 16, v16
	v_cndmask_b32_e32 v15, 0, v15, vcc
	v_cndmask_b32_e32 v14, 7, v14, vcc
	v_cmp_ne_u64_e32 vcc, 0, v[14:15]
	v_cmp_ne_u32_e64 s[20:21], 0, v16
	s_or_b64 s[20:21], s[20:21], vcc
                                        ; implicit-def: $vgpr31
	s_and_saveexec_b64 vcc, s[20:21]
	s_xor_b64 s[20:21], exec, vcc
; %bb.10413:                            ;   in Loop: Header=BB6_8935 Depth=2
	v_min_i32_e32 v2, 15, v16
	v_lshl_or_b32 v2, v2, 3, v32
	v_and_or_b32 v31, v14, 7, v2
                                        ; implicit-def: $vgpr32
; %bb.10414:                            ;   in Loop: Header=BB6_8935 Depth=2
	s_andn2_saveexec_b64 s[20:21], s[20:21]
; %bb.10415:                            ;   in Loop: Header=BB6_8935 Depth=2
	v_mov_b32_e32 v31, v32
; %bb.10416:                            ;   in Loop: Header=BB6_8935 Depth=2
	s_or_b64 exec, exec, s[20:21]
.LBB6_10417:                            ;   in Loop: Header=BB6_8935 Depth=2
	s_or_b64 exec, exec, s[30:31]
                                        ; implicit-def: $vgpr32
.LBB6_10418:                            ;   in Loop: Header=BB6_8935 Depth=2
	s_andn2_saveexec_b64 s[20:21], s[94:95]
; %bb.10419:                            ;   in Loop: Header=BB6_8935 Depth=2
	v_or_b32_e32 v31, 0x7e, v32
; %bb.10420:                            ;   in Loop: Header=BB6_8935 Depth=2
	s_or_b64 exec, exec, s[20:21]
                                        ; implicit-def: $vgpr14
.LBB6_10421:                            ;   in Loop: Header=BB6_8935 Depth=2
	s_andn2_saveexec_b64 s[20:21], s[92:93]
; %bb.10422:                            ;   in Loop: Header=BB6_8935 Depth=2
	v_or_b32_sdwa v31, v14, s51 dst_sel:DWORD dst_unused:UNUSED_PAD src0_sel:BYTE_3 src1_sel:DWORD
; %bb.10423:                            ;   in Loop: Header=BB6_8935 Depth=2
	s_or_b64 exec, exec, s[20:21]
	v_and_b32_e32 v2, 0xff, v43
	v_cmp_ne_u16_e64 s[20:21], 0, v2
	s_and_b64 vcc, exec, s[18:19]
	s_mov_b64 s[18:19], -1
                                        ; implicit-def: $vgpr14
	s_cbranch_vccnz .LBB6_10437
; %bb.10424:                            ;   in Loop: Header=BB6_8935 Depth=2
	v_mov_b32_e32 v16, 0
	v_mov_b32_e32 v15, 0
	s_and_saveexec_b64 s[18:19], s[20:21]
	s_cbranch_execz .LBB6_10430
; %bb.10425:                            ;   in Loop: Header=BB6_8935 Depth=2
	v_cmp_ne_u16_e32 vcc, s49, v2
	v_bfrev_b32_e32 v15, 1
	s_and_saveexec_b64 s[92:93], vcc
	s_cbranch_execz .LBB6_10429
; %bb.10426:                            ;   in Loop: Header=BB6_8935 Depth=2
	v_and_b32_e32 v14, 0x7f, v43
	v_cmp_ne_u32_e32 vcc, s51, v14
	v_mov_b32_e32 v15, 0x7f800001
	s_and_saveexec_b64 s[94:95], vcc
	s_cbranch_execz .LBB6_10428
; %bb.10427:                            ;   in Loop: Header=BB6_8935 Depth=2
	v_and_b32_e32 v32, 7, v2
	v_lshrrev_b32_e32 v33, 3, v14
	v_cmp_gt_u32_e32 vcc, 8, v14
	v_ffbh_u32_e32 v14, v32
	v_min_u32_e32 v34, 32, v14
	v_subrev_u32_e32 v14, 28, v34
	v_lshlrev_b64 v[14:15], v14, v[2:3]
	v_sub_u32_e32 v15, 29, v34
	v_and_b32_e32 v14, 7, v14
	v_cndmask_b32_e32 v15, v33, v15, vcc
	v_cndmask_b32_e32 v14, v32, v14, vcc
	v_lshlrev_b32_e32 v32, 24, v43
	v_lshlrev_b32_e32 v14, 20, v14
	v_and_b32_e32 v32, 0x80000000, v32
	v_lshl_add_u32 v15, v15, 23, v5
	v_or3_b32 v15, v32, v15, v14
.LBB6_10428:                            ;   in Loop: Header=BB6_8935 Depth=2
	s_or_b64 exec, exec, s[94:95]
.LBB6_10429:                            ;   in Loop: Header=BB6_8935 Depth=2
	s_or_b64 exec, exec, s[92:93]
.LBB6_10430:                            ;   in Loop: Header=BB6_8935 Depth=2
	s_or_b64 exec, exec, s[18:19]
	v_and_b32_e32 v14, 0xff, v44
	v_cmp_ne_u16_e32 vcc, 0, v14
	s_and_saveexec_b64 s[18:19], vcc
	s_cbranch_execz .LBB6_10436
; %bb.10431:                            ;   in Loop: Header=BB6_8935 Depth=2
	v_cmp_ne_u16_e32 vcc, s49, v14
	v_bfrev_b32_e32 v16, 1
	s_and_saveexec_b64 s[92:93], vcc
	s_cbranch_execz .LBB6_10435
; %bb.10432:                            ;   in Loop: Header=BB6_8935 Depth=2
	v_and_b32_e32 v32, 0x7f, v44
	v_cmp_ne_u32_e32 vcc, s51, v32
	v_mov_b32_e32 v16, 0x7f800001
	s_and_saveexec_b64 s[94:95], vcc
	s_cbranch_execz .LBB6_10434
; %bb.10433:                            ;   in Loop: Header=BB6_8935 Depth=2
	v_and_b32_e32 v16, 7, v14
	v_lshrrev_b32_e32 v34, 3, v32
	v_cmp_gt_u32_e32 vcc, 8, v32
	v_ffbh_u32_e32 v32, v16
	v_min_u32_e32 v35, 32, v32
	v_subrev_u32_e32 v32, 28, v35
	v_lshlrev_b64 v[32:33], v32, v[14:15]
	v_sub_u32_e32 v14, 29, v35
	v_and_b32_e32 v32, 7, v32
	v_cndmask_b32_e32 v14, v34, v14, vcc
	v_cndmask_b32_e32 v16, v16, v32, vcc
	v_lshlrev_b32_e32 v32, 24, v44
	v_lshlrev_b32_e32 v16, 20, v16
	v_and_b32_e32 v32, 0x80000000, v32
	v_lshl_add_u32 v14, v14, 23, v5
	v_or3_b32 v16, v32, v14, v16
.LBB6_10434:                            ;   in Loop: Header=BB6_8935 Depth=2
	s_or_b64 exec, exec, s[94:95]
.LBB6_10435:                            ;   in Loop: Header=BB6_8935 Depth=2
	s_or_b64 exec, exec, s[92:93]
.LBB6_10436:                            ;   in Loop: Header=BB6_8935 Depth=2
	s_or_b64 exec, exec, s[18:19]
	v_max_f32_e32 v14, v16, v16
	v_max_f32_e32 v15, v15, v15
	;; [unrolled: 1-line block ×3, first 2 shown]
	s_mov_b64 s[18:19], 0
.LBB6_10437:                            ;   in Loop: Header=BB6_8935 Depth=2
	s_and_b64 vcc, exec, s[18:19]
	s_cbranch_vccz .LBB6_10451
; %bb.10438:                            ;   in Loop: Header=BB6_8935 Depth=2
	v_mov_b32_e32 v15, 0
	v_mov_b32_e32 v14, 0
	s_and_saveexec_b64 s[18:19], s[20:21]
	s_cbranch_execz .LBB6_10444
; %bb.10439:                            ;   in Loop: Header=BB6_8935 Depth=2
	v_cmp_ne_u16_e32 vcc, s49, v2
	v_bfrev_b32_e32 v14, 1
	s_and_saveexec_b64 s[20:21], vcc
	s_cbranch_execz .LBB6_10443
; %bb.10440:                            ;   in Loop: Header=BB6_8935 Depth=2
	v_and_b32_e32 v16, 0x7f, v43
	v_cmp_ne_u32_e32 vcc, s51, v16
	v_mov_b32_e32 v14, 0x7f800001
	s_and_saveexec_b64 s[92:93], vcc
	s_cbranch_execz .LBB6_10442
; %bb.10441:                            ;   in Loop: Header=BB6_8935 Depth=2
	v_and_b32_e32 v14, 7, v2
	v_lshrrev_b32_e32 v34, 3, v16
	v_cmp_gt_u32_e32 vcc, 8, v16
	v_ffbh_u32_e32 v16, v14
	v_min_u32_e32 v16, 32, v16
	v_subrev_u32_e32 v32, 28, v16
	v_lshlrev_b64 v[32:33], v32, v[2:3]
	v_sub_u32_e32 v2, 29, v16
	v_and_b32_e32 v16, 7, v32
	v_cndmask_b32_e32 v2, v34, v2, vcc
	v_cndmask_b32_e32 v14, v14, v16, vcc
	v_lshlrev_b32_e32 v16, 24, v43
	v_lshlrev_b32_e32 v14, 20, v14
	v_and_b32_e32 v16, 0x80000000, v16
	v_lshl_add_u32 v2, v2, 23, v5
	v_or3_b32 v14, v16, v2, v14
.LBB6_10442:                            ;   in Loop: Header=BB6_8935 Depth=2
	s_or_b64 exec, exec, s[92:93]
.LBB6_10443:                            ;   in Loop: Header=BB6_8935 Depth=2
	s_or_b64 exec, exec, s[20:21]
.LBB6_10444:                            ;   in Loop: Header=BB6_8935 Depth=2
	s_or_b64 exec, exec, s[18:19]
	v_and_b32_e32 v2, 0xff, v44
	v_cmp_ne_u16_e32 vcc, 0, v2
	s_and_saveexec_b64 s[18:19], vcc
	s_cbranch_execz .LBB6_10450
; %bb.10445:                            ;   in Loop: Header=BB6_8935 Depth=2
	v_cmp_ne_u16_e32 vcc, s49, v2
	v_bfrev_b32_e32 v15, 1
	s_and_saveexec_b64 s[20:21], vcc
	s_cbranch_execz .LBB6_10449
; %bb.10446:                            ;   in Loop: Header=BB6_8935 Depth=2
	v_and_b32_e32 v16, 0x7f, v44
	v_cmp_ne_u32_e32 vcc, s51, v16
	v_mov_b32_e32 v15, 0x7f800001
	s_and_saveexec_b64 s[92:93], vcc
	s_cbranch_execz .LBB6_10448
; %bb.10447:                            ;   in Loop: Header=BB6_8935 Depth=2
	v_and_b32_e32 v32, 7, v2
	v_ffbh_u32_e32 v15, v32
	v_min_u32_e32 v34, 32, v15
	v_subrev_u32_e32 v15, 28, v34
	v_lshrrev_b32_e32 v33, 3, v16
	v_cmp_gt_u32_e32 vcc, 8, v16
	v_lshlrev_b64 v[15:16], v15, v[2:3]
	v_sub_u32_e32 v2, 29, v34
	v_and_b32_e32 v15, 7, v15
	v_cndmask_b32_e32 v2, v33, v2, vcc
	v_cndmask_b32_e32 v15, v32, v15, vcc
	v_lshlrev_b32_e32 v16, 24, v44
	v_lshlrev_b32_e32 v15, 20, v15
	v_and_b32_e32 v16, 0x80000000, v16
	v_lshl_add_u32 v2, v2, 23, v5
	v_or3_b32 v15, v16, v2, v15
.LBB6_10448:                            ;   in Loop: Header=BB6_8935 Depth=2
	s_or_b64 exec, exec, s[92:93]
.LBB6_10449:                            ;   in Loop: Header=BB6_8935 Depth=2
	s_or_b64 exec, exec, s[20:21]
.LBB6_10450:                            ;   in Loop: Header=BB6_8935 Depth=2
	s_or_b64 exec, exec, s[18:19]
	v_max_f32_e32 v2, v15, v15
	v_max_f32_e32 v14, v14, v14
	v_min_f32_e32 v14, v14, v2
.LBB6_10451:                            ;   in Loop: Header=BB6_8935 Depth=2
	v_and_b32_e32 v2, 0x7f800000, v14
	v_cmp_ne_u64_e32 vcc, s[62:63], v[2:3]
                                        ; implicit-def: $vgpr2
	s_and_saveexec_b64 s[18:19], vcc
	s_xor_b64 s[20:21], exec, s[18:19]
	s_cbranch_execz .LBB6_10469
; %bb.10452:                            ;   in Loop: Header=BB6_8935 Depth=2
	v_and_b32_e32 v2, 0x7fffffff, v14
	v_cmp_gt_u64_e32 vcc, s[72:73], v[2:3]
	v_and_b32_sdwa v32, v14, s49 dst_sel:DWORD dst_unused:UNUSED_PAD src0_sel:BYTE_3 src1_sel:DWORD
                                        ; implicit-def: $vgpr2
	s_and_saveexec_b64 s[18:19], vcc
	s_xor_b64 s[92:93], exec, s[18:19]
	s_cbranch_execz .LBB6_10466
; %bb.10453:                            ;   in Loop: Header=BB6_8935 Depth=2
	v_cmp_ne_u32_e32 vcc, 0, v14
	v_mov_b32_e32 v2, 0
	s_and_saveexec_b64 s[94:95], vcc
	s_cbranch_execz .LBB6_10465
; %bb.10454:                            ;   in Loop: Header=BB6_8935 Depth=2
	v_bfe_u32 v33, v14, 23, 8
	v_and_b32_e32 v2, 0x7fffff, v14
	v_cmp_gt_u32_e64 s[18:19], s53, v33
	v_sub_u32_e32 v14, 0x79, v33
	v_cmp_eq_u32_e32 vcc, 0, v33
	v_cndmask_b32_e64 v14, 0, v14, s[18:19]
	v_mov_b32_e32 v16, 0x78
	v_cndmask_b32_e32 v34, v14, v16, vcc
	v_or_b32_e32 v15, 0x800000, v2
	v_add_u32_e32 v14, 20, v34
	v_cndmask_b32_e32 v2, v15, v2, vcc
	v_lshlrev_b64 v[14:15], v14, -1
	v_add_u32_e32 v16, 19, v34
	v_lshlrev_b64 v[35:36], v16, 1
	v_bfi_b32 v15, v15, 0, 0
	v_bfi_b32 v14, v14, 0, v2
	v_cmp_eq_u64_e64 s[18:19], v[14:15], v[35:36]
	v_lshrrev_b64 v[14:15], v34, v[2:3]
	v_mov_b32_e32 v16, v15
	v_mov_b32_e32 v15, v14
	s_and_saveexec_b64 s[30:31], s[18:19]
; %bb.10455:                            ;   in Loop: Header=BB6_8935 Depth=2
	v_bfe_u32 v2, v14, 20, 1
	v_add_co_u32_e64 v2, s[18:19], v14, v2
	v_add_co_u32_e64 v15, s[18:19], -1, v2
; %bb.10456:                            ;   in Loop: Header=BB6_8935 Depth=2
	s_or_b64 exec, exec, s[30:31]
	v_add_u32_e32 v2, 0xffffff81, v33
	v_cndmask_b32_e32 v2, v2, v59, vcc
	v_lshrrev_b32_e32 v16, 23, v14
	v_add3_u32 v34, v34, v2, v16
	v_add_u32_e32 v33, 6, v34
	v_and_b32_e32 v2, 0xfffff, v15
	v_add_u32_e32 v2, v2, v14
	v_cmp_ne_u32_e32 vcc, 0, v33
                                        ; implicit-def: $vgpr14_vgpr15
                                        ; implicit-def: $vgpr16
	s_and_saveexec_b64 s[18:19], vcc
	s_xor_b64 s[18:19], exec, s[18:19]
; %bb.10457:                            ;   in Loop: Header=BB6_8935 Depth=2
	v_cmp_lt_u64_e32 vcc, s[74:75], v[2:3]
	v_add_u32_e32 v14, 7, v34
	v_cndmask_b32_e32 v16, v33, v14, vcc
	v_cndmask_b32_e64 v14, 0, 1, vcc
	v_lshrrev_b64 v[14:15], v14, v[2:3]
; %bb.10458:                            ;   in Loop: Header=BB6_8935 Depth=2
	s_andn2_saveexec_b64 s[18:19], s[18:19]
; %bb.10459:                            ;   in Loop: Header=BB6_8935 Depth=2
	v_mov_b32_e32 v15, v3
	v_bfe_u32 v16, v2, 23, 1
	v_mov_b32_e32 v14, v2
; %bb.10460:                            ;   in Loop: Header=BB6_8935 Depth=2
	s_or_b64 exec, exec, s[18:19]
	v_lshrrev_b64 v[14:15], 20, v[14:15]
	v_cmp_gt_i32_e32 vcc, 16, v16
	v_cndmask_b32_e32 v15, 0, v15, vcc
	v_cndmask_b32_e32 v14, 7, v14, vcc
	v_cmp_ne_u64_e32 vcc, 0, v[14:15]
	v_cmp_ne_u32_e64 s[18:19], 0, v16
	s_or_b64 s[18:19], s[18:19], vcc
                                        ; implicit-def: $vgpr2
	s_and_saveexec_b64 vcc, s[18:19]
	s_xor_b64 s[18:19], exec, vcc
; %bb.10461:                            ;   in Loop: Header=BB6_8935 Depth=2
	v_min_i32_e32 v2, 15, v16
	v_lshl_or_b32 v2, v2, 3, v32
	v_and_or_b32 v2, v14, 7, v2
                                        ; implicit-def: $vgpr32
; %bb.10462:                            ;   in Loop: Header=BB6_8935 Depth=2
	s_andn2_saveexec_b64 s[18:19], s[18:19]
; %bb.10463:                            ;   in Loop: Header=BB6_8935 Depth=2
	v_mov_b32_e32 v2, v32
; %bb.10464:                            ;   in Loop: Header=BB6_8935 Depth=2
	s_or_b64 exec, exec, s[18:19]
.LBB6_10465:                            ;   in Loop: Header=BB6_8935 Depth=2
	s_or_b64 exec, exec, s[94:95]
                                        ; implicit-def: $vgpr32
.LBB6_10466:                            ;   in Loop: Header=BB6_8935 Depth=2
	s_andn2_saveexec_b64 s[18:19], s[92:93]
; %bb.10467:                            ;   in Loop: Header=BB6_8935 Depth=2
	v_or_b32_e32 v2, 0x7e, v32
; %bb.10468:                            ;   in Loop: Header=BB6_8935 Depth=2
	s_or_b64 exec, exec, s[18:19]
                                        ; implicit-def: $vgpr14
.LBB6_10469:                            ;   in Loop: Header=BB6_8935 Depth=2
	s_andn2_saveexec_b64 s[18:19], s[20:21]
	s_cbranch_execz .LBB6_8934
; %bb.10470:                            ;   in Loop: Header=BB6_8935 Depth=2
	v_or_b32_sdwa v2, v14, s51 dst_sel:DWORD dst_unused:UNUSED_PAD src0_sel:BYTE_3 src1_sel:DWORD
	s_branch .LBB6_8934
.LBB6_10471:                            ;   in Loop: Header=BB6_5329 Depth=1
	s_or_b64 exec, exec, s[90:91]
	buffer_load_dword v61, off, s[0:3], s33 offset:292 ; 4-byte Folded Reload
	buffer_load_dword v23, off, s[0:3], s33 offset:296 ; 4-byte Folded Reload
	;; [unrolled: 1-line block ×10, first 2 shown]
	v_mov_b32_e32 v54, 0x7f800001
.LBB6_10472:                            ;   in Loop: Header=BB6_5329 Depth=1
	s_or_b64 exec, exec, s[22:23]
	s_waitcnt vmcnt(0)
	v_and_b32_e32 v0, 0xfffff800, v6
	v_cmp_ne_u32_e32 vcc, v6, v0
	s_and_b64 exec, exec, vcc
	s_cbranch_execz .LBB6_10524
; %bb.10473:                            ;   in Loop: Header=BB6_5329 Depth=1
	v_lshlrev_b32_e32 v1, 6, v4
	v_sub_u32_e32 v1, v2, v1
	v_lshlrev_b32_e32 v2, 6, v21
	v_sub_u32_e32 v1, v1, v2
	v_and_b32_e32 v2, 0x7ff, v6
	v_sub_u32_e32 v4, v2, v1
	v_cmp_lt_i32_e32 vcc, 0, v4
	s_and_b64 exec, exec, vcc
	s_cbranch_execz .LBB6_10524
; %bb.10474:                            ;   in Loop: Header=BB6_5329 Depth=1
	s_trap 2
	ds_read_b128 v[6:9], v0
	ds_read_b64 v[12:13], v0
	v_add3_u32 v2, v0, v10, v1
	v_ashrrev_i32_e32 v14, 31, v2
	s_bitcmp1_b32 s64, 0
	s_waitcnt lgkmcnt(0)
	v_add_co_u32_e32 v0, vcc, v6, v2
	v_addc_co_u32_e32 v1, vcc, v7, v14, vcc
	v_add_co_u32_e32 v10, vcc, v8, v2
	v_addc_co_u32_e32 v11, vcc, v9, v14, vcc
	;; [unrolled: 2-line block ×3, first 2 shown]
	s_mov_b64 s[26:27], 0
	s_cselect_b64 s[90:91], -1, 0
	s_branch .LBB6_10476
.LBB6_10475:                            ;   in Loop: Header=BB6_10476 Depth=2
	s_or_b64 exec, exec, s[18:19]
	v_add_co_u32_e32 v0, vcc, v0, v23
	v_addc_co_u32_e32 v1, vcc, 0, v1, vcc
	v_add_co_u32_e32 v10, vcc, v10, v23
	v_addc_co_u32_e32 v11, vcc, 0, v11, vcc
	v_sub_u32_e32 v4, v4, v23
	v_cmp_gt_i32_e32 vcc, 1, v4
	flat_store_byte v[12:13], v2 glc slc
	s_or_b64 s[26:27], vcc, s[26:27]
	v_add_co_u32_e32 v12, vcc, v12, v23
	v_addc_co_u32_e32 v13, vcc, 0, v13, vcc
	s_andn2_b64 exec, exec, s[26:27]
	s_cbranch_execz .LBB6_10524
.LBB6_10476:                            ;   Parent Loop BB6_5329 Depth=1
                                        ; =>  This Inner Loop Header: Depth=2
	flat_load_ubyte v7, v[10:11] glc slc
	flat_load_ubyte v8, v[0:1] glc slc
	s_mov_b64 s[92:93], -1
	s_and_b64 vcc, exec, s[90:91]
                                        ; implicit-def: $vgpr9
	s_waitcnt vmcnt(0) lgkmcnt(0)
	v_cmp_ne_u16_e64 s[20:21], 0, v7
	v_cmp_ne_u16_e64 s[18:19], s49, v7
	v_and_b32_sdwa v6, sext(v7), s52 dst_sel:DWORD dst_unused:UNUSED_PAD src0_sel:BYTE_0 src1_sel:DWORD
	v_cmp_ne_u16_e64 s[22:23], 0, v8
	s_cbranch_vccz .LBB6_10490
; %bb.10477:                            ;   in Loop: Header=BB6_10476 Depth=2
	v_mov_b32_e32 v9, 0
	v_mov_b32_e32 v14, 0
	s_and_saveexec_b64 s[92:93], s[22:23]
	s_cbranch_execz .LBB6_10483
; %bb.10478:                            ;   in Loop: Header=BB6_10476 Depth=2
	v_cmp_ne_u16_e32 vcc, s49, v8
	v_bfrev_b32_e32 v14, 1
	s_and_saveexec_b64 s[94:95], vcc
	s_cbranch_execz .LBB6_10482
; %bb.10479:                            ;   in Loop: Header=BB6_10476 Depth=2
	v_and_b32_e32 v2, 0xffff, v8
	v_and_b32_e32 v15, 0x7f, v2
	v_cmp_ne_u32_e32 vcc, s51, v15
	v_mov_b32_e32 v14, 0x7f800001
	s_and_saveexec_b64 s[30:31], vcc
	s_cbranch_execz .LBB6_10481
; %bb.10480:                            ;   in Loop: Header=BB6_10476 Depth=2
	v_and_b32_e32 v16, 7, v2
	v_ffbh_u32_e32 v14, v16
	v_min_u32_e32 v18, 32, v14
	v_subrev_u32_e32 v14, 28, v18
	v_lshrrev_b32_e32 v17, 3, v15
	v_cmp_gt_u32_e32 vcc, 8, v15
	v_lshlrev_b64 v[14:15], v14, v[2:3]
	v_sub_u32_e32 v2, 29, v18
	v_and_b32_e32 v14, 7, v14
	v_cndmask_b32_e32 v2, v17, v2, vcc
	v_cndmask_b32_e32 v14, v16, v14, vcc
	v_lshlrev_b32_e32 v15, 24, v8
	v_lshlrev_b32_e32 v14, 20, v14
	v_and_b32_e32 v15, 0x80000000, v15
	v_lshl_add_u32 v2, v2, 23, v5
	v_or3_b32 v14, v15, v2, v14
.LBB6_10481:                            ;   in Loop: Header=BB6_10476 Depth=2
	s_or_b64 exec, exec, s[30:31]
.LBB6_10482:                            ;   in Loop: Header=BB6_10476 Depth=2
	s_or_b64 exec, exec, s[94:95]
.LBB6_10483:                            ;   in Loop: Header=BB6_10476 Depth=2
	s_or_b64 exec, exec, s[92:93]
	s_and_saveexec_b64 s[92:93], s[20:21]
	s_cbranch_execz .LBB6_10489
; %bb.10484:                            ;   in Loop: Header=BB6_10476 Depth=2
	v_bfrev_b32_e32 v9, 1
	s_and_saveexec_b64 s[94:95], s[18:19]
	s_cbranch_execz .LBB6_10488
; %bb.10485:                            ;   in Loop: Header=BB6_10476 Depth=2
	v_and_b32_e32 v2, 0xffff, v7
	v_and_b32_e32 v15, 0x7f, v2
	v_cmp_ne_u32_e32 vcc, s51, v15
	v_mov_b32_e32 v9, 0x7f800001
	s_and_saveexec_b64 s[30:31], vcc
	s_cbranch_execz .LBB6_10487
; %bb.10486:                            ;   in Loop: Header=BB6_10476 Depth=2
	v_and_b32_e32 v9, 7, v2
	v_lshrrev_b32_e32 v17, 3, v15
	v_cmp_gt_u32_e32 vcc, 8, v15
	v_ffbh_u32_e32 v15, v9
	v_min_u32_e32 v18, 32, v15
	v_subrev_u32_e32 v15, 28, v18
	v_lshlrev_b64 v[15:16], v15, v[2:3]
	v_sub_u32_e32 v2, 29, v18
	v_and_b32_e32 v15, 7, v15
	v_cndmask_b32_e32 v9, v9, v15, vcc
	v_cndmask_b32_e32 v2, v17, v2, vcc
	v_lshlrev_b32_e32 v9, 20, v9
	v_lshl_or_b32 v2, v2, 23, v9
	v_add_u32_e32 v2, 0x3c000000, v2
	v_or_b32_e32 v9, v2, v6
.LBB6_10487:                            ;   in Loop: Header=BB6_10476 Depth=2
	s_or_b64 exec, exec, s[30:31]
.LBB6_10488:                            ;   in Loop: Header=BB6_10476 Depth=2
	s_or_b64 exec, exec, s[94:95]
.LBB6_10489:                            ;   in Loop: Header=BB6_10476 Depth=2
	s_or_b64 exec, exec, s[92:93]
	v_max_f32_e32 v2, v9, v9
	v_max_f32_e32 v9, v14, v14
	v_max_f32_e32 v9, v9, v2
	s_mov_b64 s[92:93], 0
.LBB6_10490:                            ;   in Loop: Header=BB6_10476 Depth=2
	s_and_b64 vcc, exec, s[92:93]
	s_cbranch_vccz .LBB6_10504
; %bb.10491:                            ;   in Loop: Header=BB6_10476 Depth=2
	v_mov_b32_e32 v9, 0
	v_mov_b32_e32 v14, 0
	s_and_saveexec_b64 s[92:93], s[22:23]
	s_cbranch_execz .LBB6_10497
; %bb.10492:                            ;   in Loop: Header=BB6_10476 Depth=2
	v_cmp_ne_u16_e32 vcc, s49, v8
	v_bfrev_b32_e32 v14, 1
	s_and_saveexec_b64 s[22:23], vcc
	s_cbranch_execz .LBB6_10496
; %bb.10493:                            ;   in Loop: Header=BB6_10476 Depth=2
	v_and_b32_e32 v2, 0xffff, v8
	v_and_b32_e32 v15, 0x7f, v2
	v_cmp_ne_u32_e32 vcc, s51, v15
	v_mov_b32_e32 v14, 0x7f800001
	s_and_saveexec_b64 s[94:95], vcc
	s_cbranch_execz .LBB6_10495
; %bb.10494:                            ;   in Loop: Header=BB6_10476 Depth=2
	v_and_b32_e32 v16, 7, v2
	v_ffbh_u32_e32 v14, v16
	v_min_u32_e32 v18, 32, v14
	v_subrev_u32_e32 v14, 28, v18
	v_lshrrev_b32_e32 v17, 3, v15
	v_cmp_gt_u32_e32 vcc, 8, v15
	v_lshlrev_b64 v[14:15], v14, v[2:3]
	v_sub_u32_e32 v2, 29, v18
	v_and_b32_e32 v14, 7, v14
	v_cndmask_b32_e32 v2, v17, v2, vcc
	v_cndmask_b32_e32 v14, v16, v14, vcc
	v_lshlrev_b32_e32 v8, 24, v8
	v_lshlrev_b32_e32 v14, 20, v14
	v_and_b32_e32 v8, 0x80000000, v8
	v_lshl_add_u32 v2, v2, 23, v5
	v_or3_b32 v14, v8, v2, v14
.LBB6_10495:                            ;   in Loop: Header=BB6_10476 Depth=2
	s_or_b64 exec, exec, s[94:95]
.LBB6_10496:                            ;   in Loop: Header=BB6_10476 Depth=2
	s_or_b64 exec, exec, s[22:23]
.LBB6_10497:                            ;   in Loop: Header=BB6_10476 Depth=2
	s_or_b64 exec, exec, s[92:93]
	s_and_saveexec_b64 s[22:23], s[20:21]
	s_cbranch_execz .LBB6_10503
; %bb.10498:                            ;   in Loop: Header=BB6_10476 Depth=2
	v_bfrev_b32_e32 v9, 1
	s_and_saveexec_b64 s[20:21], s[18:19]
	s_cbranch_execz .LBB6_10502
; %bb.10499:                            ;   in Loop: Header=BB6_10476 Depth=2
	v_and_b32_e32 v2, 0xffff, v7
	v_and_b32_e32 v7, 0x7f, v2
	v_cmp_ne_u32_e32 vcc, s51, v7
	v_mov_b32_e32 v9, 0x7f800001
	s_and_saveexec_b64 s[18:19], vcc
	s_cbranch_execz .LBB6_10501
; %bb.10500:                            ;   in Loop: Header=BB6_10476 Depth=2
	v_and_b32_e32 v9, 7, v2
	v_lshrrev_b32_e32 v15, 3, v7
	v_cmp_gt_u32_e32 vcc, 8, v7
	v_ffbh_u32_e32 v7, v9
	v_min_u32_e32 v16, 32, v7
	v_subrev_u32_e32 v7, 28, v16
	v_lshlrev_b64 v[7:8], v7, v[2:3]
	v_sub_u32_e32 v2, 29, v16
	v_and_b32_e32 v7, 7, v7
	v_cndmask_b32_e32 v7, v9, v7, vcc
	v_cndmask_b32_e32 v2, v15, v2, vcc
	v_lshlrev_b32_e32 v7, 20, v7
	v_lshl_or_b32 v2, v2, 23, v7
	v_add_u32_e32 v2, 0x3c000000, v2
	v_or_b32_e32 v9, v2, v6
.LBB6_10501:                            ;   in Loop: Header=BB6_10476 Depth=2
	s_or_b64 exec, exec, s[18:19]
.LBB6_10502:                            ;   in Loop: Header=BB6_10476 Depth=2
	s_or_b64 exec, exec, s[20:21]
.LBB6_10503:                            ;   in Loop: Header=BB6_10476 Depth=2
	s_or_b64 exec, exec, s[22:23]
	v_max_f32_e32 v2, v9, v9
	v_max_f32_e32 v6, v14, v14
	v_min_f32_e32 v9, v6, v2
.LBB6_10504:                            ;   in Loop: Header=BB6_10476 Depth=2
	v_and_b32_e32 v2, 0x7f800000, v9
	v_cmp_ne_u64_e32 vcc, s[62:63], v[2:3]
                                        ; implicit-def: $vgpr2
	s_and_saveexec_b64 s[18:19], vcc
	s_xor_b64 s[20:21], exec, s[18:19]
	s_cbranch_execz .LBB6_10522
; %bb.10505:                            ;   in Loop: Header=BB6_10476 Depth=2
	v_and_b32_e32 v2, 0x7fffffff, v9
	v_cmp_gt_u64_e32 vcc, s[72:73], v[2:3]
	v_and_b32_sdwa v6, v9, s49 dst_sel:DWORD dst_unused:UNUSED_PAD src0_sel:BYTE_3 src1_sel:DWORD
                                        ; implicit-def: $vgpr2
	s_and_saveexec_b64 s[18:19], vcc
	s_xor_b64 s[22:23], exec, s[18:19]
	s_cbranch_execz .LBB6_10519
; %bb.10506:                            ;   in Loop: Header=BB6_10476 Depth=2
	v_cmp_ne_u32_e32 vcc, 0, v9
	v_mov_b32_e32 v2, 0
	s_and_saveexec_b64 s[92:93], vcc
	s_cbranch_execz .LBB6_10518
; %bb.10507:                            ;   in Loop: Header=BB6_10476 Depth=2
	v_bfe_u32 v7, v9, 23, 8
	v_cmp_gt_u32_e64 s[18:19], s53, v7
	v_sub_u32_e32 v8, 0x79, v7
	v_and_b32_e32 v2, 0x7fffff, v9
	v_cmp_eq_u32_e32 vcc, 0, v7
	v_cndmask_b32_e64 v8, 0, v8, s[18:19]
	v_mov_b32_e32 v14, 0x78
	v_or_b32_e32 v9, 0x800000, v2
	v_cndmask_b32_e32 v8, v8, v14, vcc
	v_cndmask_b32_e32 v2, v9, v2, vcc
	v_add_u32_e32 v9, 20, v8
	v_lshlrev_b64 v[14:15], v9, -1
	v_add_u32_e32 v9, 19, v8
	v_lshlrev_b64 v[16:17], v9, 1
	v_bfi_b32 v15, v15, 0, 0
	v_bfi_b32 v14, v14, 0, v2
	v_cmp_eq_u64_e64 s[18:19], v[14:15], v[16:17]
	v_lshrrev_b64 v[14:15], v8, v[2:3]
	v_mov_b32_e32 v16, v15
	v_mov_b32_e32 v15, v14
	s_and_saveexec_b64 s[94:95], s[18:19]
; %bb.10508:                            ;   in Loop: Header=BB6_10476 Depth=2
	v_bfe_u32 v2, v14, 20, 1
	v_add_co_u32_e64 v2, s[18:19], v14, v2
	v_add_co_u32_e64 v15, s[18:19], -1, v2
; %bb.10509:                            ;   in Loop: Header=BB6_10476 Depth=2
	s_or_b64 exec, exec, s[94:95]
	v_add_u32_e32 v2, 0xffffff81, v7
	v_cndmask_b32_e32 v2, v2, v59, vcc
	v_lshrrev_b32_e32 v7, 23, v14
	v_add3_u32 v9, v8, v2, v7
	v_add_u32_e32 v8, 6, v9
	v_and_b32_e32 v2, 0xfffff, v15
	v_add_u32_e32 v2, v2, v14
	v_cmp_ne_u32_e32 vcc, 0, v8
                                        ; implicit-def: $vgpr14_vgpr15
                                        ; implicit-def: $vgpr7
	s_and_saveexec_b64 s[18:19], vcc
	s_xor_b64 s[18:19], exec, s[18:19]
; %bb.10510:                            ;   in Loop: Header=BB6_10476 Depth=2
	v_cmp_lt_u64_e32 vcc, s[74:75], v[2:3]
	v_add_u32_e32 v7, 7, v9
	v_cndmask_b32_e32 v7, v8, v7, vcc
	v_cndmask_b32_e64 v8, 0, 1, vcc
	v_lshrrev_b64 v[14:15], v8, v[2:3]
; %bb.10511:                            ;   in Loop: Header=BB6_10476 Depth=2
	s_andn2_saveexec_b64 s[18:19], s[18:19]
; %bb.10512:                            ;   in Loop: Header=BB6_10476 Depth=2
	v_mov_b32_e32 v15, v3
	v_bfe_u32 v7, v2, 23, 1
	v_mov_b32_e32 v14, v2
; %bb.10513:                            ;   in Loop: Header=BB6_10476 Depth=2
	s_or_b64 exec, exec, s[18:19]
	v_lshrrev_b64 v[8:9], 20, v[14:15]
	v_cmp_gt_i32_e32 vcc, 16, v7
	v_cndmask_b32_e32 v15, 0, v9, vcc
	v_cndmask_b32_e32 v14, 7, v8, vcc
	v_cmp_ne_u64_e32 vcc, 0, v[14:15]
	v_cmp_ne_u32_e64 s[18:19], 0, v7
	s_or_b64 s[18:19], s[18:19], vcc
                                        ; implicit-def: $vgpr2
	s_and_saveexec_b64 s[94:95], s[18:19]
	s_xor_b64 s[18:19], exec, s[94:95]
; %bb.10514:                            ;   in Loop: Header=BB6_10476 Depth=2
	v_min_i32_e32 v2, 15, v7
	v_lshl_or_b32 v2, v2, 3, v6
	v_and_or_b32 v2, v14, 7, v2
                                        ; implicit-def: $vgpr6
; %bb.10515:                            ;   in Loop: Header=BB6_10476 Depth=2
	s_andn2_saveexec_b64 s[18:19], s[18:19]
; %bb.10516:                            ;   in Loop: Header=BB6_10476 Depth=2
	v_mov_b32_e32 v2, v6
; %bb.10517:                            ;   in Loop: Header=BB6_10476 Depth=2
	s_or_b64 exec, exec, s[18:19]
.LBB6_10518:                            ;   in Loop: Header=BB6_10476 Depth=2
	s_or_b64 exec, exec, s[92:93]
                                        ; implicit-def: $vgpr6
.LBB6_10519:                            ;   in Loop: Header=BB6_10476 Depth=2
	s_andn2_saveexec_b64 s[18:19], s[22:23]
; %bb.10520:                            ;   in Loop: Header=BB6_10476 Depth=2
	v_or_b32_e32 v2, 0x7e, v6
; %bb.10521:                            ;   in Loop: Header=BB6_10476 Depth=2
	s_or_b64 exec, exec, s[18:19]
                                        ; implicit-def: $vgpr9
.LBB6_10522:                            ;   in Loop: Header=BB6_10476 Depth=2
	s_andn2_saveexec_b64 s[18:19], s[20:21]
	s_cbranch_execz .LBB6_10475
; %bb.10523:                            ;   in Loop: Header=BB6_10476 Depth=2
	v_or_b32_sdwa v2, v9, s51 dst_sel:DWORD dst_unused:UNUSED_PAD src0_sel:BYTE_3 src1_sel:DWORD
	s_branch .LBB6_10475
.LBB6_10524:                            ;   in Loop: Header=BB6_5329 Depth=1
	s_or_b64 exec, exec, s[24:25]
	s_waitcnt vmcnt(0)
	v_cmp_ne_u32_e64 s[18:19], 0, v19
	buffer_load_dword v14, off, s[0:3], s33 offset:176 ; 4-byte Folded Reload
	buffer_load_dword v15, off, s[0:3], s33 offset:180 ; 4-byte Folded Reload
	;; [unrolled: 1-line block ×8, first 2 shown]
	s_and_saveexec_b64 s[20:21], s[10:11]
	s_cbranch_execz .LBB6_10543
.LBB6_10525:                            ;   in Loop: Header=BB6_5329 Depth=1
	s_and_saveexec_b64 s[22:23], s[46:47]
	s_xor_b64 s[22:23], exec, s[22:23]
	s_cbranch_execz .LBB6_10540
; %bb.10526:                            ;   in Loop: Header=BB6_5329 Depth=1
	s_and_saveexec_b64 s[24:25], s[12:13]
	s_cbranch_execz .LBB6_10539
; %bb.10527:                            ;   in Loop: Header=BB6_5329 Depth=1
	s_mov_b64 s[90:91], exec
	v_mbcnt_lo_u32_b32 v0, s90, 0
	v_mbcnt_hi_u32_b32 v0, s91, v0
	v_cmp_eq_u32_e32 vcc, 0, v0
	s_waitcnt vmcnt(0) lgkmcnt(0)
	buffer_wbinvl1_vol
	s_and_saveexec_b64 s[26:27], vcc
	s_cbranch_execz .LBB6_10529
; %bb.10528:                            ;   in Loop: Header=BB6_5329 Depth=1
	s_bcnt1_i32_b64 s90, s[90:91]
	v_mov_b32_e32 v2, s90
	ds_add_u64 v0, v[2:3]
	s_trap 2
.LBB6_10529:                            ;   in Loop: Header=BB6_5329 Depth=1
	s_or_b64 exec, exec, s[26:27]
	s_trap 2
	ds_read_b64 v[0:1], v0
	s_waitcnt lgkmcnt(0)
	buffer_load_dword v6, off, s[0:3], s33 offset:80 ; 4-byte Folded Reload
	buffer_load_dword v7, off, s[0:3], s33 offset:84 ; 4-byte Folded Reload
	s_waitcnt vmcnt(1)
	v_add_co_u32_e32 v6, vcc, v6, v46
	s_waitcnt vmcnt(0)
	v_addc_co_u32_e32 v7, vcc, 0, v7, vcc
	buffer_store_dword v6, off, s[0:3], s33 offset:80 ; 4-byte Folded Spill
	s_nop 0
	buffer_store_dword v7, off, s[0:3], s33 offset:84 ; 4-byte Folded Spill
	v_cmp_lt_u64_e32 vcc, v[0:1], v[6:7]
	s_and_saveexec_b64 s[26:27], vcc
	s_cbranch_execz .LBB6_10538
; %bb.10530:                            ;   in Loop: Header=BB6_5329 Depth=1
	s_mov_b32 s36, 0
	s_mov_b64 s[90:91], 0
                                        ; implicit-def: $sgpr92_sgpr93
                                        ; implicit-def: $sgpr94_sgpr95
	s_branch .LBB6_10532
.LBB6_10531:                            ;   in Loop: Header=BB6_10532 Depth=2
	s_or_b64 exec, exec, s[34:35]
	s_and_b64 vcc, exec, vcc
	s_or_b64 s[90:91], vcc, s[90:91]
	s_andn2_b64 s[92:93], s[92:93], exec
	s_and_b64 vcc, s[94:95], exec
	s_or_b64 s[92:93], s[92:93], vcc
	s_andn2_b64 exec, exec, s[90:91]
	s_cbranch_execz .LBB6_10536
.LBB6_10532:                            ;   Parent Loop BB6_5329 Depth=1
                                        ; =>  This Inner Loop Header: Depth=2
	s_add_i32 s36, s36, 1
	s_cmpk_lg_i32 s36, 0x2710
	s_cselect_b64 s[30:31], -1, 0
	s_and_b64 vcc, exec, s[30:31]
	s_cbranch_vccz .LBB6_10534
; %bb.10533:                            ;   in Loop: Header=BB6_10532 Depth=2
	s_mov_b64 vcc, -1
	s_or_b64 s[94:95], s[94:95], exec
	s_and_saveexec_b64 s[34:35], s[30:31]
	s_cbranch_execz .LBB6_10531
	s_branch .LBB6_10535
.LBB6_10534:                            ;   in Loop: Header=BB6_10532 Depth=2
	s_trap 2
	ds_read_b64 v[0:1], v0
	s_andn2_b64 s[30:31], s[30:31], exec
	s_mov_b32 s36, 0
	s_waitcnt vmcnt(0) lgkmcnt(0)
	flat_load_dword v0, v[0:1] glc
	s_waitcnt vmcnt(0) lgkmcnt(0)
	buffer_wbinvl1_vol
	v_cmp_eq_u32_e32 vcc, 0, v0
	s_and_b64 vcc, vcc, exec
	s_or_b64 s[30:31], s[30:31], vcc
	s_mov_b64 vcc, -1
	s_or_b64 s[94:95], s[94:95], exec
	s_and_saveexec_b64 s[34:35], s[30:31]
	s_cbranch_execz .LBB6_10531
.LBB6_10535:                            ;   in Loop: Header=BB6_10532 Depth=2
	s_sleep 1
	s_trap 2
	ds_read_b64 v[0:1], v0
	s_waitcnt lgkmcnt(0)
	buffer_load_dword v6, off, s[0:3], s33 offset:80 ; 4-byte Folded Reload
	buffer_load_dword v7, off, s[0:3], s33 offset:84 ; 4-byte Folded Reload
	s_andn2_b64 s[94:95], s[94:95], exec
	s_waitcnt vmcnt(0)
	v_cmp_ge_u64_e32 vcc, v[0:1], v[6:7]
	s_orn2_b64 vcc, vcc, exec
	s_branch .LBB6_10531
.LBB6_10536:                            ;   in Loop: Header=BB6_5329 Depth=1
	s_or_b64 exec, exec, s[90:91]
	s_and_saveexec_b64 s[90:91], s[92:93]
	s_xor_b64 s[90:91], exec, s[90:91]
	s_cbranch_execz .LBB6_10538
; %bb.10537:                            ;   in Loop: Header=BB6_5329 Depth=1
	v_mov_b32_e32 v0, 1
	ds_write_b32 v0, v0
	s_trap 2
.LBB6_10538:                            ;   in Loop: Header=BB6_5329 Depth=1
	s_or_b64 exec, exec, s[26:27]
	;;#ASMSTART
	s_wakeup
	;;#ASMEND
.LBB6_10539:                            ;   in Loop: Header=BB6_5329 Depth=1
	s_or_b64 exec, exec, s[24:25]
.LBB6_10540:                            ;   in Loop: Header=BB6_5329 Depth=1
	s_andn2_saveexec_b64 s[22:23], s[22:23]
	s_cbranch_execz .LBB6_10542
; %bb.10541:                            ;   in Loop: Header=BB6_5329 Depth=1
	s_waitcnt vmcnt(0) lgkmcnt(0)
	buffer_wbinvl1_vol
	s_barrier
.LBB6_10542:                            ;   in Loop: Header=BB6_5329 Depth=1
	s_or_b64 exec, exec, s[22:23]
.LBB6_10543:                            ;   in Loop: Header=BB6_5329 Depth=1
	s_or_b64 exec, exec, s[20:21]
	buffer_load_dword v0, off, s[0:3], s33 offset:76 ; 4-byte Folded Reload
	s_waitcnt vmcnt(0)
	v_and_b32_e32 v0, 16, v0
	v_cmp_ne_u32_e32 vcc, 0, v0
	s_and_b64 s[20:21], vcc, s[18:19]
	s_and_saveexec_b64 s[18:19], s[20:21]
	s_cbranch_execz .LBB6_10545
; %bb.10544:                            ;   in Loop: Header=BB6_5329 Depth=1
	s_waitcnt lgkmcnt(0)
	buffer_wbinvl1_vol
.LBB6_10545:                            ;   in Loop: Header=BB6_5329 Depth=1
	s_or_b64 exec, exec, s[18:19]
	buffer_load_dword v0, off, s[0:3], s33 offset:76 ; 4-byte Folded Reload
	s_waitcnt vmcnt(0)
	v_and_b32_e32 v0, 32, v0
	v_cmp_ne_u32_e32 vcc, 0, v0
	s_and_saveexec_b64 s[18:19], vcc
	s_cbranch_execz .LBB6_10547
; %bb.10546:                            ;   in Loop: Header=BB6_5329 Depth=1
	buffer_load_dword v0, off, s[0:3], s33 offset:68 ; 4-byte Folded Reload
	buffer_load_dword v1, off, s[0:3], s33 offset:72 ; 4-byte Folded Reload
	v_add_co_u32_e32 v21, vcc, 1, v21
	v_addc_co_u32_e32 v22, vcc, 0, v22, vcc
	s_waitcnt vmcnt(0)
	flat_store_dwordx2 v[0:1], v[21:22]
.LBB6_10547:                            ;   in Loop: Header=BB6_5329 Depth=1
	s_or_b64 exec, exec, s[18:19]
	v_mov_b32_e32 v4, v26
.LBB6_10548:                            ;   in Loop: Header=BB6_5329 Depth=1
	s_or_b64 exec, exec, s[88:89]
	s_and_saveexec_b64 s[20:21], s[78:79]
	s_cbranch_execnz .LBB6_10549
; %bb.10846:                            ;   in Loop: Header=BB6_5329 Depth=1
	s_getpc_b64 s[68:69]
.Lpost_getpc22:
	s_add_u32 s68, s68, (.LBB6_5328-.Lpost_getpc22)&4294967295
	s_addc_u32 s69, s69, (.LBB6_5328-.Lpost_getpc22)>>32
	s_setpc_b64 s[68:69]
.LBB6_10549:                            ;   in Loop: Header=BB6_5329 Depth=1
	buffer_load_dword v0, off, s[0:3], s33 offset:76 ; 4-byte Folded Reload
	s_waitcnt vmcnt(0)
	v_and_b32_e32 v0, 4, v0
	v_cmp_ne_u32_e32 vcc, 0, v0
	s_and_saveexec_b64 s[22:23], vcc
	s_cbranch_execz .LBB6_10571
; %bb.10550:                            ;   in Loop: Header=BB6_5329 Depth=1
	buffer_load_dword v6, off, s[0:3], s33 offset:60 ; 4-byte Folded Reload
	buffer_load_dword v7, off, s[0:3], s33 offset:64 ; 4-byte Folded Reload
	v_add_co_u32_e32 v0, vcc, 1, v21
	v_addc_co_u32_e32 v1, vcc, 0, v22, vcc
	s_waitcnt vmcnt(0)
	v_cmp_lt_u64_e32 vcc, v[6:7], v[0:1]
	s_and_saveexec_b64 s[24:25], vcc
	s_cbranch_execz .LBB6_10562
; %bb.10551:                            ;   in Loop: Header=BB6_5329 Depth=1
	buffer_load_dword v2, off, s[0:3], s33 offset:76 ; 4-byte Folded Reload
	s_mov_b32 s38, 0
	s_mov_b64 s[26:27], 0
                                        ; implicit-def: $sgpr78_sgpr79
                                        ; implicit-def: $sgpr88_sgpr89
                                        ; implicit-def: $sgpr90_sgpr91
	s_waitcnt vmcnt(0)
	v_and_b32_e32 v2, 64, v2
	v_cmp_eq_u32_e32 vcc, 0, v2
	s_branch .LBB6_10555
.LBB6_10552:                            ;   in Loop: Header=BB6_10555 Depth=2
	buffer_load_dword v6, off, s[0:3], s33 offset:60 ; 4-byte Folded Reload
	buffer_load_dword v7, off, s[0:3], s33 offset:64 ; 4-byte Folded Reload
	s_or_b64 s[30:31], s[30:31], exec
	s_waitcnt vmcnt(0)
	v_cmp_ge_u64_e64 s[18:19], v[6:7], v[0:1]
	s_orn2_b64 s[94:95], s[18:19], exec
.LBB6_10553:                            ;   in Loop: Header=BB6_10555 Depth=2
	s_or_b64 exec, exec, s[36:37]
	s_andn2_b64 s[18:19], s[90:91], exec
	s_and_b64 s[90:91], s[30:31], exec
	s_or_b64 s[90:91], s[18:19], s[90:91]
	s_andn2_b64 s[18:19], s[88:89], exec
	s_and_b64 s[88:89], s[94:95], exec
	s_or_b64 s[88:89], s[18:19], s[88:89]
.LBB6_10554:                            ;   in Loop: Header=BB6_10555 Depth=2
	s_or_b64 exec, exec, s[92:93]
	s_and_b64 s[18:19], exec, s[88:89]
	s_or_b64 s[26:27], s[18:19], s[26:27]
	s_andn2_b64 s[18:19], s[78:79], exec
	s_and_b64 s[78:79], s[90:91], exec
	s_or_b64 s[78:79], s[18:19], s[78:79]
	s_andn2_b64 exec, exec, s[26:27]
	s_cbranch_execz .LBB6_10559
.LBB6_10555:                            ;   Parent Loop BB6_5329 Depth=1
                                        ; =>  This Inner Loop Header: Depth=2
	s_sleep 1
	buffer_load_dword v6, off, s[0:3], s33 offset:68 ; 4-byte Folded Reload
	buffer_load_dword v7, off, s[0:3], s33 offset:72 ; 4-byte Folded Reload
	s_or_b64 s[90:91], s[90:91], exec
	s_or_b64 s[88:89], s[88:89], exec
                                        ; implicit-def: $vgpr2
	s_waitcnt vmcnt(0)
	flat_load_dwordx2 v[6:7], v[6:7] glc
	s_waitcnt vmcnt(0) lgkmcnt(0)
	buffer_store_dword v6, off, s[0:3], s33 offset:60 ; 4-byte Folded Spill
	s_nop 0
	buffer_store_dword v7, off, s[0:3], s33 offset:64 ; 4-byte Folded Spill
	s_and_saveexec_b64 s[92:93], vcc
	s_cbranch_execz .LBB6_10554
; %bb.10556:                            ;   in Loop: Header=BB6_10555 Depth=2
	s_cmpk_lt_i32 s38, 0x270f
	s_cselect_b64 s[34:35], -1, 0
	s_cmpk_gt_i32 s38, 0x270e
	s_mov_b64 s[94:95], -1
	s_cbranch_scc0 .LBB6_10558
; %bb.10557:                            ;   in Loop: Header=BB6_10555 Depth=2
	s_trap 2
	ds_read_b64 v[6:7], v0
	s_andn2_b64 s[34:35], s[34:35], exec
	s_mov_b32 s38, 0
	s_mov_b64 s[30:31], 0
	s_waitcnt vmcnt(0) lgkmcnt(0)
	flat_load_dword v2, v[6:7] glc
	s_waitcnt vmcnt(0) lgkmcnt(0)
	buffer_wbinvl1_vol
	v_cmp_eq_u32_e64 s[18:19], 0, v2
	s_and_b64 s[18:19], s[18:19], exec
	s_or_b64 s[34:35], s[34:35], s[18:19]
	s_and_saveexec_b64 s[36:37], s[34:35]
	s_cbranch_execz .LBB6_10553
	s_branch .LBB6_10552
.LBB6_10558:                            ;   in Loop: Header=BB6_10555 Depth=2
	s_add_i32 s38, s38, 1
	s_mov_b64 s[30:31], -1
                                        ; implicit-def: $vgpr2
	s_and_saveexec_b64 s[36:37], s[34:35]
	s_cbranch_execz .LBB6_10553
	s_branch .LBB6_10552
.LBB6_10559:                            ;   in Loop: Header=BB6_5329 Depth=1
	s_or_b64 exec, exec, s[26:27]
	s_xor_b64 s[18:19], s[78:79], -1
	s_and_saveexec_b64 s[26:27], s[18:19]
	s_xor_b64 s[18:19], exec, s[26:27]
	s_cbranch_execz .LBB6_10561
; %bb.10560:                            ;   in Loop: Header=BB6_5329 Depth=1
	ds_write_b32 v0, v2
	s_trap 2
	buffer_load_dword v2, off, s[0:3], s33 offset:76 ; 4-byte Folded Reload
	s_waitcnt vmcnt(0)
	v_or_b32_e32 v2, 64, v2
	buffer_store_dword v2, off, s[0:3], s33 offset:76 ; 4-byte Folded Spill
.LBB6_10561:                            ;   in Loop: Header=BB6_5329 Depth=1
	s_or_b64 exec, exec, s[18:19]
.LBB6_10562:                            ;   in Loop: Header=BB6_5329 Depth=1
	s_or_b64 exec, exec, s[24:25]
	;;#ASMSTART
	s_wakeup
	;;#ASMEND
	buffer_load_dword v2, off, s[0:3], s33 offset:76 ; 4-byte Folded Reload
	s_mov_b64 s[18:19], -1
                                        ; implicit-def: $vgpr8_vgpr9
	s_waitcnt vmcnt(0)
	v_and_b32_e32 v2, 0x100, v2
	v_cmp_ne_u32_e32 vcc, 0, v2
	v_and_b32_e32 v2, 7, v21
	s_and_saveexec_b64 s[24:25], vcc
	s_cbranch_execz .LBB6_10566
; %bb.10563:                            ;   in Loop: Header=BB6_5329 Depth=1
	v_mad_u64_u32 v[10:11], s[18:19], v2, 24, v[19:20]
                                        ; implicit-def: $vgpr8_vgpr9
	flat_load_dword v6, v[10:11]
	s_waitcnt vmcnt(0) lgkmcnt(0)
	v_cmp_ne_u32_e32 vcc, 1, v6
	v_cmp_eq_u32_e64 s[18:19], 1, v6
	s_and_saveexec_b64 s[26:27], s[18:19]
	s_cbranch_execz .LBB6_10565
; %bb.10564:                            ;   in Loop: Header=BB6_5329 Depth=1
	flat_load_dword v8, v[10:11] offset:4 glc
	s_waitcnt vmcnt(0) lgkmcnt(0)
	v_ashrrev_i32_e32 v9, 31, v8
.LBB6_10565:                            ;   in Loop: Header=BB6_5329 Depth=1
	s_or_b64 exec, exec, s[26:27]
	s_orn2_b64 s[18:19], vcc, exec
.LBB6_10566:                            ;   in Loop: Header=BB6_5329 Depth=1
	s_or_b64 exec, exec, s[24:25]
	s_and_saveexec_b64 s[24:25], s[18:19]
	s_cbranch_execz .LBB6_10568
; %bb.10567:                            ;   in Loop: Header=BB6_5329 Depth=1
	buffer_load_dword v6, off, s[0:3], s33 offset:232 ; 4-byte Folded Reload
	s_waitcnt vmcnt(0)
	v_mad_i64_i32 v[8:9], s[18:19], v2, v6, 0
.LBB6_10568:                            ;   in Loop: Header=BB6_5329 Depth=1
	s_or_b64 exec, exec, s[24:25]
	buffer_load_dword v6, off, s[0:3], s33 offset:212 ; 4-byte Folded Reload
	buffer_load_dword v7, off, s[0:3], s33 offset:216 ; 4-byte Folded Reload
	;; [unrolled: 1-line block ×3, first 2 shown]
	s_waitcnt vmcnt(0)
	v_add_co_u32_e32 v6, vcc, v6, v8
	v_addc_co_u32_e32 v7, vcc, v7, v9, vcc
	v_and_b32_e32 v2, 0x2000, v2
	v_cmp_ne_u32_e32 vcc, 0, v2
	ds_write_b64 v0, v[6:7] offset:728
	s_and_saveexec_b64 s[18:19], vcc
	s_cbranch_execz .LBB6_10570
; %bb.10569:                            ;   in Loop: Header=BB6_5329 Depth=1
	ds_read_b64 v[6:7], v0 offset:872
	s_waitcnt lgkmcnt(0)
	v_add_co_u32_e32 v6, vcc, 1, v6
	v_addc_co_u32_e32 v7, vcc, 0, v7, vcc
	ds_write_b64 v0, v[6:7] offset:872
.LBB6_10570:                            ;   in Loop: Header=BB6_5329 Depth=1
	s_or_b64 exec, exec, s[18:19]
	v_mov_b32_e32 v22, v1
	v_mov_b32_e32 v21, v0
.LBB6_10571:                            ;   in Loop: Header=BB6_5329 Depth=1
	s_or_b64 exec, exec, s[22:23]
	s_and_saveexec_b64 s[18:19], s[10:11]
	s_cbranch_execz .LBB6_10590
; %bb.10572:                            ;   in Loop: Header=BB6_5329 Depth=1
	s_and_saveexec_b64 s[22:23], s[46:47]
	s_xor_b64 s[22:23], exec, s[22:23]
	s_cbranch_execz .LBB6_10587
; %bb.10573:                            ;   in Loop: Header=BB6_5329 Depth=1
	s_and_saveexec_b64 s[24:25], s[12:13]
	s_cbranch_execz .LBB6_10586
; %bb.10574:                            ;   in Loop: Header=BB6_5329 Depth=1
	s_mov_b64 s[78:79], exec
	v_mbcnt_lo_u32_b32 v0, s78, 0
	v_mbcnt_hi_u32_b32 v0, s79, v0
	v_cmp_eq_u32_e32 vcc, 0, v0
	s_waitcnt lgkmcnt(0)
	buffer_wbinvl1_vol
	s_and_saveexec_b64 s[26:27], vcc
	s_cbranch_execz .LBB6_10576
; %bb.10575:                            ;   in Loop: Header=BB6_5329 Depth=1
	s_bcnt1_i32_b64 s78, s[78:79]
	v_mov_b32_e32 v2, s78
	ds_add_u64 v0, v[2:3]
	s_trap 2
.LBB6_10576:                            ;   in Loop: Header=BB6_5329 Depth=1
	s_or_b64 exec, exec, s[26:27]
	s_trap 2
	ds_read_b64 v[0:1], v0
	s_waitcnt lgkmcnt(0)
	buffer_load_dword v6, off, s[0:3], s33 offset:80 ; 4-byte Folded Reload
	buffer_load_dword v7, off, s[0:3], s33 offset:84 ; 4-byte Folded Reload
	s_waitcnt vmcnt(1)
	v_add_co_u32_e32 v6, vcc, v6, v46
	s_waitcnt vmcnt(0)
	v_addc_co_u32_e32 v7, vcc, 0, v7, vcc
	buffer_store_dword v6, off, s[0:3], s33 offset:80 ; 4-byte Folded Spill
	s_nop 0
	buffer_store_dword v7, off, s[0:3], s33 offset:84 ; 4-byte Folded Spill
	v_cmp_lt_u64_e32 vcc, v[0:1], v[6:7]
	s_and_saveexec_b64 s[26:27], vcc
	s_cbranch_execz .LBB6_10585
; %bb.10577:                            ;   in Loop: Header=BB6_5329 Depth=1
	s_mov_b32 s30, 0
	s_mov_b64 s[78:79], 0
                                        ; implicit-def: $sgpr88_sgpr89
                                        ; implicit-def: $sgpr90_sgpr91
	s_branch .LBB6_10579
.LBB6_10578:                            ;   in Loop: Header=BB6_10579 Depth=2
	s_or_b64 exec, exec, s[94:95]
	s_and_b64 s[92:93], exec, vcc
	s_or_b64 s[78:79], s[92:93], s[78:79]
	s_andn2_b64 s[88:89], s[88:89], exec
	s_and_b64 s[92:93], s[90:91], exec
	s_or_b64 s[88:89], s[88:89], s[92:93]
	s_andn2_b64 exec, exec, s[78:79]
	s_cbranch_execz .LBB6_10583
.LBB6_10579:                            ;   Parent Loop BB6_5329 Depth=1
                                        ; =>  This Inner Loop Header: Depth=2
	s_add_i32 s30, s30, 1
	s_cmpk_lg_i32 s30, 0x2710
	s_cselect_b64 s[92:93], -1, 0
	s_and_b64 vcc, exec, s[92:93]
	s_cbranch_vccz .LBB6_10581
; %bb.10580:                            ;   in Loop: Header=BB6_10579 Depth=2
	s_mov_b64 vcc, -1
	s_or_b64 s[90:91], s[90:91], exec
	s_and_saveexec_b64 s[94:95], s[92:93]
	s_cbranch_execz .LBB6_10578
	s_branch .LBB6_10582
.LBB6_10581:                            ;   in Loop: Header=BB6_10579 Depth=2
	s_trap 2
	ds_read_b64 v[0:1], v0
	s_andn2_b64 s[92:93], s[92:93], exec
	s_mov_b32 s30, 0
	s_waitcnt vmcnt(0) lgkmcnt(0)
	flat_load_dword v0, v[0:1] glc
	s_waitcnt vmcnt(0) lgkmcnt(0)
	buffer_wbinvl1_vol
	v_cmp_eq_u32_e32 vcc, 0, v0
	s_and_b64 s[94:95], vcc, exec
	s_or_b64 s[92:93], s[92:93], s[94:95]
	s_mov_b64 vcc, -1
	s_or_b64 s[90:91], s[90:91], exec
	s_and_saveexec_b64 s[94:95], s[92:93]
	s_cbranch_execz .LBB6_10578
.LBB6_10582:                            ;   in Loop: Header=BB6_10579 Depth=2
	s_sleep 1
	s_trap 2
	ds_read_b64 v[0:1], v0
	s_waitcnt lgkmcnt(0)
	buffer_load_dword v6, off, s[0:3], s33 offset:80 ; 4-byte Folded Reload
	buffer_load_dword v7, off, s[0:3], s33 offset:84 ; 4-byte Folded Reload
	s_andn2_b64 s[90:91], s[90:91], exec
	s_waitcnt vmcnt(0)
	v_cmp_ge_u64_e32 vcc, v[0:1], v[6:7]
	s_orn2_b64 vcc, vcc, exec
	s_branch .LBB6_10578
.LBB6_10583:                            ;   in Loop: Header=BB6_5329 Depth=1
	s_or_b64 exec, exec, s[78:79]
	s_and_saveexec_b64 s[78:79], s[88:89]
	s_xor_b64 s[78:79], exec, s[78:79]
	s_cbranch_execz .LBB6_10585
; %bb.10584:                            ;   in Loop: Header=BB6_5329 Depth=1
	v_mov_b32_e32 v0, 1
	ds_write_b32 v0, v0
	s_trap 2
.LBB6_10585:                            ;   in Loop: Header=BB6_5329 Depth=1
	s_or_b64 exec, exec, s[26:27]
	;;#ASMSTART
	s_wakeup
	;;#ASMEND
.LBB6_10586:                            ;   in Loop: Header=BB6_5329 Depth=1
	s_or_b64 exec, exec, s[24:25]
.LBB6_10587:                            ;   in Loop: Header=BB6_5329 Depth=1
	s_andn2_saveexec_b64 s[22:23], s[22:23]
	s_cbranch_execz .LBB6_10589
; %bb.10588:                            ;   in Loop: Header=BB6_5329 Depth=1
	s_waitcnt vmcnt(0) lgkmcnt(0)
	buffer_wbinvl1_vol
	s_barrier
.LBB6_10589:                            ;   in Loop: Header=BB6_5329 Depth=1
	s_or_b64 exec, exec, s[22:23]
.LBB6_10590:                            ;   in Loop: Header=BB6_5329 Depth=1
	s_or_b64 exec, exec, s[18:19]
	s_trap 2
	ds_read_b32 v0, v0
	buffer_load_dword v1, off, s[0:3], s33 offset:204 ; 4-byte Folded Reload
	buffer_load_dword v2, off, s[0:3], s33 offset:208 ; 4-byte Folded Reload
	s_waitcnt lgkmcnt(0)
	v_readfirstlane_b32 s18, v0
	buffer_load_dword v0, off, s[0:3], s33 offset:76 ; 4-byte Folded Reload
	s_cmp_eq_u32 s18, 0
	s_cselect_b64 s[18:19], -1, 0
	s_waitcnt vmcnt(2)
	v_sub_u32_e32 v1, v1, v4
	v_min_i32_e32 v1, v26, v1
	v_cmp_lt_i32_e32 vcc, 0, v1
	s_and_b64 s[18:19], vcc, s[18:19]
	s_waitcnt vmcnt(0)
	v_and_b32_e32 v0, 16, v0
	v_cmp_ne_u32_e32 vcc, 0, v0
	s_and_b64 s[22:23], vcc, s[18:19]
	s_and_saveexec_b64 s[18:19], s[22:23]
	s_cbranch_execz .LBB6_10592
; %bb.10591:                            ;   in Loop: Header=BB6_5329 Depth=1
	buffer_wbinvl1_vol
.LBB6_10592:                            ;   in Loop: Header=BB6_5329 Depth=1
	s_or_b64 exec, exec, s[18:19]
	buffer_load_dword v0, off, s[0:3], s33 offset:76 ; 4-byte Folded Reload
	s_waitcnt vmcnt(0)
	v_and_b32_e32 v0, 32, v0
	v_cmp_ne_u32_e32 vcc, 0, v0
	s_and_saveexec_b64 s[18:19], vcc
	s_cbranch_execnz .LBB6_10593
; %bb.10848:                            ;   in Loop: Header=BB6_5329 Depth=1
	s_getpc_b64 s[68:69]
.Lpost_getpc23:
	s_add_u32 s68, s68, (.LBB6_5327-.Lpost_getpc23)&4294967295
	s_addc_u32 s69, s69, (.LBB6_5327-.Lpost_getpc23)>>32
	s_setpc_b64 s[68:69]
.LBB6_10593:                            ;   in Loop: Header=BB6_5329 Depth=1
	buffer_load_dword v0, off, s[0:3], s33 offset:68 ; 4-byte Folded Reload
	buffer_load_dword v1, off, s[0:3], s33 offset:72 ; 4-byte Folded Reload
	v_add_co_u32_e32 v21, vcc, 1, v21
	v_addc_co_u32_e32 v22, vcc, 0, v22, vcc
	s_waitcnt vmcnt(0)
	flat_store_dwordx2 v[0:1], v[21:22]
; %bb.10816:                            ;   in Loop: Header=BB6_5329 Depth=1
	s_getpc_b64 s[68:69]
.Lpost_getpc7:
	s_add_u32 s68, s68, (.LBB6_5327-.Lpost_getpc7)&4294967295
	s_addc_u32 s69, s69, (.LBB6_5327-.Lpost_getpc7)>>32
	s_setpc_b64 s[68:69]
.LBB6_10594:
	s_or_b64 exec, exec, s[58:59]
.LBB6_10595:
	s_or_b64 exec, exec, s[44:45]
.LBB6_10596:
	s_or_b64 exec, exec, s[28:29]
                                        ; implicit-def: $vgpr0_vgpr1
                                        ; kill: killed $vgpr0_vgpr1
                                        ; implicit-def: $vgpr14_vgpr15
                                        ; implicit-def: $vgpr36_vgpr37
                                        ; implicit-def: $vgpr6
                                        ; implicit-def: $vgpr0
                                        ; kill: killed $vgpr0
                                        ; implicit-def: $vgpr0_vgpr1
                                        ; kill: killed $vgpr0_vgpr1
                                        ; implicit-def: $vgpr0_vgpr1
                                        ; kill: killed $vgpr0_vgpr1
	;; [unrolled: 2-line block ×3, first 2 shown]
                                        ; implicit-def: $vgpr0
                                        ; kill: killed $vgpr0
                                        ; implicit-def: $vgpr0
	buffer_store_dword v0, off, s[0:3], s33 offset:92 ; 4-byte Folded Spill
	s_nop 0
	buffer_store_dword v1, off, s[0:3], s33 offset:96 ; 4-byte Folded Spill
.LBB6_10597:
	s_andn2_saveexec_b64 s[22:23], s[42:43]
	s_cbranch_execz .LBB6_10769
; %bb.10598:
	v_mov_b32_e32 v0, 0
	s_waitcnt vmcnt(0)
	v_cmp_ne_u64_e32 vcc, 0, v[14:15]
	v_mov_b32_e32 v1, 0
	buffer_store_dword v0, off, s[0:3], s33 offset:80 ; 4-byte Folded Spill
	s_nop 0
	buffer_store_dword v1, off, s[0:3], s33 offset:84 ; 4-byte Folded Spill
	s_and_saveexec_b64 s[24:25], vcc
	s_cbranch_execz .LBB6_10768
; %bb.10599:
	buffer_load_dword v2, off, s[0:3], s33 offset:220 ; 4-byte Folded Reload
	s_trap 2
	buffer_load_dword v0, off, s[0:3], s33 offset:264 ; 4-byte Folded Reload
	s_ashr_i32 s6, s50, 31
	s_lshr_b32 s6, s6, 24
	s_add_i32 s50, s50, s6
	v_cmp_eq_u32_e32 vcc, 64, v61
	v_lshrrev_b32_e32 v4, 6, v61
	v_cmp_ne_u64_e64 s[18:19], 0, v[36:37]
	s_ashr_i32 s94, s50, 8
	v_cmp_ne_u32_e64 s[10:11], 64, v61
	v_mov_b32_e32 v1, 0
	v_lshlrev_b32_e32 v24, 13, v4
	v_lshlrev_b32_e32 v46, 10, v4
	;; [unrolled: 1-line block ×3, first 2 shown]
	v_and_b32_e32 v5, 0x3fc0, v61
	s_mov_b64 s[28:29], 0
	v_mov_b32_e32 v47, 1
	s_xor_b64 s[42:43], vcc, -1
	s_movk_i32 s95, 0x1000
	s_mov_b32 s30, 0x3ffffc00
	s_waitcnt vmcnt(0)
	v_cmp_ge_u32_e64 s[6:7], v2, v61
	v_cmp_ne_u32_sdwa s[26:27], v61, v0 src0_sel:DWORD src1_sel:WORD_0
	buffer_load_dword v0, off, s[0:3], s33 offset:260 ; 4-byte Folded Reload
	s_waitcnt vmcnt(0)
	v_and_b32_e32 v0, 63, v0
	v_cmp_eq_u32_e64 s[12:13], 0, v0
	v_and_b32_e32 v0, 63, v2
	v_cmp_lt_u32_e64 s[16:17], v0, v6
	v_mov_b32_e32 v6, 0
	v_lshrrev_b32_e32 v2, 6, v2
	v_mov_b32_e32 v7, 0
	v_cmp_eq_u32_e64 s[14:15], 0, v0
	buffer_store_dword v0, off, s[0:3], s33 offset:100 ; 4-byte Folded Spill
	v_lshlrev_b32_e32 v0, 4, v0
	buffer_store_dword v2, off, s[0:3], s33 offset:88 ; 4-byte Folded Spill
	buffer_store_dword v0, off, s[0:3], s33 offset:104 ; 4-byte Folded Spill
	;; [unrolled: 1-line block ×3, first 2 shown]
	s_nop 0
	buffer_store_dword v7, off, s[0:3], s33 offset:84 ; 4-byte Folded Spill
	buffer_load_dword v10, off, s[0:3], s33 offset:92 ; 4-byte Folded Reload
	buffer_load_dword v11, off, s[0:3], s33 offset:96 ; 4-byte Folded Reload
	v_lshl_or_b32 v23, v2, 13, v0
	v_mov_b32_e32 v2, 0
	v_mov_b32_e32 v3, 0
	buffer_store_dword v36, off, s[0:3], s33 offset:268 ; 4-byte Folded Spill
	s_nop 0
	buffer_store_dword v37, off, s[0:3], s33 offset:272 ; 4-byte Folded Spill
	buffer_store_dword v14, off, s[0:3], s33 offset:176 ; 4-byte Folded Spill
	s_nop 0
	buffer_store_dword v15, off, s[0:3], s33 offset:180 ; 4-byte Folded Spill
	buffer_store_dword v16, off, s[0:3], s33 offset:184 ; 4-byte Folded Spill
	buffer_store_dword v17, off, s[0:3], s33 offset:188 ; 4-byte Folded Spill
	s_branch .LBB6_10603
.LBB6_10600:                            ;   in Loop: Header=BB6_10603 Depth=1
	s_or_b64 exec, exec, s[44:45]
	v_mov_b32_e32 v6, v19
	v_mov_b32_e32 v8, v21
	v_mov_b32_e32 v9, v22
	v_add_co_u32_e32 v8, vcc, 1, v8
	v_addc_co_u32_e32 v9, vcc, 0, v9, vcc
	v_mov_b32_e32 v7, v20
	v_mov_b32_e32 v22, v9
	;; [unrolled: 1-line block ×5, first 2 shown]
	buffer_load_dword v6, off, s[0:3], s33 offset:68 ; 4-byte Folded Reload
	buffer_load_dword v7, off, s[0:3], s33 offset:72 ; 4-byte Folded Reload
	s_waitcnt vmcnt(0)
	flat_store_dwordx2 v[6:7], v[8:9]
.LBB6_10601:                            ;   in Loop: Header=BB6_10603 Depth=1
	s_or_b64 exec, exec, s[20:21]
.LBB6_10602:                            ;   in Loop: Header=BB6_10603 Depth=1
	s_or_b64 exec, exec, s[46:47]
	buffer_load_dword v10, off, s[0:3], s33 offset:92 ; 4-byte Folded Reload
	buffer_load_dword v11, off, s[0:3], s33 offset:96 ; 4-byte Folded Reload
	buffer_load_dword v14, off, s[0:3], s33 offset:176 ; 4-byte Folded Reload
	buffer_load_dword v15, off, s[0:3], s33 offset:180 ; 4-byte Folded Reload
	buffer_load_dword v16, off, s[0:3], s33 offset:184 ; 4-byte Folded Reload
	buffer_load_dword v17, off, s[0:3], s33 offset:188 ; 4-byte Folded Reload
	s_waitcnt vmcnt(0)
	v_add_co_u32_e32 v2, vcc, v2, v10
	v_addc_co_u32_e32 v3, vcc, 0, v3, vcc
	v_cmp_ge_u64_e32 vcc, v[2:3], v[14:15]
	s_or_b64 s[28:29], vcc, s[28:29]
	s_andn2_b64 exec, exec, s[28:29]
	s_cbranch_execz .LBB6_10767
.LBB6_10603:                            ; =>This Loop Header: Depth=1
                                        ;     Child Loop BB6_10612 Depth 2
                                        ;     Child Loop BB6_10636 Depth 2
	;; [unrolled: 1-line block ×10, first 2 shown]
	v_sub_co_u32_e32 v8, vcc, v14, v2
	v_subb_co_u32_e32 v9, vcc, v15, v3, vcc
	s_waitcnt vmcnt(0)
	v_cmp_lt_u64_e32 vcc, v[10:11], v[8:9]
	v_cndmask_b32_e64 v11, v9, 0, vcc
	v_cndmask_b32_e32 v10, v8, v10, vcc
	v_cmp_eq_u64_e32 vcc, 0, v[10:11]
	v_add_u32_e32 v0, 15, v10
	v_and_b32_e32 v0, 0x7ffffff0, v0
	s_or_b64 s[44:45], s[6:7], vcc
	v_max_i32_e32 v0, s94, v0
	s_xor_b64 s[20:21], s[44:45], -1
	v_mov_b32_e32 v8, 0
	s_and_saveexec_b64 s[46:47], s[20:21]
	s_cbranch_execz .LBB6_10720
; %bb.10604:                            ;   in Loop: Header=BB6_10603 Depth=1
	s_and_saveexec_b64 s[20:21], s[4:5]
	s_cbranch_execz .LBB6_10606
; %bb.10605:                            ;   in Loop: Header=BB6_10603 Depth=1
	s_trap 2
	ds_read_b64 v[8:9], v0
	buffer_load_dword v6, off, s[0:3], s33 offset:224 ; 4-byte Folded Reload
	buffer_load_dword v7, off, s[0:3], s33 offset:228 ; 4-byte Folded Reload
	s_waitcnt vmcnt(0) lgkmcnt(0)
	v_add_co_u32_e32 v6, vcc, v8, v6
	v_addc_co_u32_e32 v7, vcc, v9, v7, vcc
	v_add_co_u32_e32 v8, vcc, v6, v2
	v_addc_co_u32_e32 v9, vcc, v7, v3, vcc
	ds_write_b64 v0, v[8:9]
	v_mov_b32_e32 v8, v1
	v_mov_b32_e32 v9, v1
	ds_write_b64 v0, v[8:9]
.LBB6_10606:                            ;   in Loop: Header=BB6_10603 Depth=1
	s_or_b64 exec, exec, s[20:21]
	buffer_load_dword v6, off, s[0:3], s33 offset:76 ; 4-byte Folded Reload
	v_min_u32_e32 v0, v0, v10
	s_waitcnt vmcnt(0)
	v_and_b32_e32 v6, 8, v6
	v_cmp_ne_u32_e32 vcc, 0, v6
	s_and_saveexec_b64 s[56:57], vcc
	s_cbranch_execz .LBB6_10628
; %bb.10607:                            ;   in Loop: Header=BB6_10603 Depth=1
	buffer_load_dword v6, off, s[0:3], s33 offset:60 ; 4-byte Folded Reload
	buffer_load_dword v7, off, s[0:3], s33 offset:64 ; 4-byte Folded Reload
	v_mov_b32_e32 v11, v19
	v_mov_b32_e32 v13, v21
	;; [unrolled: 1-line block ×4, first 2 shown]
	s_waitcnt vmcnt(0)
	v_add_co_u32_e32 v8, vcc, 8, v6
	v_addc_co_u32_e32 v9, vcc, 0, v7, vcc
	v_add_co_u32_e32 v11, vcc, 1, v13
	v_addc_co_u32_e32 v12, vcc, 0, v14, vcc
	v_cmp_lt_u64_e32 vcc, v[8:9], v[11:12]
	s_and_saveexec_b64 s[58:59], vcc
	s_cbranch_execz .LBB6_10619
; %bb.10608:                            ;   in Loop: Header=BB6_10603 Depth=1
	buffer_load_dword v6, off, s[0:3], s33 offset:76 ; 4-byte Folded Reload
	s_mov_b32 s31, 0
	s_mov_b64 s[60:61], 0
                                        ; implicit-def: $sgpr62_sgpr63
                                        ; implicit-def: $sgpr72_sgpr73
                                        ; implicit-def: $sgpr74_sgpr75
	s_waitcnt vmcnt(0)
	v_and_b32_e32 v6, 64, v6
	v_cmp_eq_u32_e32 vcc, 0, v6
	s_branch .LBB6_10612
.LBB6_10609:                            ;   in Loop: Header=BB6_10612 Depth=2
	buffer_load_dword v6, off, s[0:3], s33 offset:60 ; 4-byte Folded Reload
	buffer_load_dword v7, off, s[0:3], s33 offset:64 ; 4-byte Folded Reload
	s_or_b64 s[88:89], s[88:89], exec
	s_waitcnt vmcnt(1)
	v_add_co_u32_e64 v13, s[20:21], 8, v6
	s_waitcnt vmcnt(0)
	v_addc_co_u32_e64 v14, s[20:21], 0, v7, s[20:21]
	v_cmp_ge_u64_e64 s[20:21], v[13:14], v[11:12]
	s_orn2_b64 s[78:79], s[20:21], exec
.LBB6_10610:                            ;   in Loop: Header=BB6_10612 Depth=2
	s_or_b64 exec, exec, s[92:93]
	s_andn2_b64 s[20:21], s[74:75], exec
	s_and_b64 s[74:75], s[88:89], exec
	s_or_b64 s[74:75], s[20:21], s[74:75]
	s_andn2_b64 s[20:21], s[72:73], exec
	s_and_b64 s[72:73], s[78:79], exec
	s_or_b64 s[72:73], s[20:21], s[72:73]
.LBB6_10611:                            ;   in Loop: Header=BB6_10612 Depth=2
	s_or_b64 exec, exec, s[76:77]
	s_and_b64 s[20:21], exec, s[72:73]
	s_or_b64 s[60:61], s[20:21], s[60:61]
	s_andn2_b64 s[20:21], s[62:63], exec
	s_and_b64 s[62:63], s[74:75], exec
	s_or_b64 s[62:63], s[20:21], s[62:63]
	s_andn2_b64 exec, exec, s[60:61]
	s_cbranch_execz .LBB6_10616
.LBB6_10612:                            ;   Parent Loop BB6_10603 Depth=1
                                        ; =>  This Inner Loop Header: Depth=2
	s_sleep 1
	buffer_load_dword v6, off, s[0:3], s33 offset:68 ; 4-byte Folded Reload
	buffer_load_dword v7, off, s[0:3], s33 offset:72 ; 4-byte Folded Reload
	s_or_b64 s[74:75], s[74:75], exec
	s_or_b64 s[72:73], s[72:73], exec
                                        ; implicit-def: $vgpr8
	s_waitcnt vmcnt(0)
	flat_load_dwordx2 v[6:7], v[6:7] glc
	s_waitcnt vmcnt(0) lgkmcnt(0)
	buffer_store_dword v6, off, s[0:3], s33 offset:60 ; 4-byte Folded Spill
	s_nop 0
	buffer_store_dword v7, off, s[0:3], s33 offset:64 ; 4-byte Folded Spill
	s_and_saveexec_b64 s[76:77], vcc
	s_cbranch_execz .LBB6_10611
; %bb.10613:                            ;   in Loop: Header=BB6_10612 Depth=2
	s_cmpk_lt_i32 s31, 0x270f
	s_cselect_b64 s[90:91], -1, 0
	s_cmpk_gt_i32 s31, 0x270e
	s_mov_b64 s[78:79], -1
	s_cbranch_scc0 .LBB6_10615
; %bb.10614:                            ;   in Loop: Header=BB6_10612 Depth=2
	s_trap 2
	ds_read_b64 v[8:9], v0
	s_andn2_b64 s[90:91], s[90:91], exec
	s_mov_b32 s31, 0
	s_mov_b64 s[88:89], 0
	s_waitcnt vmcnt(0) lgkmcnt(0)
	flat_load_dword v8, v[8:9] glc
	s_waitcnt vmcnt(0) lgkmcnt(0)
	buffer_wbinvl1_vol
	v_cmp_eq_u32_e64 s[20:21], 0, v8
	s_and_b64 s[20:21], s[20:21], exec
	s_or_b64 s[90:91], s[90:91], s[20:21]
	s_and_saveexec_b64 s[92:93], s[90:91]
	s_cbranch_execz .LBB6_10610
	s_branch .LBB6_10609
.LBB6_10615:                            ;   in Loop: Header=BB6_10612 Depth=2
	s_add_i32 s31, s31, 1
	s_mov_b64 s[88:89], -1
                                        ; implicit-def: $vgpr8
	s_and_saveexec_b64 s[92:93], s[90:91]
	s_cbranch_execz .LBB6_10610
	s_branch .LBB6_10609
.LBB6_10616:                            ;   in Loop: Header=BB6_10603 Depth=1
	s_or_b64 exec, exec, s[60:61]
	s_xor_b64 s[20:21], s[62:63], -1
	s_and_saveexec_b64 s[60:61], s[20:21]
	s_xor_b64 s[20:21], exec, s[60:61]
	s_cbranch_execz .LBB6_10618
; %bb.10617:                            ;   in Loop: Header=BB6_10603 Depth=1
	ds_write_b32 v0, v8
	s_trap 2
	buffer_load_dword v6, off, s[0:3], s33 offset:76 ; 4-byte Folded Reload
	s_waitcnt vmcnt(0)
	v_or_b32_e32 v6, 64, v6
	buffer_store_dword v6, off, s[0:3], s33 offset:76 ; 4-byte Folded Spill
.LBB6_10618:                            ;   in Loop: Header=BB6_10603 Depth=1
	s_or_b64 exec, exec, s[20:21]
.LBB6_10619:                            ;   in Loop: Header=BB6_10603 Depth=1
	s_or_b64 exec, exec, s[58:59]
	;;#ASMSTART
	s_wakeup
	;;#ASMEND
	buffer_load_dword v6, off, s[0:3], s33 offset:76 ; 4-byte Folded Reload
	v_and_b32_e32 v15, 7, v21
	s_mov_b64 s[20:21], -1
                                        ; implicit-def: $vgpr8_vgpr9
	s_waitcnt vmcnt(0)
	v_and_b32_e32 v6, 0x100, v6
	v_cmp_ne_u32_e32 vcc, 0, v6
	s_and_saveexec_b64 s[58:59], vcc
	s_cbranch_execz .LBB6_10623
; %bb.10620:                            ;   in Loop: Header=BB6_10603 Depth=1
	v_mad_u64_u32 v[13:14], s[20:21], v15, 24, v[19:20]
                                        ; implicit-def: $vgpr8_vgpr9
	flat_load_dword v6, v[13:14]
	s_nop 0
	flat_store_dwordx2 v[13:14], v[0:1] offset:8
	s_waitcnt vmcnt(0) lgkmcnt(0)
	v_cmp_ne_u32_e32 vcc, 1, v6
	v_cmp_eq_u32_e64 s[20:21], 1, v6
	s_and_saveexec_b64 s[60:61], s[20:21]
	s_cbranch_execz .LBB6_10622
; %bb.10621:                            ;   in Loop: Header=BB6_10603 Depth=1
	flat_load_dword v8, v[13:14] offset:4 glc
	s_waitcnt vmcnt(0) lgkmcnt(0)
	v_ashrrev_i32_e32 v9, 31, v8
.LBB6_10622:                            ;   in Loop: Header=BB6_10603 Depth=1
	s_or_b64 exec, exec, s[60:61]
	s_orn2_b64 s[20:21], vcc, exec
.LBB6_10623:                            ;   in Loop: Header=BB6_10603 Depth=1
	s_or_b64 exec, exec, s[58:59]
	s_and_saveexec_b64 s[58:59], s[20:21]
	s_cbranch_execz .LBB6_10625
; %bb.10624:                            ;   in Loop: Header=BB6_10603 Depth=1
	buffer_load_dword v6, off, s[0:3], s33 offset:232 ; 4-byte Folded Reload
	s_waitcnt vmcnt(0)
	v_mad_i64_i32 v[8:9], s[20:21], v15, v6, 0
.LBB6_10625:                            ;   in Loop: Header=BB6_10603 Depth=1
	s_or_b64 exec, exec, s[58:59]
	buffer_load_dword v6, off, s[0:3], s33 offset:212 ; 4-byte Folded Reload
	buffer_load_dword v7, off, s[0:3], s33 offset:216 ; 4-byte Folded Reload
	s_waitcnt vmcnt(0)
	v_add_co_u32_e32 v8, vcc, v6, v8
	buffer_load_dword v6, off, s[0:3], s33 offset:76 ; 4-byte Folded Reload
	v_addc_co_u32_e32 v9, vcc, v7, v9, vcc
	ds_write_b64 v0, v[8:9] offset:784
	s_waitcnt vmcnt(0)
	v_and_b32_e32 v6, 0x2000, v6
	v_cmp_ne_u32_e32 vcc, 0, v6
	s_and_saveexec_b64 s[20:21], vcc
	s_cbranch_execz .LBB6_10627
; %bb.10626:                            ;   in Loop: Header=BB6_10603 Depth=1
	ds_read_b64 v[8:9], v0 offset:872
	s_waitcnt lgkmcnt(0)
	v_add_co_u32_e32 v8, vcc, 1, v8
	v_addc_co_u32_e32 v9, vcc, 0, v9, vcc
	ds_write_b64 v0, v[8:9] offset:872
.LBB6_10627:                            ;   in Loop: Header=BB6_10603 Depth=1
	s_or_b64 exec, exec, s[20:21]
	v_mov_b32_e32 v22, v12
	v_mov_b32_e32 v21, v11
.LBB6_10628:                            ;   in Loop: Header=BB6_10603 Depth=1
	s_or_b64 exec, exec, s[56:57]
	s_and_saveexec_b64 s[20:21], s[10:11]
	s_cbranch_execz .LBB6_10647
; %bb.10629:                            ;   in Loop: Header=BB6_10603 Depth=1
	s_and_saveexec_b64 s[56:57], s[26:27]
	s_xor_b64 s[56:57], exec, s[56:57]
	s_cbranch_execz .LBB6_10644
; %bb.10630:                            ;   in Loop: Header=BB6_10603 Depth=1
	s_and_saveexec_b64 s[58:59], s[12:13]
	s_cbranch_execz .LBB6_10643
; %bb.10631:                            ;   in Loop: Header=BB6_10603 Depth=1
	s_mov_b64 s[62:63], exec
	v_mbcnt_lo_u32_b32 v6, s62, 0
	v_mbcnt_hi_u32_b32 v6, s63, v6
	v_cmp_eq_u32_e32 vcc, 0, v6
	s_waitcnt lgkmcnt(0)
	buffer_wbinvl1_vol
	s_and_saveexec_b64 s[60:61], vcc
	s_cbranch_execz .LBB6_10633
; %bb.10632:                            ;   in Loop: Header=BB6_10603 Depth=1
	s_bcnt1_i32_b64 s62, s[62:63]
	v_mov_b32_e32 v8, s62
	v_mov_b32_e32 v9, v1
	ds_add_u64 v0, v[8:9]
	s_trap 2
.LBB6_10633:                            ;   in Loop: Header=BB6_10603 Depth=1
	s_or_b64 exec, exec, s[60:61]
	s_trap 2
	ds_read_b64 v[8:9], v0
	s_waitcnt lgkmcnt(0)
	buffer_load_dword v6, off, s[0:3], s33 offset:80 ; 4-byte Folded Reload
	buffer_load_dword v7, off, s[0:3], s33 offset:84 ; 4-byte Folded Reload
	s_waitcnt vmcnt(1)
	v_add_co_u32_e32 v6, vcc, v6, v4
	s_waitcnt vmcnt(0)
	v_addc_co_u32_e32 v7, vcc, 0, v7, vcc
	buffer_store_dword v6, off, s[0:3], s33 offset:80 ; 4-byte Folded Spill
	s_nop 0
	buffer_store_dword v7, off, s[0:3], s33 offset:84 ; 4-byte Folded Spill
	v_cmp_lt_u64_e32 vcc, v[8:9], v[6:7]
	s_and_saveexec_b64 s[60:61], vcc
	s_cbranch_execz .LBB6_10642
; %bb.10634:                            ;   in Loop: Header=BB6_10603 Depth=1
	s_mov_b32 s90, 0
	s_mov_b64 s[62:63], 0
                                        ; implicit-def: $sgpr72_sgpr73
                                        ; implicit-def: $sgpr74_sgpr75
	s_branch .LBB6_10636
.LBB6_10635:                            ;   in Loop: Header=BB6_10636 Depth=2
	s_or_b64 exec, exec, s[78:79]
	s_and_b64 s[76:77], exec, s[88:89]
	s_or_b64 s[62:63], s[76:77], s[62:63]
	s_andn2_b64 s[72:73], s[72:73], exec
	s_and_b64 s[76:77], s[74:75], exec
	s_or_b64 s[72:73], s[72:73], s[76:77]
	s_andn2_b64 exec, exec, s[62:63]
	s_cbranch_execz .LBB6_10640
.LBB6_10636:                            ;   Parent Loop BB6_10603 Depth=1
                                        ; =>  This Inner Loop Header: Depth=2
	s_add_i32 s90, s90, 1
	s_cmpk_lg_i32 s90, 0x2710
	s_cselect_b64 s[76:77], -1, 0
	s_and_b64 vcc, exec, s[76:77]
	s_cbranch_vccz .LBB6_10638
; %bb.10637:                            ;   in Loop: Header=BB6_10636 Depth=2
	s_mov_b64 s[88:89], -1
	s_or_b64 s[74:75], s[74:75], exec
	s_and_saveexec_b64 s[78:79], s[76:77]
	s_cbranch_execz .LBB6_10635
	s_branch .LBB6_10639
.LBB6_10638:                            ;   in Loop: Header=BB6_10636 Depth=2
	s_trap 2
	ds_read_b64 v[8:9], v0
	s_andn2_b64 s[76:77], s[76:77], exec
	s_mov_b32 s90, 0
	s_waitcnt vmcnt(0) lgkmcnt(0)
	flat_load_dword v6, v[8:9] glc
	s_waitcnt vmcnt(0) lgkmcnt(0)
	buffer_wbinvl1_vol
	v_cmp_eq_u32_e32 vcc, 0, v6
	s_and_b64 s[78:79], vcc, exec
	s_or_b64 s[76:77], s[76:77], s[78:79]
	s_mov_b64 s[88:89], -1
	s_or_b64 s[74:75], s[74:75], exec
	s_and_saveexec_b64 s[78:79], s[76:77]
	s_cbranch_execz .LBB6_10635
.LBB6_10639:                            ;   in Loop: Header=BB6_10636 Depth=2
	s_sleep 1
	s_trap 2
	ds_read_b64 v[8:9], v0
	s_waitcnt lgkmcnt(0)
	buffer_load_dword v6, off, s[0:3], s33 offset:80 ; 4-byte Folded Reload
	buffer_load_dword v7, off, s[0:3], s33 offset:84 ; 4-byte Folded Reload
	s_andn2_b64 s[74:75], s[74:75], exec
	s_waitcnt vmcnt(0)
	v_cmp_ge_u64_e32 vcc, v[8:9], v[6:7]
	s_orn2_b64 s[88:89], vcc, exec
	s_branch .LBB6_10635
.LBB6_10640:                            ;   in Loop: Header=BB6_10603 Depth=1
	s_or_b64 exec, exec, s[62:63]
	s_and_saveexec_b64 s[62:63], s[72:73]
	s_xor_b64 s[62:63], exec, s[62:63]
	s_cbranch_execz .LBB6_10642
; %bb.10641:                            ;   in Loop: Header=BB6_10603 Depth=1
	ds_write_b32 v0, v47
	s_trap 2
.LBB6_10642:                            ;   in Loop: Header=BB6_10603 Depth=1
	s_or_b64 exec, exec, s[60:61]
	;;#ASMSTART
	s_wakeup
	;;#ASMEND
.LBB6_10643:                            ;   in Loop: Header=BB6_10603 Depth=1
	s_or_b64 exec, exec, s[58:59]
.LBB6_10644:                            ;   in Loop: Header=BB6_10603 Depth=1
	s_andn2_saveexec_b64 s[56:57], s[56:57]
	s_cbranch_execz .LBB6_10646
; %bb.10645:                            ;   in Loop: Header=BB6_10603 Depth=1
	s_waitcnt vmcnt(0) lgkmcnt(0)
	buffer_wbinvl1_vol
	s_barrier
.LBB6_10646:                            ;   in Loop: Header=BB6_10603 Depth=1
	s_or_b64 exec, exec, s[56:57]
.LBB6_10647:                            ;   in Loop: Header=BB6_10603 Depth=1
	s_or_b64 exec, exec, s[20:21]
	s_trap 2
	buffer_load_dword v6, off, s[0:3], s33 offset:76 ; 4-byte Folded Reload
	ds_read_b32 v8, v0
	s_waitcnt vmcnt(0)
	v_and_b32_e32 v6, 0x4000, v6
	v_cmp_ne_u32_e32 vcc, 0, v6
	s_and_b64 s[56:57], s[42:43], vcc
	s_and_saveexec_b64 s[20:21], s[56:57]
	s_cbranch_execz .LBB6_10666
; %bb.10648:                            ;   in Loop: Header=BB6_10603 Depth=1
	s_and_saveexec_b64 s[56:57], s[26:27]
	s_xor_b64 s[56:57], exec, s[56:57]
	s_cbranch_execz .LBB6_10663
; %bb.10649:                            ;   in Loop: Header=BB6_10603 Depth=1
	s_and_saveexec_b64 s[58:59], s[12:13]
	s_cbranch_execz .LBB6_10662
; %bb.10650:                            ;   in Loop: Header=BB6_10603 Depth=1
	s_mov_b64 s[62:63], exec
	v_mbcnt_lo_u32_b32 v6, s62, 0
	v_mbcnt_hi_u32_b32 v6, s63, v6
	v_cmp_eq_u32_e32 vcc, 0, v6
	s_waitcnt lgkmcnt(0)
	buffer_wbinvl1_vol
	s_and_saveexec_b64 s[60:61], vcc
	s_cbranch_execz .LBB6_10652
; %bb.10651:                            ;   in Loop: Header=BB6_10603 Depth=1
	s_bcnt1_i32_b64 s62, s[62:63]
	v_mov_b32_e32 v11, s62
	v_mov_b32_e32 v12, v1
	ds_add_u64 v0, v[11:12]
	s_trap 2
.LBB6_10652:                            ;   in Loop: Header=BB6_10603 Depth=1
	s_or_b64 exec, exec, s[60:61]
	s_trap 2
	ds_read_b64 v[11:12], v0
	s_waitcnt lgkmcnt(0)
	buffer_load_dword v6, off, s[0:3], s33 offset:80 ; 4-byte Folded Reload
	buffer_load_dword v7, off, s[0:3], s33 offset:84 ; 4-byte Folded Reload
	s_waitcnt vmcnt(1)
	v_add_co_u32_e32 v6, vcc, v6, v4
	s_waitcnt vmcnt(0)
	v_addc_co_u32_e32 v7, vcc, 0, v7, vcc
	buffer_store_dword v6, off, s[0:3], s33 offset:80 ; 4-byte Folded Spill
	s_nop 0
	buffer_store_dword v7, off, s[0:3], s33 offset:84 ; 4-byte Folded Spill
	v_cmp_lt_u64_e32 vcc, v[11:12], v[6:7]
	s_and_saveexec_b64 s[60:61], vcc
	s_cbranch_execz .LBB6_10661
; %bb.10653:                            ;   in Loop: Header=BB6_10603 Depth=1
	s_mov_b32 s90, 0
	s_mov_b64 s[62:63], 0
                                        ; implicit-def: $sgpr72_sgpr73
                                        ; implicit-def: $sgpr74_sgpr75
	s_branch .LBB6_10655
.LBB6_10654:                            ;   in Loop: Header=BB6_10655 Depth=2
	s_or_b64 exec, exec, s[78:79]
	s_and_b64 s[76:77], exec, s[88:89]
	s_or_b64 s[62:63], s[76:77], s[62:63]
	s_andn2_b64 s[72:73], s[72:73], exec
	s_and_b64 s[76:77], s[74:75], exec
	s_or_b64 s[72:73], s[72:73], s[76:77]
	s_andn2_b64 exec, exec, s[62:63]
	s_cbranch_execz .LBB6_10659
.LBB6_10655:                            ;   Parent Loop BB6_10603 Depth=1
                                        ; =>  This Inner Loop Header: Depth=2
	s_add_i32 s90, s90, 1
	s_cmpk_lg_i32 s90, 0x2710
	s_cselect_b64 s[76:77], -1, 0
	s_and_b64 vcc, exec, s[76:77]
	s_cbranch_vccz .LBB6_10657
; %bb.10656:                            ;   in Loop: Header=BB6_10655 Depth=2
	s_mov_b64 s[88:89], -1
	s_or_b64 s[74:75], s[74:75], exec
	s_and_saveexec_b64 s[78:79], s[76:77]
	s_cbranch_execz .LBB6_10654
	s_branch .LBB6_10658
.LBB6_10657:                            ;   in Loop: Header=BB6_10655 Depth=2
	s_trap 2
	ds_read_b64 v[11:12], v0
	s_andn2_b64 s[76:77], s[76:77], exec
	s_mov_b32 s90, 0
	s_waitcnt vmcnt(0) lgkmcnt(0)
	flat_load_dword v6, v[11:12] glc
	s_waitcnt vmcnt(0) lgkmcnt(0)
	buffer_wbinvl1_vol
	v_cmp_eq_u32_e32 vcc, 0, v6
	s_and_b64 s[78:79], vcc, exec
	s_or_b64 s[76:77], s[76:77], s[78:79]
	s_mov_b64 s[88:89], -1
	s_or_b64 s[74:75], s[74:75], exec
	s_and_saveexec_b64 s[78:79], s[76:77]
	s_cbranch_execz .LBB6_10654
.LBB6_10658:                            ;   in Loop: Header=BB6_10655 Depth=2
	s_sleep 1
	s_trap 2
	ds_read_b64 v[11:12], v0
	s_waitcnt lgkmcnt(0)
	buffer_load_dword v6, off, s[0:3], s33 offset:80 ; 4-byte Folded Reload
	buffer_load_dword v7, off, s[0:3], s33 offset:84 ; 4-byte Folded Reload
	s_andn2_b64 s[74:75], s[74:75], exec
	s_waitcnt vmcnt(0)
	v_cmp_ge_u64_e32 vcc, v[11:12], v[6:7]
	s_orn2_b64 s[88:89], vcc, exec
	s_branch .LBB6_10654
.LBB6_10659:                            ;   in Loop: Header=BB6_10603 Depth=1
	s_or_b64 exec, exec, s[62:63]
	s_and_saveexec_b64 s[62:63], s[72:73]
	s_xor_b64 s[62:63], exec, s[62:63]
	s_cbranch_execz .LBB6_10661
; %bb.10660:                            ;   in Loop: Header=BB6_10603 Depth=1
	ds_write_b32 v0, v47
	s_trap 2
.LBB6_10661:                            ;   in Loop: Header=BB6_10603 Depth=1
	s_or_b64 exec, exec, s[60:61]
	;;#ASMSTART
	s_wakeup
	;;#ASMEND
.LBB6_10662:                            ;   in Loop: Header=BB6_10603 Depth=1
	s_or_b64 exec, exec, s[58:59]
.LBB6_10663:                            ;   in Loop: Header=BB6_10603 Depth=1
	s_andn2_saveexec_b64 s[56:57], s[56:57]
	s_cbranch_execz .LBB6_10665
; %bb.10664:                            ;   in Loop: Header=BB6_10603 Depth=1
	s_waitcnt vmcnt(0) lgkmcnt(0)
	buffer_wbinvl1_vol
	s_barrier
.LBB6_10665:                            ;   in Loop: Header=BB6_10603 Depth=1
	s_or_b64 exec, exec, s[56:57]
.LBB6_10666:                            ;   in Loop: Header=BB6_10603 Depth=1
	s_or_b64 exec, exec, s[20:21]
	s_trap 2
	ds_read_b64 v[11:12], v0
	s_waitcnt lgkmcnt(0)
	v_cmp_eq_u64_e32 vcc, 0, v[11:12]
	s_cbranch_vccnz .LBB6_10674
; %bb.10667:                            ;   in Loop: Header=BB6_10603 Depth=1
	s_trap 2
	ds_read_b64 v[13:14], v0
	s_waitcnt lgkmcnt(0)
	v_cmp_eq_u64_e32 vcc, 0, v[13:14]
	s_cbranch_vccnz .LBB6_10674
; %bb.10668:                            ;   in Loop: Header=BB6_10603 Depth=1
	s_mov_b64 s[20:21], -1
	s_and_saveexec_b64 s[56:57], s[14:15]
	s_cbranch_execz .LBB6_10670
; %bb.10669:                            ;   in Loop: Header=BB6_10603 Depth=1
	ds_read_b32 v6, v0 offset:720
	s_waitcnt lgkmcnt(0)
	v_and_b32_e32 v6, 15, v6
	v_cmp_eq_u32_e32 vcc, 0, v6
	s_orn2_b64 s[20:21], vcc, exec
.LBB6_10670:                            ;   in Loop: Header=BB6_10603 Depth=1
	s_or_b64 exec, exec, s[56:57]
	s_and_saveexec_b64 s[56:57], s[16:17]
	s_cbranch_execz .LBB6_10672
; %bb.10671:                            ;   in Loop: Header=BB6_10603 Depth=1
	ds_read_b32 v6, v0 offset:784
	s_waitcnt lgkmcnt(0)
	v_and_b32_e32 v6, 15, v6
	v_cmp_eq_u32_e32 vcc, 0, v6
	s_and_b64 s[58:59], s[20:21], vcc
	s_andn2_b64 s[20:21], s[20:21], exec
	s_and_b64 s[58:59], s[58:59], exec
	s_or_b64 s[20:21], s[20:21], s[58:59]
.LBB6_10672:                            ;   in Loop: Header=BB6_10603 Depth=1
	s_or_b64 exec, exec, s[56:57]
	buffer_load_dword v16, off, s[0:3], s33 offset:220 ; 4-byte Folded Reload
	v_cmp_eq_u32_e32 vcc, 0, v8
	s_xor_b64 s[20:21], s[20:21], -1
	v_cndmask_b32_e32 v8, 0, v0, vcc
	v_cndmask_b32_e64 v6, 0, 1, s[20:21]
	s_mov_b64 s[58:59], -1
	v_cmp_ne_u32_e32 vcc, 0, v6
	v_mov_b32_e32 v9, 0
	v_mov_b32_e32 v15, v8
	s_cbranch_vccz .LBB6_10675
; %bb.10673:                            ;   in Loop: Header=BB6_10603 Depth=1
	s_and_saveexec_b64 s[20:21], s[58:59]
	s_cbranch_execnz .LBB6_10686
	s_branch .LBB6_10694
.LBB6_10674:                            ;   in Loop: Header=BB6_10603 Depth=1
	s_mov_b64 s[20:21], 0
	s_and_saveexec_b64 s[56:57], s[10:11]
	s_cbranch_execnz .LBB6_10695
	s_branch .LBB6_10713
.LBB6_10675:                            ;   in Loop: Header=BB6_10603 Depth=1
	buffer_load_dword v7, off, s[0:3], s33 offset:88 ; 4-byte Folded Reload
	v_lshrrev_b32_e32 v6, 13, v8
	s_waitcnt vmcnt(0)
	v_sub_u32_e32 v25, v6, v7
	v_cmp_lt_i32_e32 vcc, 0, v25
	s_and_saveexec_b64 s[56:57], vcc
	s_cbranch_execz .LBB6_10679
; %bb.10676:                            ;   in Loop: Header=BB6_10603 Depth=1
	v_mov_b32_e32 v16, v14
	v_mov_b32_e32 v18, v12
	;; [unrolled: 1-line block ×3, first 2 shown]
	s_mov_b64 s[58:59], 0
	v_mov_b32_e32 v15, v13
	v_mov_b32_e32 v17, v11
.LBB6_10677:                            ;   Parent Loop BB6_10603 Depth=1
                                        ; =>  This Inner Loop Header: Depth=2
	v_add_co_u32_e32 v38, vcc, v23, v17
	v_addc_co_u32_e32 v39, vcc, 0, v18, vcc
	v_add_co_u32_e32 v56, vcc, s95, v38
	v_addc_co_u32_e32 v57, vcc, 0, v39, vcc
	global_load_dwordx4 v[26:29], v[38:39], off glc slc
	global_load_dwordx4 v[30:33], v[38:39], off offset:1024 glc slc
	global_load_dwordx4 v[34:37], v[38:39], off offset:2048 glc slc
	;; [unrolled: 1-line block ×3, first 2 shown]
	global_load_dwordx4 v[52:55], v[56:57], off glc slc
	s_nop 0
	global_load_dwordx4 v[38:41], v[56:57], off offset:1024 glc slc
	global_load_dwordx4 v[42:45], v[56:57], off offset:2048 glc slc
	s_nop 0
	global_load_dwordx4 v[56:59], v[56:57], off offset:3072 glc slc
	v_add_co_u32_e32 v60, vcc, v23, v15
	v_addc_co_u32_e32 v61, vcc, 0, v16, vcc
	v_add_co_u32_e32 v17, vcc, v17, v24
	v_addc_co_u32_e32 v18, vcc, 0, v18, vcc
	v_sub_u32_e32 v25, v25, v4
	v_add_co_u32_e32 v15, vcc, v15, v24
	v_addc_co_u32_e32 v16, vcc, 0, v16, vcc
	v_cmp_gt_i32_e64 s[20:21], 1, v25
	v_add_co_u32_e32 v6, vcc, s95, v60
	s_or_b64 s[58:59], s[20:21], s[58:59]
	v_addc_co_u32_e32 v7, vcc, 0, v61, vcc
	s_waitcnt vmcnt(7)
	global_store_dwordx4 v[60:61], v[26:29], off glc slc
	s_waitcnt vmcnt(7)
	global_store_dwordx4 v[60:61], v[30:33], off offset:1024 glc slc
	s_waitcnt vmcnt(7)
	global_store_dwordx4 v[60:61], v[34:37], off offset:2048 glc slc
	;; [unrolled: 2-line block ×3, first 2 shown]
	s_waitcnt vmcnt(7)
	global_store_dwordx4 v[6:7], v[52:55], off glc slc
	s_waitcnt vmcnt(7)
	global_store_dwordx4 v[6:7], v[38:41], off offset:1024 glc slc
	s_waitcnt vmcnt(7)
	global_store_dwordx4 v[6:7], v[42:45], off offset:2048 glc slc
	;; [unrolled: 2-line block ×3, first 2 shown]
	s_andn2_b64 exec, exec, s[58:59]
	s_cbranch_execnz .LBB6_10677
; %bb.10678:                            ;   in Loop: Header=BB6_10603 Depth=1
	s_or_b64 exec, exec, s[58:59]
	buffer_load_dword v36, off, s[0:3], s33 offset:268 ; 4-byte Folded Reload
	buffer_load_dword v37, off, s[0:3], s33 offset:272 ; 4-byte Folded Reload
	v_mov_b32_e32 v61, v9
.LBB6_10679:                            ;   in Loop: Header=BB6_10603 Depth=1
	s_or_b64 exec, exec, s[56:57]
	v_and_b32_e32 v17, 0x3fffe000, v8
	v_cmp_ne_u32_e32 vcc, v8, v17
	s_mov_b64 s[58:59], 0
	v_mov_b32_e32 v9, 0
                                        ; implicit-def: $vgpr15
                                        ; implicit-def: $vgpr16
	s_and_saveexec_b64 s[56:57], vcc
	s_cbranch_execz .LBB6_10685
; %bb.10680:                            ;   in Loop: Header=BB6_10603 Depth=1
	buffer_load_dword v15, off, s[0:3], s33 offset:104 ; 4-byte Folded Reload
	v_lshlrev_b32_e32 v9, 10, v25
	v_and_b32_e32 v6, 0x1fff, v8
	v_sub_u32_e32 v7, 0, v25
	v_and_b32_e32 v7, 0x3ffffff, v7
	s_waitcnt vmcnt(0)
	v_sub_u32_e32 v18, v15, v9
	v_and_b32_e32 v15, 0x3ff, v8
	v_sub_u32_e32 v9, v6, v18
	v_bfe_u32 v6, v8, 10, 3
	v_cmp_lt_u32_e32 vcc, 15, v15
	v_addc_co_u32_e64 v6, s[20:21], 0, v6, vcc
	v_sub_u32_e32 v16, v6, v7
	v_cmp_lt_i32_e64 s[20:21], 15, v9
	s_and_saveexec_b64 s[58:59], s[20:21]
	s_cbranch_execz .LBB6_10684
; %bb.10681:                            ;   in Loop: Header=BB6_10603 Depth=1
	v_add_u32_e32 v17, v18, v17
	v_mov_b32_e32 v18, v1
	s_mov_b64 s[60:61], 0
.LBB6_10682:                            ;   Parent Loop BB6_10603 Depth=1
                                        ; =>  This Inner Loop Header: Depth=2
	v_add_co_u32_e64 v6, s[20:21], v11, v17
	v_addc_co_u32_e64 v7, s[20:21], v12, v18, s[20:21]
	global_load_dwordx4 v[25:28], v[6:7], off glc slc
	v_add_co_u32_e64 v6, s[20:21], v13, v17
	v_addc_co_u32_e64 v7, s[20:21], v14, v18, s[20:21]
	v_add_co_u32_e64 v17, s[20:21], v17, v46
	v_sub_u32_e32 v9, v9, v46
	v_addc_co_u32_e64 v18, s[20:21], 0, v18, s[20:21]
	v_cmp_gt_i32_e64 s[20:21], 16, v9
	v_sub_u32_e32 v16, v16, v4
	s_or_b64 s[60:61], s[20:21], s[60:61]
	s_waitcnt vmcnt(0)
	global_store_dwordx4 v[6:7], v[25:28], off glc slc
	s_andn2_b64 exec, exec, s[60:61]
	s_cbranch_execnz .LBB6_10682
; %bb.10683:                            ;   in Loop: Header=BB6_10603 Depth=1
	s_or_b64 exec, exec, s[60:61]
.LBB6_10684:                            ;   in Loop: Header=BB6_10603 Depth=1
	s_or_b64 exec, exec, s[58:59]
	v_and_b32_e32 v7, 0x3f0, v8
	v_cndmask_b32_e32 v7, 0, v7, vcc
	v_and_or_b32 v9, v8, s30, v7
	buffer_load_dword v7, off, s[0:3], s33 offset:100 ; 4-byte Folded Reload
	v_and_b32_e32 v6, 15, v8
	v_cndmask_b32_e32 v15, v15, v6, vcc
	v_cmp_lt_i32_e32 vcc, 0, v16
	v_cndmask_b32_e32 v6, 0, v4, vcc
	v_sub_u32_e32 v6, v6, v16
	v_cmp_ne_u32_e32 vcc, 0, v15
	s_and_b64 s[58:59], vcc, exec
	s_waitcnt vmcnt(0)
	v_lshl_or_b32 v16, v6, 6, v7
.LBB6_10685:                            ;   in Loop: Header=BB6_10603 Depth=1
	s_or_b64 exec, exec, s[56:57]
	s_and_saveexec_b64 s[20:21], s[58:59]
	s_cbranch_execz .LBB6_10694
.LBB6_10686:                            ;   in Loop: Header=BB6_10603 Depth=1
	s_waitcnt vmcnt(0)
	v_ashrrev_i32_e32 v6, 31, v16
	v_lshrrev_b32_e32 v6, 26, v6
	v_add_u32_e32 v25, v16, v6
	v_ashrrev_i32_e32 v17, 6, v25
	v_lshrrev_b32_e32 v6, 11, v15
	v_sub_u32_e32 v18, v6, v17
	v_cmp_lt_i32_e32 vcc, 0, v18
	s_and_saveexec_b64 s[56:57], vcc
	s_cbranch_execz .LBB6_10690
; %bb.10687:                            ;   in Loop: Header=BB6_10603 Depth=1
	v_and_b32_e32 v6, 0xffffffc0, v25
	v_sub_u32_e32 v6, v16, v6
	v_lshlrev_b32_e32 v7, 11, v17
	v_add3_u32 v25, v9, v6, v7
	v_ashrrev_i32_e32 v26, 31, v25
	s_mov_b64 s[58:59], 0
.LBB6_10688:                            ;   Parent Loop BB6_10603 Depth=1
                                        ; =>  This Inner Loop Header: Depth=2
	v_add_co_u32_e32 v6, vcc, v25, v11
	v_addc_co_u32_e32 v7, vcc, v26, v12, vcc
	flat_load_ubyte v27, v[6:7] glc slc
	flat_load_ubyte v28, v[6:7] offset:64 glc slc
	flat_load_ubyte v29, v[6:7] offset:128 glc slc
	;; [unrolled: 1-line block ×31, first 2 shown]
	v_add_co_u32_e32 v6, vcc, v25, v13
	v_addc_co_u32_e32 v7, vcc, v26, v14, vcc
	v_add_co_u32_e32 v11, vcc, v11, v62
	v_addc_co_u32_e32 v12, vcc, 0, v12, vcc
	v_add_co_u32_e32 v13, vcc, v13, v62
	v_sub_u32_e32 v18, v18, v4
	v_addc_co_u32_e32 v14, vcc, 0, v14, vcc
	v_cmp_gt_i32_e32 vcc, 1, v18
	s_or_b64 s[58:59], vcc, s[58:59]
	s_waitcnt vmcnt(0) lgkmcnt(0)
	flat_store_byte v[6:7], v27 glc slc
	flat_store_byte v[6:7], v28 offset:64 glc slc
	flat_store_byte v[6:7], v29 offset:128 glc slc
	;; [unrolled: 1-line block ×31, first 2 shown]
	s_andn2_b64 exec, exec, s[58:59]
	s_cbranch_execnz .LBB6_10688
; %bb.10689:                            ;   in Loop: Header=BB6_10603 Depth=1
	s_or_b64 exec, exec, s[58:59]
	buffer_load_dword v36, off, s[0:3], s33 offset:268 ; 4-byte Folded Reload
	buffer_load_dword v37, off, s[0:3], s33 offset:272 ; 4-byte Folded Reload
.LBB6_10690:                            ;   in Loop: Header=BB6_10603 Depth=1
	s_or_b64 exec, exec, s[56:57]
	v_and_b32_e32 v14, 0xfffff800, v15
	v_cmp_ne_u32_e32 vcc, v15, v14
	s_and_b64 exec, exec, vcc
	s_cbranch_execz .LBB6_10694
; %bb.10691:                            ;   in Loop: Header=BB6_10603 Depth=1
	v_lshlrev_b32_e32 v6, 6, v17
	v_sub_u32_e32 v6, v16, v6
	v_lshlrev_b32_e32 v7, 6, v18
	v_sub_u32_e32 v16, v6, v7
	v_and_b32_e32 v6, 0x7ff, v15
	v_sub_u32_e32 v13, v6, v16
	v_cmp_lt_i32_e32 vcc, 0, v13
	s_and_b64 exec, exec, vcc
	s_cbranch_execz .LBB6_10694
; %bb.10692:                            ;   in Loop: Header=BB6_10603 Depth=1
	s_trap 2
	ds_read_b64 v[11:12], v0
	v_add3_u32 v9, v14, v9, v16
	v_ashrrev_i32_e32 v14, 31, v9
	s_mov_b64 s[56:57], 0
.LBB6_10693:                            ;   Parent Loop BB6_10603 Depth=1
                                        ; =>  This Inner Loop Header: Depth=2
	s_waitcnt lgkmcnt(0)
	v_add_co_u32_e32 v6, vcc, v11, v9
	v_addc_co_u32_e32 v7, vcc, v12, v14, vcc
	flat_load_ubyte v15, v[6:7] glc slc
	v_add_co_u32_e32 v9, vcc, v9, v5
	v_sub_u32_e32 v13, v13, v5
	v_addc_co_u32_e32 v14, vcc, 0, v14, vcc
	v_cmp_gt_i32_e32 vcc, 1, v13
	s_or_b64 s[56:57], vcc, s[56:57]
	s_waitcnt vmcnt(0) lgkmcnt(0)
	flat_store_byte v[6:7], v15 glc slc
	s_andn2_b64 exec, exec, s[56:57]
	s_cbranch_execnz .LBB6_10693
.LBB6_10694:                            ;   in Loop: Header=BB6_10603 Depth=1
	s_or_b64 exec, exec, s[20:21]
	v_cmp_ne_u32_e64 s[20:21], 0, v8
	s_and_saveexec_b64 s[56:57], s[10:11]
	s_cbranch_execz .LBB6_10713
.LBB6_10695:                            ;   in Loop: Header=BB6_10603 Depth=1
	s_and_saveexec_b64 s[58:59], s[26:27]
	s_xor_b64 s[58:59], exec, s[58:59]
	s_cbranch_execz .LBB6_10710
; %bb.10696:                            ;   in Loop: Header=BB6_10603 Depth=1
	s_and_saveexec_b64 s[60:61], s[12:13]
	s_cbranch_execz .LBB6_10709
; %bb.10697:                            ;   in Loop: Header=BB6_10603 Depth=1
	s_mov_b64 s[72:73], exec
	v_mbcnt_lo_u32_b32 v6, s72, 0
	v_mbcnt_hi_u32_b32 v6, s73, v6
	v_cmp_eq_u32_e32 vcc, 0, v6
	s_waitcnt vmcnt(0) lgkmcnt(0)
	buffer_wbinvl1_vol
	s_and_saveexec_b64 s[62:63], vcc
	s_cbranch_execz .LBB6_10699
; %bb.10698:                            ;   in Loop: Header=BB6_10603 Depth=1
	s_bcnt1_i32_b64 s72, s[72:73]
	v_mov_b32_e32 v6, s72
	v_mov_b32_e32 v7, v1
	ds_add_u64 v0, v[6:7]
	s_trap 2
.LBB6_10699:                            ;   in Loop: Header=BB6_10603 Depth=1
	s_or_b64 exec, exec, s[62:63]
	s_trap 2
	ds_read_b64 v[6:7], v0
	s_waitcnt lgkmcnt(0)
	buffer_load_dword v8, off, s[0:3], s33 offset:80 ; 4-byte Folded Reload
	buffer_load_dword v9, off, s[0:3], s33 offset:84 ; 4-byte Folded Reload
	s_waitcnt vmcnt(1)
	v_add_co_u32_e32 v8, vcc, v8, v4
	s_waitcnt vmcnt(0)
	v_addc_co_u32_e32 v9, vcc, 0, v9, vcc
	buffer_store_dword v8, off, s[0:3], s33 offset:80 ; 4-byte Folded Spill
	s_nop 0
	buffer_store_dword v9, off, s[0:3], s33 offset:84 ; 4-byte Folded Spill
	v_cmp_lt_u64_e32 vcc, v[6:7], v[8:9]
	s_and_saveexec_b64 s[62:63], vcc
	s_cbranch_execz .LBB6_10708
; %bb.10700:                            ;   in Loop: Header=BB6_10603 Depth=1
	s_mov_b32 s92, 0
	s_mov_b64 s[72:73], 0
                                        ; implicit-def: $sgpr74_sgpr75
                                        ; implicit-def: $sgpr76_sgpr77
	s_branch .LBB6_10702
.LBB6_10701:                            ;   in Loop: Header=BB6_10702 Depth=2
	s_or_b64 exec, exec, s[88:89]
	s_and_b64 s[78:79], exec, s[90:91]
	s_or_b64 s[72:73], s[78:79], s[72:73]
	s_andn2_b64 s[74:75], s[74:75], exec
	s_and_b64 s[78:79], s[76:77], exec
	s_or_b64 s[74:75], s[74:75], s[78:79]
	s_andn2_b64 exec, exec, s[72:73]
	s_cbranch_execz .LBB6_10706
.LBB6_10702:                            ;   Parent Loop BB6_10603 Depth=1
                                        ; =>  This Inner Loop Header: Depth=2
	s_add_i32 s92, s92, 1
	s_cmpk_lg_i32 s92, 0x2710
	s_cselect_b64 s[78:79], -1, 0
	s_and_b64 vcc, exec, s[78:79]
	s_cbranch_vccz .LBB6_10704
; %bb.10703:                            ;   in Loop: Header=BB6_10702 Depth=2
	s_mov_b64 s[90:91], -1
	s_or_b64 s[76:77], s[76:77], exec
	s_and_saveexec_b64 s[88:89], s[78:79]
	s_cbranch_execz .LBB6_10701
	s_branch .LBB6_10705
.LBB6_10704:                            ;   in Loop: Header=BB6_10702 Depth=2
	s_trap 2
	ds_read_b64 v[6:7], v0
	s_andn2_b64 s[78:79], s[78:79], exec
	s_mov_b32 s92, 0
	s_waitcnt vmcnt(0) lgkmcnt(0)
	flat_load_dword v6, v[6:7] glc
	s_waitcnt vmcnt(0) lgkmcnt(0)
	buffer_wbinvl1_vol
	v_cmp_eq_u32_e32 vcc, 0, v6
	s_and_b64 s[88:89], vcc, exec
	s_or_b64 s[78:79], s[78:79], s[88:89]
	s_mov_b64 s[90:91], -1
	s_or_b64 s[76:77], s[76:77], exec
	s_and_saveexec_b64 s[88:89], s[78:79]
	s_cbranch_execz .LBB6_10701
.LBB6_10705:                            ;   in Loop: Header=BB6_10702 Depth=2
	s_sleep 1
	s_trap 2
	ds_read_b64 v[6:7], v0
	s_waitcnt lgkmcnt(0)
	buffer_load_dword v8, off, s[0:3], s33 offset:80 ; 4-byte Folded Reload
	buffer_load_dword v9, off, s[0:3], s33 offset:84 ; 4-byte Folded Reload
	s_andn2_b64 s[76:77], s[76:77], exec
	s_waitcnt vmcnt(0)
	v_cmp_ge_u64_e32 vcc, v[6:7], v[8:9]
	s_orn2_b64 s[90:91], vcc, exec
	s_branch .LBB6_10701
.LBB6_10706:                            ;   in Loop: Header=BB6_10603 Depth=1
	s_or_b64 exec, exec, s[72:73]
	s_and_saveexec_b64 s[72:73], s[74:75]
	s_xor_b64 s[72:73], exec, s[72:73]
	s_cbranch_execz .LBB6_10708
; %bb.10707:                            ;   in Loop: Header=BB6_10603 Depth=1
	ds_write_b32 v0, v47
	s_trap 2
.LBB6_10708:                            ;   in Loop: Header=BB6_10603 Depth=1
	s_or_b64 exec, exec, s[62:63]
	;;#ASMSTART
	s_wakeup
	;;#ASMEND
.LBB6_10709:                            ;   in Loop: Header=BB6_10603 Depth=1
	s_or_b64 exec, exec, s[60:61]
.LBB6_10710:                            ;   in Loop: Header=BB6_10603 Depth=1
	s_andn2_saveexec_b64 s[58:59], s[58:59]
	s_cbranch_execz .LBB6_10712
; %bb.10711:                            ;   in Loop: Header=BB6_10603 Depth=1
	s_waitcnt vmcnt(0) lgkmcnt(0)
	buffer_wbinvl1_vol
	s_barrier
.LBB6_10712:                            ;   in Loop: Header=BB6_10603 Depth=1
	s_or_b64 exec, exec, s[58:59]
.LBB6_10713:                            ;   in Loop: Header=BB6_10603 Depth=1
	s_or_b64 exec, exec, s[56:57]
	buffer_load_dword v6, off, s[0:3], s33 offset:76 ; 4-byte Folded Reload
	s_waitcnt vmcnt(0)
	v_and_b32_e32 v8, 16, v6
	v_cmp_ne_u32_e32 vcc, 0, v8
	s_and_b64 s[56:57], vcc, s[20:21]
	s_and_saveexec_b64 s[20:21], s[56:57]
	s_cbranch_execz .LBB6_10715
; %bb.10714:                            ;   in Loop: Header=BB6_10603 Depth=1
	s_waitcnt lgkmcnt(0)
	buffer_wbinvl1_vol
.LBB6_10715:                            ;   in Loop: Header=BB6_10603 Depth=1
	s_or_b64 exec, exec, s[20:21]
	v_cmp_ne_u32_e32 vcc, 0, v8
	s_and_saveexec_b64 s[20:21], vcc
	s_cbranch_execz .LBB6_10719
; %bb.10716:                            ;   in Loop: Header=BB6_10603 Depth=1
	s_and_saveexec_b64 s[56:57], s[18:19]
	s_cbranch_execz .LBB6_10718
; %bb.10717:                            ;   in Loop: Header=BB6_10603 Depth=1
	flat_store_dword v[36:37], v47
.LBB6_10718:                            ;   in Loop: Header=BB6_10603 Depth=1
	s_or_b64 exec, exec, s[56:57]
	v_mov_b32_e32 v6, v19
	v_mov_b32_e32 v8, v21
	;; [unrolled: 1-line block ×3, first 2 shown]
	v_add_co_u32_e32 v8, vcc, 1, v8
	v_addc_co_u32_e32 v9, vcc, 0, v9, vcc
	v_mov_b32_e32 v7, v20
	v_mov_b32_e32 v22, v9
	;; [unrolled: 1-line block ×5, first 2 shown]
	buffer_load_dword v6, off, s[0:3], s33 offset:68 ; 4-byte Folded Reload
	buffer_load_dword v7, off, s[0:3], s33 offset:72 ; 4-byte Folded Reload
	s_waitcnt vmcnt(0)
	flat_store_dwordx2 v[6:7], v[8:9]
.LBB6_10719:                            ;   in Loop: Header=BB6_10603 Depth=1
	s_or_b64 exec, exec, s[20:21]
	v_mov_b32_e32 v8, v0
.LBB6_10720:                            ;   in Loop: Header=BB6_10603 Depth=1
	s_or_b64 exec, exec, s[46:47]
	s_and_saveexec_b64 s[46:47], s[44:45]
	s_cbranch_execz .LBB6_10602
; %bb.10721:                            ;   in Loop: Header=BB6_10603 Depth=1
	v_sub_u32_e32 v6, v10, v8
	v_min_i32_e32 v10, v0, v6
	buffer_load_dword v0, off, s[0:3], s33 offset:76 ; 4-byte Folded Reload
	s_waitcnt vmcnt(0)
	v_and_b32_e32 v0, 8, v0
	v_cmp_ne_u32_e32 vcc, 0, v0
	s_and_saveexec_b64 s[44:45], vcc
	s_cbranch_execz .LBB6_10743
; %bb.10722:                            ;   in Loop: Header=BB6_10603 Depth=1
	buffer_load_dword v6, off, s[0:3], s33 offset:60 ; 4-byte Folded Reload
	buffer_load_dword v7, off, s[0:3], s33 offset:64 ; 4-byte Folded Reload
	v_mov_b32_e32 v11, v19
	v_mov_b32_e32 v12, v20
	;; [unrolled: 1-line block ×4, first 2 shown]
	s_waitcnt vmcnt(0)
	v_add_co_u32_e32 v6, vcc, 8, v6
	v_addc_co_u32_e32 v7, vcc, 0, v7, vcc
	v_add_co_u32_e32 v12, vcc, 1, v13
	v_addc_co_u32_e32 v13, vcc, 0, v14, vcc
	v_cmp_lt_u64_e32 vcc, v[6:7], v[12:13]
	s_and_saveexec_b64 s[56:57], vcc
	s_cbranch_execz .LBB6_10734
; %bb.10723:                            ;   in Loop: Header=BB6_10603 Depth=1
	buffer_load_dword v0, off, s[0:3], s33 offset:76 ; 4-byte Folded Reload
	s_mov_b32 s92, 0
	s_mov_b64 s[58:59], 0
                                        ; implicit-def: $sgpr60_sgpr61
                                        ; implicit-def: $sgpr62_sgpr63
                                        ; implicit-def: $sgpr72_sgpr73
	s_waitcnt vmcnt(0)
	v_and_b32_e32 v0, 64, v0
	v_cmp_eq_u32_e32 vcc, 0, v0
	s_branch .LBB6_10727
.LBB6_10724:                            ;   in Loop: Header=BB6_10727 Depth=2
	buffer_load_dword v6, off, s[0:3], s33 offset:60 ; 4-byte Folded Reload
	buffer_load_dword v7, off, s[0:3], s33 offset:64 ; 4-byte Folded Reload
	s_or_b64 s[78:79], s[78:79], exec
	s_waitcnt vmcnt(1)
	v_add_co_u32_e64 v6, s[20:21], 8, v6
	s_waitcnt vmcnt(0)
	v_addc_co_u32_e64 v7, s[20:21], 0, v7, s[20:21]
	v_cmp_ge_u64_e64 s[20:21], v[6:7], v[12:13]
	s_orn2_b64 s[76:77], s[20:21], exec
.LBB6_10725:                            ;   in Loop: Header=BB6_10727 Depth=2
	s_or_b64 exec, exec, s[90:91]
	s_andn2_b64 s[20:21], s[72:73], exec
	s_and_b64 s[72:73], s[78:79], exec
	s_or_b64 s[72:73], s[20:21], s[72:73]
	s_andn2_b64 s[20:21], s[62:63], exec
	s_and_b64 s[62:63], s[76:77], exec
	s_or_b64 s[62:63], s[20:21], s[62:63]
.LBB6_10726:                            ;   in Loop: Header=BB6_10727 Depth=2
	s_or_b64 exec, exec, s[74:75]
	s_and_b64 s[20:21], exec, s[62:63]
	s_or_b64 s[58:59], s[20:21], s[58:59]
	s_andn2_b64 s[20:21], s[60:61], exec
	s_and_b64 s[60:61], s[72:73], exec
	s_or_b64 s[60:61], s[20:21], s[60:61]
	s_andn2_b64 exec, exec, s[58:59]
	s_cbranch_execz .LBB6_10731
.LBB6_10727:                            ;   Parent Loop BB6_10603 Depth=1
                                        ; =>  This Inner Loop Header: Depth=2
	s_sleep 1
	buffer_load_dword v6, off, s[0:3], s33 offset:68 ; 4-byte Folded Reload
	buffer_load_dword v7, off, s[0:3], s33 offset:72 ; 4-byte Folded Reload
	s_or_b64 s[72:73], s[72:73], exec
	s_or_b64 s[62:63], s[62:63], exec
                                        ; implicit-def: $vgpr0
	s_waitcnt vmcnt(0)
	flat_load_dwordx2 v[6:7], v[6:7] glc
	s_waitcnt vmcnt(0) lgkmcnt(0)
	buffer_store_dword v6, off, s[0:3], s33 offset:60 ; 4-byte Folded Spill
	s_nop 0
	buffer_store_dword v7, off, s[0:3], s33 offset:64 ; 4-byte Folded Spill
	s_and_saveexec_b64 s[74:75], vcc
	s_cbranch_execz .LBB6_10726
; %bb.10728:                            ;   in Loop: Header=BB6_10727 Depth=2
	s_cmpk_lt_i32 s92, 0x270f
	s_cselect_b64 s[88:89], -1, 0
	s_cmpk_gt_i32 s92, 0x270e
	s_mov_b64 s[76:77], -1
	s_cbranch_scc0 .LBB6_10730
; %bb.10729:                            ;   in Loop: Header=BB6_10727 Depth=2
	s_trap 2
	ds_read_b64 v[6:7], v0
	s_andn2_b64 s[88:89], s[88:89], exec
	s_mov_b32 s92, 0
	s_mov_b64 s[78:79], 0
	s_waitcnt vmcnt(0) lgkmcnt(0)
	flat_load_dword v0, v[6:7] glc
	s_waitcnt vmcnt(0) lgkmcnt(0)
	buffer_wbinvl1_vol
	v_cmp_eq_u32_e64 s[20:21], 0, v0
	s_and_b64 s[20:21], s[20:21], exec
	s_or_b64 s[88:89], s[88:89], s[20:21]
	s_and_saveexec_b64 s[90:91], s[88:89]
	s_cbranch_execz .LBB6_10725
	s_branch .LBB6_10724
.LBB6_10730:                            ;   in Loop: Header=BB6_10727 Depth=2
	s_add_i32 s92, s92, 1
	s_mov_b64 s[78:79], -1
                                        ; implicit-def: $vgpr0
	s_and_saveexec_b64 s[90:91], s[88:89]
	s_cbranch_execz .LBB6_10725
	s_branch .LBB6_10724
.LBB6_10731:                            ;   in Loop: Header=BB6_10603 Depth=1
	s_or_b64 exec, exec, s[58:59]
	s_xor_b64 s[20:21], s[60:61], -1
	s_and_saveexec_b64 s[58:59], s[20:21]
	s_xor_b64 s[20:21], exec, s[58:59]
	s_cbranch_execz .LBB6_10733
; %bb.10732:                            ;   in Loop: Header=BB6_10603 Depth=1
	ds_write_b32 v0, v0
	s_trap 2
	buffer_load_dword v0, off, s[0:3], s33 offset:76 ; 4-byte Folded Reload
	s_waitcnt vmcnt(0)
	v_or_b32_e32 v0, 64, v0
	buffer_store_dword v0, off, s[0:3], s33 offset:76 ; 4-byte Folded Spill
.LBB6_10733:                            ;   in Loop: Header=BB6_10603 Depth=1
	s_or_b64 exec, exec, s[20:21]
.LBB6_10734:                            ;   in Loop: Header=BB6_10603 Depth=1
	s_or_b64 exec, exec, s[56:57]
	;;#ASMSTART
	s_wakeup
	;;#ASMEND
	buffer_load_dword v0, off, s[0:3], s33 offset:76 ; 4-byte Folded Reload
	s_mov_b64 s[20:21], -1
                                        ; implicit-def: $vgpr8_vgpr9
	s_waitcnt vmcnt(0)
	v_and_b32_e32 v0, 0x100, v0
	v_cmp_ne_u32_e32 vcc, 0, v0
	v_and_b32_e32 v0, 7, v21
	s_and_saveexec_b64 s[56:57], vcc
	s_cbranch_execz .LBB6_10738
; %bb.10735:                            ;   in Loop: Header=BB6_10603 Depth=1
	v_mad_u64_u32 v[14:15], s[20:21], v0, 24, v[19:20]
	v_ashrrev_i32_e32 v11, 31, v10
                                        ; implicit-def: $vgpr8_vgpr9
	flat_load_dword v6, v[14:15]
	s_nop 0
	flat_store_dwordx2 v[14:15], v[10:11] offset:8
	s_waitcnt vmcnt(0) lgkmcnt(0)
	v_cmp_ne_u32_e32 vcc, 1, v6
	v_cmp_eq_u32_e64 s[20:21], 1, v6
	s_and_saveexec_b64 s[58:59], s[20:21]
	s_cbranch_execz .LBB6_10737
; %bb.10736:                            ;   in Loop: Header=BB6_10603 Depth=1
	flat_load_dword v8, v[14:15] offset:4 glc
	s_waitcnt vmcnt(0) lgkmcnt(0)
	v_ashrrev_i32_e32 v9, 31, v8
.LBB6_10737:                            ;   in Loop: Header=BB6_10603 Depth=1
	s_or_b64 exec, exec, s[58:59]
	s_orn2_b64 s[20:21], vcc, exec
.LBB6_10738:                            ;   in Loop: Header=BB6_10603 Depth=1
	s_or_b64 exec, exec, s[56:57]
	s_and_saveexec_b64 s[56:57], s[20:21]
	s_cbranch_execz .LBB6_10740
; %bb.10739:                            ;   in Loop: Header=BB6_10603 Depth=1
	buffer_load_dword v6, off, s[0:3], s33 offset:232 ; 4-byte Folded Reload
	s_waitcnt vmcnt(0)
	v_mad_i64_i32 v[8:9], s[20:21], v0, v6, 0
.LBB6_10740:                            ;   in Loop: Header=BB6_10603 Depth=1
	s_or_b64 exec, exec, s[56:57]
	buffer_load_dword v6, off, s[0:3], s33 offset:212 ; 4-byte Folded Reload
	buffer_load_dword v7, off, s[0:3], s33 offset:216 ; 4-byte Folded Reload
	s_waitcnt vmcnt(0)
	v_add_co_u32_e32 v6, vcc, v6, v8
	v_addc_co_u32_e32 v7, vcc, v7, v9, vcc
	ds_write_b64 v0, v[6:7] offset:784
	buffer_load_dword v0, off, s[0:3], s33 offset:76 ; 4-byte Folded Reload
	s_waitcnt vmcnt(0)
	v_and_b32_e32 v0, 0x2000, v0
	v_cmp_ne_u32_e32 vcc, 0, v0
	s_and_saveexec_b64 s[20:21], vcc
	s_cbranch_execz .LBB6_10742
; %bb.10741:                            ;   in Loop: Header=BB6_10603 Depth=1
	ds_read_b64 v[6:7], v0 offset:872
	s_waitcnt lgkmcnt(0)
	v_add_co_u32_e32 v6, vcc, 1, v6
	v_addc_co_u32_e32 v7, vcc, 0, v7, vcc
	ds_write_b64 v0, v[6:7] offset:872
.LBB6_10742:                            ;   in Loop: Header=BB6_10603 Depth=1
	s_or_b64 exec, exec, s[20:21]
	v_mov_b32_e32 v22, v13
	v_mov_b32_e32 v21, v12
.LBB6_10743:                            ;   in Loop: Header=BB6_10603 Depth=1
	s_or_b64 exec, exec, s[44:45]
	s_and_saveexec_b64 s[20:21], s[10:11]
	s_cbranch_execz .LBB6_10762
; %bb.10744:                            ;   in Loop: Header=BB6_10603 Depth=1
	s_and_saveexec_b64 s[44:45], s[26:27]
	s_xor_b64 s[44:45], exec, s[44:45]
	s_cbranch_execz .LBB6_10759
; %bb.10745:                            ;   in Loop: Header=BB6_10603 Depth=1
	s_and_saveexec_b64 s[56:57], s[12:13]
	s_cbranch_execz .LBB6_10758
; %bb.10746:                            ;   in Loop: Header=BB6_10603 Depth=1
	s_mov_b64 s[60:61], exec
	v_mbcnt_lo_u32_b32 v0, s60, 0
	v_mbcnt_hi_u32_b32 v0, s61, v0
	v_cmp_eq_u32_e32 vcc, 0, v0
	s_waitcnt lgkmcnt(0)
	buffer_wbinvl1_vol
	s_and_saveexec_b64 s[58:59], vcc
	s_cbranch_execz .LBB6_10748
; %bb.10747:                            ;   in Loop: Header=BB6_10603 Depth=1
	s_bcnt1_i32_b64 s60, s[60:61]
	v_mov_b32_e32 v0, s60
	ds_add_u64 v0, v[0:1]
	s_trap 2
.LBB6_10748:                            ;   in Loop: Header=BB6_10603 Depth=1
	s_or_b64 exec, exec, s[58:59]
	s_trap 2
	ds_read_b64 v[6:7], v0
	s_waitcnt lgkmcnt(0)
	buffer_load_dword v8, off, s[0:3], s33 offset:80 ; 4-byte Folded Reload
	buffer_load_dword v9, off, s[0:3], s33 offset:84 ; 4-byte Folded Reload
	s_waitcnt vmcnt(1)
	v_add_co_u32_e32 v8, vcc, v8, v4
	s_waitcnt vmcnt(0)
	v_addc_co_u32_e32 v9, vcc, 0, v9, vcc
	buffer_store_dword v8, off, s[0:3], s33 offset:80 ; 4-byte Folded Spill
	s_nop 0
	buffer_store_dword v9, off, s[0:3], s33 offset:84 ; 4-byte Folded Spill
	v_cmp_lt_u64_e32 vcc, v[6:7], v[8:9]
	s_and_saveexec_b64 s[58:59], vcc
	s_cbranch_execz .LBB6_10757
; %bb.10749:                            ;   in Loop: Header=BB6_10603 Depth=1
	s_mov_b32 s88, 0
	s_mov_b64 s[60:61], 0
                                        ; implicit-def: $sgpr62_sgpr63
                                        ; implicit-def: $sgpr72_sgpr73
	s_branch .LBB6_10751
.LBB6_10750:                            ;   in Loop: Header=BB6_10751 Depth=2
	s_or_b64 exec, exec, s[76:77]
	s_and_b64 s[74:75], exec, s[78:79]
	s_or_b64 s[60:61], s[74:75], s[60:61]
	s_andn2_b64 s[62:63], s[62:63], exec
	s_and_b64 s[74:75], s[72:73], exec
	s_or_b64 s[62:63], s[62:63], s[74:75]
	s_andn2_b64 exec, exec, s[60:61]
	s_cbranch_execz .LBB6_10755
.LBB6_10751:                            ;   Parent Loop BB6_10603 Depth=1
                                        ; =>  This Inner Loop Header: Depth=2
	s_add_i32 s88, s88, 1
	s_cmpk_lg_i32 s88, 0x2710
	s_cselect_b64 s[74:75], -1, 0
	s_and_b64 vcc, exec, s[74:75]
	s_cbranch_vccz .LBB6_10753
; %bb.10752:                            ;   in Loop: Header=BB6_10751 Depth=2
	s_mov_b64 s[78:79], -1
	s_or_b64 s[72:73], s[72:73], exec
	s_and_saveexec_b64 s[76:77], s[74:75]
	s_cbranch_execz .LBB6_10750
	s_branch .LBB6_10754
.LBB6_10753:                            ;   in Loop: Header=BB6_10751 Depth=2
	s_trap 2
	ds_read_b64 v[6:7], v0
	s_andn2_b64 s[74:75], s[74:75], exec
	s_mov_b32 s88, 0
	s_waitcnt vmcnt(0) lgkmcnt(0)
	flat_load_dword v0, v[6:7] glc
	s_waitcnt vmcnt(0) lgkmcnt(0)
	buffer_wbinvl1_vol
	v_cmp_eq_u32_e32 vcc, 0, v0
	s_and_b64 s[76:77], vcc, exec
	s_or_b64 s[74:75], s[74:75], s[76:77]
	s_mov_b64 s[78:79], -1
	s_or_b64 s[72:73], s[72:73], exec
	s_and_saveexec_b64 s[76:77], s[74:75]
	s_cbranch_execz .LBB6_10750
.LBB6_10754:                            ;   in Loop: Header=BB6_10751 Depth=2
	s_sleep 1
	s_trap 2
	ds_read_b64 v[6:7], v0
	s_waitcnt lgkmcnt(0)
	buffer_load_dword v8, off, s[0:3], s33 offset:80 ; 4-byte Folded Reload
	buffer_load_dword v9, off, s[0:3], s33 offset:84 ; 4-byte Folded Reload
	s_andn2_b64 s[72:73], s[72:73], exec
	s_waitcnt vmcnt(0)
	v_cmp_ge_u64_e32 vcc, v[6:7], v[8:9]
	s_orn2_b64 s[78:79], vcc, exec
	s_branch .LBB6_10750
.LBB6_10755:                            ;   in Loop: Header=BB6_10603 Depth=1
	s_or_b64 exec, exec, s[60:61]
	s_and_saveexec_b64 s[60:61], s[62:63]
	s_xor_b64 s[60:61], exec, s[60:61]
	s_cbranch_execz .LBB6_10757
; %bb.10756:                            ;   in Loop: Header=BB6_10603 Depth=1
	ds_write_b32 v0, v47
	s_trap 2
.LBB6_10757:                            ;   in Loop: Header=BB6_10603 Depth=1
	s_or_b64 exec, exec, s[58:59]
	;;#ASMSTART
	s_wakeup
	;;#ASMEND
.LBB6_10758:                            ;   in Loop: Header=BB6_10603 Depth=1
	s_or_b64 exec, exec, s[56:57]
.LBB6_10759:                            ;   in Loop: Header=BB6_10603 Depth=1
	s_andn2_saveexec_b64 s[44:45], s[44:45]
	s_cbranch_execz .LBB6_10761
; %bb.10760:                            ;   in Loop: Header=BB6_10603 Depth=1
	s_waitcnt vmcnt(0) lgkmcnt(0)
	buffer_wbinvl1_vol
	s_barrier
.LBB6_10761:                            ;   in Loop: Header=BB6_10603 Depth=1
	s_or_b64 exec, exec, s[44:45]
.LBB6_10762:                            ;   in Loop: Header=BB6_10603 Depth=1
	s_or_b64 exec, exec, s[20:21]
	s_trap 2
	ds_read_b32 v6, v0
	buffer_load_dword v0, off, s[0:3], s33 offset:76 ; 4-byte Folded Reload
	v_cmp_lt_i32_e32 vcc, 0, v10
	s_waitcnt lgkmcnt(0)
	v_readfirstlane_b32 s20, v6
	s_cmp_eq_u32 s20, 0
	s_cselect_b64 s[20:21], -1, 0
	s_and_b64 s[20:21], vcc, s[20:21]
	s_waitcnt vmcnt(0)
	v_and_b32_e32 v0, 16, v0
	v_cmp_ne_u32_e32 vcc, 0, v0
	s_and_b64 s[44:45], vcc, s[20:21]
	s_and_saveexec_b64 s[20:21], s[44:45]
	s_cbranch_execz .LBB6_10764
; %bb.10763:                            ;   in Loop: Header=BB6_10603 Depth=1
	buffer_wbinvl1_vol
.LBB6_10764:                            ;   in Loop: Header=BB6_10603 Depth=1
	s_or_b64 exec, exec, s[20:21]
	v_cmp_ne_u32_e32 vcc, 0, v0
	s_and_saveexec_b64 s[20:21], vcc
	s_cbranch_execz .LBB6_10601
; %bb.10765:                            ;   in Loop: Header=BB6_10603 Depth=1
	s_and_saveexec_b64 s[44:45], s[18:19]
	s_cbranch_execz .LBB6_10600
; %bb.10766:                            ;   in Loop: Header=BB6_10603 Depth=1
	flat_store_dword v[36:37], v47
	s_branch .LBB6_10600
.LBB6_10767:
	s_or_b64 exec, exec, s[28:29]
.LBB6_10768:
	s_or_b64 exec, exec, s[24:25]
.LBB6_10769:
	s_or_b64 exec, exec, s[22:23]
	buffer_load_dword v1, off, s[0:3], s33 offset:76 ; 4-byte Folded Reload
	s_waitcnt vmcnt(0)
	v_and_b32_e32 v0, 0x800, v1
	v_cmp_eq_u32_e32 vcc, 0, v0
	s_and_saveexec_b64 s[6:7], vcc
	s_cbranch_execz .LBB6_10802
; %bb.10770:
	v_and_b32_e32 v0, 48, v1
	v_cmp_ne_u32_e32 vcc, 0, v0
	s_and_saveexec_b64 s[4:5], vcc
	s_cbranch_execz .LBB6_10772
; %bb.10771:
	buffer_load_dword v0, off, s[0:3], s33 offset:252 ; 4-byte Folded Reload
	buffer_load_dword v1, off, s[0:3], s33 offset:256 ; 4-byte Folded Reload
	s_waitcnt vmcnt(0)
	flat_store_dwordx2 v[0:1], v[21:22] offset:104
.LBB6_10772:
	s_or_b64 exec, exec, s[4:5]
	buffer_load_dword v5, off, s[0:3], s33 offset:76 ; 4-byte Folded Reload
	s_movk_i32 s4, 0x88
	s_waitcnt vmcnt(0)
	v_and_b32_e32 v0, 0x88, v5
	v_cmp_eq_u32_e32 vcc, s4, v0
	s_and_saveexec_b64 s[10:11], vcc
	s_cbranch_execz .LBB6_10782
; %bb.10773:
	v_add_u32_e32 v0, -1, v21
	v_and_b32_e32 v0, 7, v0
	v_mad_u64_u32 v[0:1], s[4:5], v0, 24, v[19:20]
	v_and_b32_e32 v4, 64, v5
	v_cmp_eq_u32_e64 s[4:5], 0, v4
	flat_load_dwordx2 v[2:3], v[0:1] offset:8 glc
	s_waitcnt vmcnt(0)
	s_mov_b32 s22, 0
	s_waitcnt lgkmcnt(0)
	v_cmp_ne_u64_e32 vcc, -1, v[2:3]
	s_and_b64 s[4:5], vcc, s[4:5]
	s_and_b64 exec, exec, s[4:5]
	s_cbranch_execz .LBB6_10782
; %bb.10774:
	s_mov_b64 s[4:5], 0
                                        ; implicit-def: $sgpr12_sgpr13
                                        ; implicit-def: $sgpr14_sgpr15
	s_branch .LBB6_10777
.LBB6_10775:                            ;   in Loop: Header=BB6_10777 Depth=1
	flat_load_dwordx2 v[3:4], v[0:1] offset:8 glc
	s_waitcnt vmcnt(0)
	s_andn2_b64 s[14:15], s[14:15], exec
	s_waitcnt lgkmcnt(0)
	v_cmp_eq_u64_e32 vcc, -1, v[3:4]
	s_orn2_b64 s[18:19], vcc, exec
.LBB6_10776:                            ;   in Loop: Header=BB6_10777 Depth=1
	s_or_b64 exec, exec, s[20:21]
	s_and_b64 s[16:17], exec, s[18:19]
	s_or_b64 s[4:5], s[16:17], s[4:5]
	s_andn2_b64 s[12:13], s[12:13], exec
	s_and_b64 s[16:17], s[14:15], exec
	s_or_b64 s[12:13], s[12:13], s[16:17]
	s_andn2_b64 exec, exec, s[4:5]
	s_cbranch_execz .LBB6_10780
.LBB6_10777:                            ; =>This Inner Loop Header: Depth=1
	s_cmpk_lt_i32 s22, 0x270f
	s_cselect_b64 s[16:17], -1, 0
	s_and_b64 vcc, exec, s[16:17]
	s_cbranch_vccnz .LBB6_10779
; %bb.10778:                            ;   in Loop: Header=BB6_10777 Depth=1
	s_trap 2
	ds_read_b64 v[2:3], v0
	s_andn2_b64 s[16:17], s[16:17], exec
	s_mov_b32 s22, 0
	s_waitcnt lgkmcnt(0)
	flat_load_dword v2, v[2:3] glc
	s_waitcnt vmcnt(0) lgkmcnt(0)
	buffer_wbinvl1_vol
	v_cmp_eq_u32_e32 vcc, 0, v2
	s_and_b64 s[18:19], vcc, exec
	s_or_b64 s[16:17], s[16:17], s[18:19]
	s_mov_b64 s[18:19], -1
	s_or_b64 s[14:15], s[14:15], exec
	s_and_saveexec_b64 s[20:21], s[16:17]
	s_cbranch_execz .LBB6_10776
	s_branch .LBB6_10775
.LBB6_10779:                            ;   in Loop: Header=BB6_10777 Depth=1
	s_add_i32 s22, s22, 1
                                        ; implicit-def: $vgpr2
	s_mov_b64 s[18:19], -1
	s_or_b64 s[14:15], s[14:15], exec
	s_and_saveexec_b64 s[20:21], s[16:17]
	s_cbranch_execz .LBB6_10776
	s_branch .LBB6_10775
.LBB6_10780:
	s_or_b64 exec, exec, s[4:5]
	s_mov_b64 s[4:5], exec
	buffer_load_dword v5, off, s[0:3], s33 offset:76 ; 4-byte Folded Reload
	s_and_b64 s[12:13], s[4:5], s[12:13]
	s_xor_b64 s[4:5], s[12:13], s[4:5]
	s_mov_b64 exec, s[12:13]
	s_cbranch_execz .LBB6_10782
; %bb.10781:
	ds_write_b32 v0, v2
	s_trap 2
.LBB6_10782:
	s_or_b64 exec, exec, s[10:11]
	s_waitcnt vmcnt(0)
	v_and_b32_e32 v0, 0x2000, v5
	v_cmp_ne_u32_e32 vcc, 0, v0
	s_and_saveexec_b64 s[4:5], vcc
	s_cbranch_execz .LBB6_10784
; %bb.10783:
	s_trap 2
	ds_read_b64 v[0:1], v0
	buffer_load_dword v2, off, s[0:3], s33 offset:308 ; 4-byte Folded Reload
	buffer_load_dword v3, off, s[0:3], s33 offset:312 ; 4-byte Folded Reload
	s_waitcnt vmcnt(0) lgkmcnt(0)
	flat_store_dwordx2 v[2:3], v[0:1] offset:16
.LBB6_10784:
	s_or_b64 exec, exec, s[4:5]
	v_cmp_ne_u32_e32 vcc, 64, v61
	s_and_b64 exec, exec, vcc
	s_cbranch_execz .LBB6_10802
; %bb.10785:
	buffer_load_dword v0, off, s[0:3], s33 offset:264 ; 4-byte Folded Reload
	s_waitcnt vmcnt(0)
	v_cmp_ne_u32_sdwa s[4:5], v61, v0 src0_sel:DWORD src1_sel:WORD_0
	s_and_saveexec_b64 s[10:11], s[4:5]
	s_xor_b64 s[4:5], exec, s[10:11]
	s_cbranch_execz .LBB6_10800
; %bb.10786:
	buffer_load_dword v0, off, s[0:3], s33 offset:260 ; 4-byte Folded Reload
	s_waitcnt vmcnt(0)
	v_and_b32_e32 v0, 63, v0
	v_cmp_eq_u32_e32 vcc, 0, v0
	s_and_saveexec_b64 s[10:11], vcc
	s_cbranch_execz .LBB6_10799
; %bb.10787:
	s_mov_b64 s[14:15], exec
	v_mbcnt_lo_u32_b32 v0, s14, 0
	v_mbcnt_hi_u32_b32 v0, s15, v0
	v_cmp_eq_u32_e32 vcc, 0, v0
	s_waitcnt lgkmcnt(0)
	buffer_wbinvl1_vol
	s_and_saveexec_b64 s[12:13], vcc
	s_cbranch_execz .LBB6_10789
; %bb.10788:
	s_bcnt1_i32_b64 s14, s[14:15]
	v_mov_b32_e32 v0, s14
	v_mov_b32_e32 v1, 0
	ds_add_u64 v0, v[0:1]
	s_trap 2
.LBB6_10789:
	s_or_b64 exec, exec, s[12:13]
	v_lshrrev_b32_e32 v0, 6, v61
	s_trap 2
	ds_read_b64 v[2:3], v0
	s_waitcnt lgkmcnt(0)
	buffer_load_dword v4, off, s[0:3], s33 offset:80 ; 4-byte Folded Reload
	buffer_load_dword v5, off, s[0:3], s33 offset:84 ; 4-byte Folded Reload
	s_waitcnt vmcnt(1)
	v_add_co_u32_e32 v0, vcc, v4, v0
	s_waitcnt vmcnt(0)
	v_addc_co_u32_e32 v1, vcc, 0, v5, vcc
	v_cmp_lt_u64_e32 vcc, v[2:3], v[0:1]
	s_and_saveexec_b64 s[12:13], vcc
	s_cbranch_execz .LBB6_10798
; %bb.10790:
	s_mov_b32 s26, 0
	s_mov_b64 s[14:15], 0
                                        ; implicit-def: $sgpr16_sgpr17
                                        ; implicit-def: $sgpr18_sgpr19
	s_branch .LBB6_10792
.LBB6_10791:                            ;   in Loop: Header=BB6_10792 Depth=1
	s_or_b64 exec, exec, s[22:23]
	s_and_b64 s[20:21], exec, s[24:25]
	s_or_b64 s[14:15], s[20:21], s[14:15]
	s_andn2_b64 s[16:17], s[16:17], exec
	s_and_b64 s[20:21], s[18:19], exec
	s_or_b64 s[16:17], s[16:17], s[20:21]
	s_andn2_b64 exec, exec, s[14:15]
	s_cbranch_execz .LBB6_10796
.LBB6_10792:                            ; =>This Inner Loop Header: Depth=1
	s_add_i32 s26, s26, 1
	s_cmpk_lg_i32 s26, 0x2710
	s_cselect_b64 s[20:21], -1, 0
	s_and_b64 vcc, exec, s[20:21]
	s_cbranch_vccz .LBB6_10794
; %bb.10793:                            ;   in Loop: Header=BB6_10792 Depth=1
	s_mov_b64 s[24:25], -1
	s_or_b64 s[18:19], s[18:19], exec
	s_and_saveexec_b64 s[22:23], s[20:21]
	s_cbranch_execz .LBB6_10791
	s_branch .LBB6_10795
.LBB6_10794:                            ;   in Loop: Header=BB6_10792 Depth=1
	s_trap 2
	ds_read_b64 v[2:3], v0
	s_andn2_b64 s[20:21], s[20:21], exec
	s_mov_b32 s26, 0
	s_waitcnt lgkmcnt(0)
	flat_load_dword v2, v[2:3] glc
	s_waitcnt vmcnt(0) lgkmcnt(0)
	buffer_wbinvl1_vol
	v_cmp_eq_u32_e32 vcc, 0, v2
	s_and_b64 s[22:23], vcc, exec
	s_or_b64 s[20:21], s[20:21], s[22:23]
	s_mov_b64 s[24:25], -1
	s_or_b64 s[18:19], s[18:19], exec
	s_and_saveexec_b64 s[22:23], s[20:21]
	s_cbranch_execz .LBB6_10791
.LBB6_10795:                            ;   in Loop: Header=BB6_10792 Depth=1
	s_sleep 1
	s_trap 2
	ds_read_b64 v[2:3], v0
	s_waitcnt lgkmcnt(0)
	s_andn2_b64 s[18:19], s[18:19], exec
	v_cmp_ge_u64_e32 vcc, v[2:3], v[0:1]
	s_orn2_b64 s[24:25], vcc, exec
	s_branch .LBB6_10791
.LBB6_10796:
	s_or_b64 exec, exec, s[14:15]
	s_and_saveexec_b64 s[14:15], s[16:17]
	s_xor_b64 s[14:15], exec, s[14:15]
	s_cbranch_execz .LBB6_10798
; %bb.10797:
	v_mov_b32_e32 v0, 1
	ds_write_b32 v0, v0
	s_trap 2
.LBB6_10798:
	s_or_b64 exec, exec, s[12:13]
	;;#ASMSTART
	s_wakeup
	;;#ASMEND
.LBB6_10799:
	s_or_b64 exec, exec, s[10:11]
.LBB6_10800:
	s_andn2_saveexec_b64 s[4:5], s[4:5]
	s_cbranch_execz .LBB6_10802
; %bb.10801:
	s_waitcnt lgkmcnt(0)
	buffer_wbinvl1_vol
	s_barrier
.LBB6_10802:
	s_or_b64 exec, exec, s[6:7]
.LBB6_10803:
	s_andn2_saveexec_b64 s[26:27], s[40:41]
	s_cbranch_execz .LBB6_10805
; %bb.10804:
	s_getpc_b64 s[4:5]
	s_add_u32 s4, s4, __PRETTY_FUNCTION__._ZN10PrimitivesI14__hip_fp8_e4m310FuncMinMaxIS0_E12FanSymmetricILi1EELi0E11ProtoSimpleILi1ELi1ELi0ELi4ELi0ELi0EELi0ELb0ELi0ELi0ELi0EEC2EiiPKiS9_PKvPvmhhhP15ncclDevWorkCollP14ncclDevWorkP2pii@rel32@lo+4
	s_addc_u32 s5, s5, __PRETTY_FUNCTION__._ZN10PrimitivesI14__hip_fp8_e4m310FuncMinMaxIS0_E12FanSymmetricILi1EELi0E11ProtoSimpleILi1ELi1ELi0ELi4ELi0ELi0EELi0ELb0ELi0ELi0ELi0EEC2EiiPKiS9_PKvPvmhhhP15ncclDevWorkCollP14ncclDevWorkP2pii@rel32@hi+12
	s_getpc_b64 s[6:7]
	s_add_u32 s6, s6, __assert_fail@rel32@lo+4
	s_addc_u32 s7, s7, __assert_fail@rel32@hi+12
	v_mov_b32_e32 v0, s4
	v_mov_b32_e32 v1, s5
	s_swappc_b64 s[30:31], s[6:7]
	; divergent unreachable
.LBB6_10805:
	s_or_b64 exec, exec, s[26:27]
	buffer_load_dword v62, off, s[0:3], s33 ; 4-byte Folded Reload
	buffer_load_dword v61, off, s[0:3], s33 offset:4 ; 4-byte Folded Reload
	buffer_load_dword v60, off, s[0:3], s33 offset:8 ; 4-byte Folded Reload
	;; [unrolled: 1-line block ×14, first 2 shown]
	v_readlane_b32 s30, v63, 18
	v_readlane_b32 s31, v63, 19
	;; [unrolled: 1-line block ×20, first 2 shown]
	s_mov_b32 s32, s33
	v_readlane_b32 s4, v63, 20
	s_or_saveexec_b64 s[6:7], -1
	buffer_load_dword v63, off, s[0:3], s33 offset:360 ; 4-byte Folded Reload
	s_mov_b64 exec, s[6:7]
	s_mov_b32 s33, s4
	s_waitcnt vmcnt(0) lgkmcnt(0)
	s_setpc_b64 s[30:31]
.Lfunc_end6:
	.size	_ZN12_GLOBAL__N_17runRingI14__hip_fp8_e4m310FuncMinMaxIS1_E11ProtoSimpleILi1ELi1ELi0ELi4ELi0ELi0EELi0ELi4ELi0EEEviiP15ncclDevWorkColl, .Lfunc_end6-_ZN12_GLOBAL__N_17runRingI14__hip_fp8_e4m310FuncMinMaxIS1_E11ProtoSimpleILi1ELi1ELi0ELi4ELi0ELi0EELi0ELi4ELi0EEEviiP15ncclDevWorkColl
                                        ; -- End function
	.set .L_ZN12_GLOBAL__N_17runRingI14__hip_fp8_e4m310FuncMinMaxIS1_E11ProtoSimpleILi1ELi1ELi0ELi4ELi0ELi0EELi0ELi4ELi0EEEviiP15ncclDevWorkColl.num_vgpr, max(64, .L__assert_fail.num_vgpr)
	.set .L_ZN12_GLOBAL__N_17runRingI14__hip_fp8_e4m310FuncMinMaxIS1_E11ProtoSimpleILi1ELi1ELi0ELi4ELi0ELi0EELi0ELi4ELi0EEEviiP15ncclDevWorkColl.num_agpr, max(0, .L__assert_fail.num_agpr)
	.set .L_ZN12_GLOBAL__N_17runRingI14__hip_fp8_e4m310FuncMinMaxIS1_E11ProtoSimpleILi1ELi1ELi0ELi4ELi0ELi0EELi0ELi4ELi0EEEviiP15ncclDevWorkColl.numbered_sgpr, max(96, .L__assert_fail.numbered_sgpr)
	.set .L_ZN12_GLOBAL__N_17runRingI14__hip_fp8_e4m310FuncMinMaxIS1_E11ProtoSimpleILi1ELi1ELi0ELi4ELi0ELi0EELi0ELi4ELi0EEEviiP15ncclDevWorkColl.num_named_barrier, max(0, .L__assert_fail.num_named_barrier)
	.set .L_ZN12_GLOBAL__N_17runRingI14__hip_fp8_e4m310FuncMinMaxIS1_E11ProtoSimpleILi1ELi1ELi0ELi4ELi0ELi0EELi0ELi4ELi0EEEviiP15ncclDevWorkColl.private_seg_size, 368+max(.L__assert_fail.private_seg_size)
	.set .L_ZN12_GLOBAL__N_17runRingI14__hip_fp8_e4m310FuncMinMaxIS1_E11ProtoSimpleILi1ELi1ELi0ELi4ELi0ELi0EELi0ELi4ELi0EEEviiP15ncclDevWorkColl.uses_vcc, or(1, .L__assert_fail.uses_vcc)
	.set .L_ZN12_GLOBAL__N_17runRingI14__hip_fp8_e4m310FuncMinMaxIS1_E11ProtoSimpleILi1ELi1ELi0ELi4ELi0ELi0EELi0ELi4ELi0EEEviiP15ncclDevWorkColl.uses_flat_scratch, or(0, .L__assert_fail.uses_flat_scratch)
	.set .L_ZN12_GLOBAL__N_17runRingI14__hip_fp8_e4m310FuncMinMaxIS1_E11ProtoSimpleILi1ELi1ELi0ELi4ELi0ELi0EELi0ELi4ELi0EEEviiP15ncclDevWorkColl.has_dyn_sized_stack, or(0, .L__assert_fail.has_dyn_sized_stack)
	.set .L_ZN12_GLOBAL__N_17runRingI14__hip_fp8_e4m310FuncMinMaxIS1_E11ProtoSimpleILi1ELi1ELi0ELi4ELi0ELi0EELi0ELi4ELi0EEEviiP15ncclDevWorkColl.has_recursion, or(1, .L__assert_fail.has_recursion)
	.set .L_ZN12_GLOBAL__N_17runRingI14__hip_fp8_e4m310FuncMinMaxIS1_E11ProtoSimpleILi1ELi1ELi0ELi4ELi0ELi0EELi0ELi4ELi0EEEviiP15ncclDevWorkColl.has_indirect_call, or(0, .L__assert_fail.has_indirect_call)
	.section	.AMDGPU.csdata,"",@progbits
; Function info:
; codeLenInByte = 287012
; TotalNumSgprs: 100
; NumVgprs: 64
; ScratchSize: 432
; MemoryBound: 1
	.text
	.p2align	2                               ; -- Begin function _Z50ncclDevFunc_Reduce_RING_SIMPLE_MinMax_f8e4m3_0_0_4v
	.type	_Z50ncclDevFunc_Reduce_RING_SIMPLE_MinMax_f8e4m3_0_0_4v,@function
_Z50ncclDevFunc_Reduce_RING_SIMPLE_MinMax_f8e4m3_0_0_4v: ; @_Z50ncclDevFunc_Reduce_RING_SIMPLE_MinMax_f8e4m3_0_0_4v
; %bb.0:
	s_waitcnt vmcnt(0) expcnt(0) lgkmcnt(0)
	s_mov_b32 s4, s33
	s_mov_b32 s33, s32
	s_or_saveexec_b64 s[6:7], -1
	buffer_store_dword v43, off, s[0:3], s33 offset:16 ; 4-byte Folded Spill
	s_mov_b64 exec, s[6:7]
	v_writelane_b32 v43, s4, 28
	s_addk_i32 s32, 0x800
	buffer_store_dword v40, off, s[0:3], s33 offset:12 ; 4-byte Folded Spill
	buffer_store_dword v41, off, s[0:3], s33 offset:8 ; 4-byte Folded Spill
	;; [unrolled: 1-line block ×3, first 2 shown]
	buffer_store_dword v63, off, s[0:3], s33 ; 4-byte Folded Spill
	v_writelane_b32 v43, s34, 0
	v_writelane_b32 v43, s35, 1
	;; [unrolled: 1-line block ×28, first 2 shown]
	s_trap 2
	ds_read_b32 v0, v0
	v_mov_b32_e32 v40, v31
	v_and_b32_e32 v41, 0x3ff, v40
	s_mov_b32 s80, s12
	s_mov_b64 s[70:71], s[8:9]
	s_waitcnt lgkmcnt(0)
	v_cmp_lt_i32_e32 vcc, v41, v0
	s_and_saveexec_b64 s[4:5], vcc
	s_cbranch_execz .LBB7_5
; %bb.1:
	s_load_dword s6, s[70:71], 0x0
	v_mov_b32_e32 v1, 0
	s_mov_b32 s10, 0
	v_mov_b32_e32 v4, v41
                                        ; implicit-def: $vgpr3
	s_waitcnt lgkmcnt(0)
	s_cmp_lt_u32 s80, s6
	s_cselect_b32 s6, 12, 18
	s_add_u32 s6, s70, s6
	s_addc_u32 s7, s71, 0
	global_load_ushort v1, v1, s[6:7]
	s_trap 2
	ds_read_b32 v2, v0
	s_mov_b64 s[6:7], 0
	s_waitcnt vmcnt(0) lgkmcnt(0)
	v_mul_lo_u32 v2, v2, v1
	s_branch .LBB7_3
.LBB7_2:                                ;   in Loop: Header=BB7_3 Depth=1
	s_or_b64 exec, exec, s[8:9]
	v_add_u32_e32 v4, v4, v1
	v_cmp_ge_i32_e32 vcc, v4, v0
	s_or_b64 s[6:7], vcc, s[6:7]
	v_add_u32_e32 v3, v3, v2
	s_andn2_b64 exec, exec, s[6:7]
	s_cbranch_execz .LBB7_5
.LBB7_3:                                ; =>This Inner Loop Header: Depth=1
	ds_read_b32 v5, v3
	s_waitcnt lgkmcnt(0)
	v_and_b32_e32 v5, 0x1000000, v5
	v_cmp_ne_u32_e32 vcc, 0, v5
	s_and_saveexec_b64 s[8:9], vcc
	s_cbranch_execz .LBB7_2
; %bb.4:                                ;   in Loop: Header=BB7_3 Depth=1
	ds_read_b64 v[5:6], v3 offset:104
	s_waitcnt lgkmcnt(0)
	flat_load_ubyte v5, v[5:6]
	v_mov_b32_e32 v6, s10
	s_waitcnt vmcnt(0) lgkmcnt(0)
	v_and_b32_e32 v5, 0xffff, v5
	ds_write_b64 v3, v[5:6] offset:104
	s_branch .LBB7_2
.LBB7_5:
	s_or_b64 exec, exec, s[4:5]
	s_waitcnt vmcnt(0) lgkmcnt(0)
	s_barrier
	s_trap 2
	ds_read_b32 v0, v0
	s_waitcnt lgkmcnt(0)
	v_cmp_gt_i32_e32 vcc, 1, v0
	s_cbranch_vccnz .LBB7_13
; %bb.6:
	s_mov_b32 s81, 0
	v_mov_b32_e32 v42, 6
	s_branch .LBB7_8
.LBB7_7:                                ;   in Loop: Header=BB7_8 Depth=1
	s_or_b64 exec, exec, s[82:83]
	s_trap 2
	ds_read_b32 v0, v0
	s_add_i32 s81, s81, 1
	s_waitcnt lgkmcnt(0)
	v_cmp_lt_i32_e32 vcc, s81, v0
	s_cbranch_vccz .LBB7_13
.LBB7_8:                                ; =>This Inner Loop Header: Depth=1
	s_trap 2
	ds_read_b32 v0, v0
	s_cmp_eq_u32 s81, 0
	s_cbranch_scc1 .LBB7_11
; %bb.9:                                ;   in Loop: Header=BB7_8 Depth=1
	s_trap 2
	s_waitcnt lgkmcnt(0)
	ds_read_b32 v1, v0
	s_waitcnt lgkmcnt(0)
	v_xor_b32_e32 v1, v1, v0
	v_and_b32_e32 v1, 0xff0000, v1
	v_cmp_eq_u32_e32 vcc, 0, v1
	s_cbranch_vccnz .LBB7_11
; %bb.10:                               ;   in Loop: Header=BB7_8 Depth=1
	s_barrier
	ds_read_b32 v0, v0
.LBB7_11:                               ;   in Loop: Header=BB7_8 Depth=1
	s_waitcnt lgkmcnt(0)
	v_lshlrev_b32_sdwa v1, v42, v0 dst_sel:DWORD dst_unused:UNUSED_PAD src0_sel:DWORD src1_sel:BYTE_2
	v_cmp_lt_u32_e32 vcc, v41, v1
	s_and_saveexec_b64 s[82:83], vcc
	s_cbranch_execz .LBB7_7
; %bb.12:                               ;   in Loop: Header=BB7_8 Depth=1
	s_mov_b64 s[4:5], src_shared_base
	s_getpc_b64 s[6:7]
	s_add_u32 s6, s6, _ZN12_GLOBAL__N_17runRingI14__hip_fp8_e4m310FuncMinMaxIS1_E11ProtoSimpleILi1ELi1ELi0ELi4ELi0ELi0EELi0ELi4ELi0EEEviiP15ncclDevWorkColl@rel32@lo+4
	s_addc_u32 s7, s7, _ZN12_GLOBAL__N_17runRingI14__hip_fp8_e4m310FuncMinMaxIS1_E11ProtoSimpleILi1ELi1ELi0ELi4ELi0ELi0EELi0ELi4ELi0EEEviiP15ncclDevWorkColl@rel32@hi+12
	s_mov_b64 s[8:9], s[70:71]
	s_mov_b32 s12, s80
	v_mov_b32_e32 v31, v40
	v_mov_b32_e32 v0, v41
	;; [unrolled: 1-line block ×3, first 2 shown]
	s_swappc_b64 s[30:31], s[6:7]
	s_branch .LBB7_7
.LBB7_13:
	buffer_load_dword v63, off, s[0:3], s33 ; 4-byte Folded Reload
	buffer_load_dword v42, off, s[0:3], s33 offset:4 ; 4-byte Folded Reload
	buffer_load_dword v41, off, s[0:3], s33 offset:8 ; 4-byte Folded Reload
	;; [unrolled: 1-line block ×3, first 2 shown]
	v_readlane_b32 s30, v43, 26
	v_readlane_b32 s31, v43, 27
	;; [unrolled: 1-line block ×28, first 2 shown]
	s_mov_b32 s32, s33
	v_readlane_b32 s4, v43, 28
	s_or_saveexec_b64 s[6:7], -1
	buffer_load_dword v43, off, s[0:3], s33 offset:16 ; 4-byte Folded Reload
	s_mov_b64 exec, s[6:7]
	s_mov_b32 s33, s4
	s_waitcnt vmcnt(0)
	s_setpc_b64 s[30:31]
.Lfunc_end7:
	.size	_Z50ncclDevFunc_Reduce_RING_SIMPLE_MinMax_f8e4m3_0_0_4v, .Lfunc_end7-_Z50ncclDevFunc_Reduce_RING_SIMPLE_MinMax_f8e4m3_0_0_4v
                                        ; -- End function
	.set .L_Z50ncclDevFunc_Reduce_RING_SIMPLE_MinMax_f8e4m3_0_0_4v.num_vgpr, max(64, .L_ZN12_GLOBAL__N_17runRingI14__hip_fp8_e4m310FuncMinMaxIS1_E11ProtoSimpleILi1ELi1ELi0ELi4ELi0ELi0EELi0ELi4ELi0EEEviiP15ncclDevWorkColl.num_vgpr)
	.set .L_Z50ncclDevFunc_Reduce_RING_SIMPLE_MinMax_f8e4m3_0_0_4v.num_agpr, max(0, .L_ZN12_GLOBAL__N_17runRingI14__hip_fp8_e4m310FuncMinMaxIS1_E11ProtoSimpleILi1ELi1ELi0ELi4ELi0ELi0EELi0ELi4ELi0EEEviiP15ncclDevWorkColl.num_agpr)
	.set .L_Z50ncclDevFunc_Reduce_RING_SIMPLE_MinMax_f8e4m3_0_0_4v.numbered_sgpr, max(84, .L_ZN12_GLOBAL__N_17runRingI14__hip_fp8_e4m310FuncMinMaxIS1_E11ProtoSimpleILi1ELi1ELi0ELi4ELi0ELi0EELi0ELi4ELi0EEEviiP15ncclDevWorkColl.numbered_sgpr)
	.set .L_Z50ncclDevFunc_Reduce_RING_SIMPLE_MinMax_f8e4m3_0_0_4v.num_named_barrier, max(0, .L_ZN12_GLOBAL__N_17runRingI14__hip_fp8_e4m310FuncMinMaxIS1_E11ProtoSimpleILi1ELi1ELi0ELi4ELi0ELi0EELi0ELi4ELi0EEEviiP15ncclDevWorkColl.num_named_barrier)
	.set .L_Z50ncclDevFunc_Reduce_RING_SIMPLE_MinMax_f8e4m3_0_0_4v.private_seg_size, 32+max(.L_ZN12_GLOBAL__N_17runRingI14__hip_fp8_e4m310FuncMinMaxIS1_E11ProtoSimpleILi1ELi1ELi0ELi4ELi0ELi0EELi0ELi4ELi0EEEviiP15ncclDevWorkColl.private_seg_size)
	.set .L_Z50ncclDevFunc_Reduce_RING_SIMPLE_MinMax_f8e4m3_0_0_4v.uses_vcc, or(1, .L_ZN12_GLOBAL__N_17runRingI14__hip_fp8_e4m310FuncMinMaxIS1_E11ProtoSimpleILi1ELi1ELi0ELi4ELi0ELi0EELi0ELi4ELi0EEEviiP15ncclDevWorkColl.uses_vcc)
	.set .L_Z50ncclDevFunc_Reduce_RING_SIMPLE_MinMax_f8e4m3_0_0_4v.uses_flat_scratch, or(0, .L_ZN12_GLOBAL__N_17runRingI14__hip_fp8_e4m310FuncMinMaxIS1_E11ProtoSimpleILi1ELi1ELi0ELi4ELi0ELi0EELi0ELi4ELi0EEEviiP15ncclDevWorkColl.uses_flat_scratch)
	.set .L_Z50ncclDevFunc_Reduce_RING_SIMPLE_MinMax_f8e4m3_0_0_4v.has_dyn_sized_stack, or(0, .L_ZN12_GLOBAL__N_17runRingI14__hip_fp8_e4m310FuncMinMaxIS1_E11ProtoSimpleILi1ELi1ELi0ELi4ELi0ELi0EELi0ELi4ELi0EEEviiP15ncclDevWorkColl.has_dyn_sized_stack)
	.set .L_Z50ncclDevFunc_Reduce_RING_SIMPLE_MinMax_f8e4m3_0_0_4v.has_recursion, or(1, .L_ZN12_GLOBAL__N_17runRingI14__hip_fp8_e4m310FuncMinMaxIS1_E11ProtoSimpleILi1ELi1ELi0ELi4ELi0ELi0EELi0ELi4ELi0EEEviiP15ncclDevWorkColl.has_recursion)
	.set .L_Z50ncclDevFunc_Reduce_RING_SIMPLE_MinMax_f8e4m3_0_0_4v.has_indirect_call, or(0, .L_ZN12_GLOBAL__N_17runRingI14__hip_fp8_e4m310FuncMinMaxIS1_E11ProtoSimpleILi1ELi1ELi0ELi4ELi0ELi0EELi0ELi4ELi0EEEviiP15ncclDevWorkColl.has_indirect_call)
	.section	.AMDGPU.csdata,"",@progbits
; Function info:
; codeLenInByte = 1056
; TotalNumSgprs: 100
; NumVgprs: 64
; ScratchSize: 464
; MemoryBound: 0
	.section	.AMDGPU.gpr_maximums,"",@progbits
	.set amdgpu.max_num_vgpr, 64
	.set amdgpu.max_num_agpr, 0
	.set amdgpu.max_num_sgpr, 96
	.section	.AMDGPU.csdata,"",@progbits
	.type	__const.__assert_fail.fmt,@object ; @__const.__assert_fail.fmt
	.section	.rodata.str1.16,"aMS",@progbits,1
	.p2align	4, 0x0
__const.__assert_fail.fmt:
	.asciz	"%s:%u: %s: Device-side assertion `%s' failed.\n"
	.size	__const.__assert_fail.fmt, 47

	.type	.str.3,@object                  ; @.str.3
	.section	.rodata.str1.1,"aMS",@progbits,1
.str.3:
	.asciz	"2*(nrecv+nsend) <= nthreads"
	.size	.str.3, 28

	.type	.str.4,@object                  ; @.str.4
.str.4:
	.asciz	"/root/src/amdgpu-assembly/repos/ROCm__rccl/hipify/src/device/prims_simple.h"
	.size	.str.4, 76

	.type	__PRETTY_FUNCTION__._ZN10PrimitivesI14__hip_fp8_e4m310FuncMinMaxIS0_E12FanSymmetricILi1EELi0E11ProtoSimpleILi1ELi1ELi0ELi1ELi0ELi0EELi0ELb0ELi0ELi0ELi0EEC2EiiPKiS9_PKvPvmhhhP15ncclDevWorkCollP14ncclDevWorkP2pii,@object ; @__PRETTY_FUNCTION__._ZN10PrimitivesI14__hip_fp8_e4m310FuncMinMaxIS0_E12FanSymmetricILi1EELi0E11ProtoSimpleILi1ELi1ELi0ELi1ELi0ELi0EELi0ELb0ELi0ELi0ELi0EEC2EiiPKiS9_PKvPvmhhhP15ncclDevWorkCollP14ncclDevWorkP2pii
__PRETTY_FUNCTION__._ZN10PrimitivesI14__hip_fp8_e4m310FuncMinMaxIS0_E12FanSymmetricILi1EELi0E11ProtoSimpleILi1ELi1ELi0ELi1ELi0ELi0EELi0ELb0ELi0ELi0ELi0EEC2EiiPKiS9_PKvPvmhhhP15ncclDevWorkCollP14ncclDevWorkP2pii:
	.asciz	"Primitives<__hip_fp8_e4m3, FuncMinMax<__hip_fp8_e4m3>, FanSymmetric<1>, 0, ProtoSimple<1, 1, 0, 1>, 0>::Primitives(int, int, const int *, const int *, const void *, void *, uint64_t, uint8_t, uint8_t, uint8_t, struct ncclDevWorkColl *, struct ncclDevWorkP2p *, int, int) [T = __hip_fp8_e4m3, RedOp = FuncMinMax<__hip_fp8_e4m3>, Fan = FanSymmetric<1>, Direct = 0, Proto = ProtoSimple<1, 1, 0, 1>, P2p = 0, isNetOffload = false, Metadata = 0, Pipeline = 0, useAcc = 0]"
	.size	__PRETTY_FUNCTION__._ZN10PrimitivesI14__hip_fp8_e4m310FuncMinMaxIS0_E12FanSymmetricILi1EELi0E11ProtoSimpleILi1ELi1ELi0ELi1ELi0ELi0EELi0ELb0ELi0ELi0ELi0EEC2EiiPKiS9_PKvPvmhhhP15ncclDevWorkCollP14ncclDevWorkP2pii, 467

	.type	__PRETTY_FUNCTION__._ZN10PrimitivesI14__hip_fp8_e4m310FuncMinMaxIS0_E12FanSymmetricILi1EELi0E11ProtoSimpleILi1ELi1ELi0ELi2ELi0ELi0EELi0ELb0ELi0ELi0ELi0EEC2EiiPKiS9_PKvPvmhhhP15ncclDevWorkCollP14ncclDevWorkP2pii,@object ; @__PRETTY_FUNCTION__._ZN10PrimitivesI14__hip_fp8_e4m310FuncMinMaxIS0_E12FanSymmetricILi1EELi0E11ProtoSimpleILi1ELi1ELi0ELi2ELi0ELi0EELi0ELb0ELi0ELi0ELi0EEC2EiiPKiS9_PKvPvmhhhP15ncclDevWorkCollP14ncclDevWorkP2pii
__PRETTY_FUNCTION__._ZN10PrimitivesI14__hip_fp8_e4m310FuncMinMaxIS0_E12FanSymmetricILi1EELi0E11ProtoSimpleILi1ELi1ELi0ELi2ELi0ELi0EELi0ELb0ELi0ELi0ELi0EEC2EiiPKiS9_PKvPvmhhhP15ncclDevWorkCollP14ncclDevWorkP2pii:
	.asciz	"Primitives<__hip_fp8_e4m3, FuncMinMax<__hip_fp8_e4m3>, FanSymmetric<1>, 0, ProtoSimple<1, 1, 0, 2>, 0>::Primitives(int, int, const int *, const int *, const void *, void *, uint64_t, uint8_t, uint8_t, uint8_t, struct ncclDevWorkColl *, struct ncclDevWorkP2p *, int, int) [T = __hip_fp8_e4m3, RedOp = FuncMinMax<__hip_fp8_e4m3>, Fan = FanSymmetric<1>, Direct = 0, Proto = ProtoSimple<1, 1, 0, 2>, P2p = 0, isNetOffload = false, Metadata = 0, Pipeline = 0, useAcc = 0]"
	.size	__PRETTY_FUNCTION__._ZN10PrimitivesI14__hip_fp8_e4m310FuncMinMaxIS0_E12FanSymmetricILi1EELi0E11ProtoSimpleILi1ELi1ELi0ELi2ELi0ELi0EELi0ELb0ELi0ELi0ELi0EEC2EiiPKiS9_PKvPvmhhhP15ncclDevWorkCollP14ncclDevWorkP2pii, 467

	.type	__PRETTY_FUNCTION__._ZN10PrimitivesI14__hip_fp8_e4m310FuncMinMaxIS0_E12FanSymmetricILi1EELi0E11ProtoSimpleILi1ELi1ELi0ELi4ELi0ELi0EELi0ELb0ELi0ELi0ELi0EEC2EiiPKiS9_PKvPvmhhhP15ncclDevWorkCollP14ncclDevWorkP2pii,@object ; @__PRETTY_FUNCTION__._ZN10PrimitivesI14__hip_fp8_e4m310FuncMinMaxIS0_E12FanSymmetricILi1EELi0E11ProtoSimpleILi1ELi1ELi0ELi4ELi0ELi0EELi0ELb0ELi0ELi0ELi0EEC2EiiPKiS9_PKvPvmhhhP15ncclDevWorkCollP14ncclDevWorkP2pii
__PRETTY_FUNCTION__._ZN10PrimitivesI14__hip_fp8_e4m310FuncMinMaxIS0_E12FanSymmetricILi1EELi0E11ProtoSimpleILi1ELi1ELi0ELi4ELi0ELi0EELi0ELb0ELi0ELi0ELi0EEC2EiiPKiS9_PKvPvmhhhP15ncclDevWorkCollP14ncclDevWorkP2pii:
	.asciz	"Primitives<__hip_fp8_e4m3, FuncMinMax<__hip_fp8_e4m3>, FanSymmetric<1>, 0, ProtoSimple<1, 1, 0, 4>, 0>::Primitives(int, int, const int *, const int *, const void *, void *, uint64_t, uint8_t, uint8_t, uint8_t, struct ncclDevWorkColl *, struct ncclDevWorkP2p *, int, int) [T = __hip_fp8_e4m3, RedOp = FuncMinMax<__hip_fp8_e4m3>, Fan = FanSymmetric<1>, Direct = 0, Proto = ProtoSimple<1, 1, 0, 4>, P2p = 0, isNetOffload = false, Metadata = 0, Pipeline = 0, useAcc = 0]"
	.size	__PRETTY_FUNCTION__._ZN10PrimitivesI14__hip_fp8_e4m310FuncMinMaxIS0_E12FanSymmetricILi1EELi0E11ProtoSimpleILi1ELi1ELi0ELi4ELi0ELi0EELi0ELb0ELi0ELi0ELi0EEC2EiiPKiS9_PKvPvmhhhP15ncclDevWorkCollP14ncclDevWorkP2pii, 467

	.type	__hip_cuid_4a3389d320b7bc49,@object ; @__hip_cuid_4a3389d320b7bc49
	.section	.bss,"aw",@nobits
	.globl	__hip_cuid_4a3389d320b7bc49
__hip_cuid_4a3389d320b7bc49:
	.byte	0                               ; 0x0
	.size	__hip_cuid_4a3389d320b7bc49, 1

	.ident	"AMD clang version 22.0.0git (https://github.com/RadeonOpenCompute/llvm-project roc-7.2.4 26084 f58b06dce1f9c15707c5f808fd002e18c2accf7e)"
	.section	".note.GNU-stack","",@progbits
	.addrsig
	.addrsig_sym _Z50ncclDevFunc_Reduce_RING_SIMPLE_MinMax_f8e4m3_0_0_1v
	.addrsig_sym _Z50ncclDevFunc_Reduce_RING_SIMPLE_MinMax_f8e4m3_0_0_2v
	.addrsig_sym _Z50ncclDevFunc_Reduce_RING_SIMPLE_MinMax_f8e4m3_0_0_4v
	.addrsig_sym ncclShmem
	.addrsig_sym __hip_cuid_4a3389d320b7bc49
	.amdgpu_metadata
---
amdhsa.kernels:  []
amdhsa.target:   amdgcn-amd-amdhsa--gfx906
amdhsa.version:
  - 1
  - 2
...

	.end_amdgpu_metadata
